;; amdgpu-corpus repo=pytorch/pytorch kind=compiled arch=gfx950 opt=O3
	.amdgcn_target "amdgcn-amd-amdhsa--gfx950"
	.amdhsa_code_object_version 6
	.section	.text.unlikely._ZN2at6native12_GLOBAL__N_128vectorized_layer_norm_kernelIddLb0EEEviT0_PKT_S6_S6_PS3_S7_PS4_,"axG",@progbits,_ZN2at6native12_GLOBAL__N_128vectorized_layer_norm_kernelIddLb0EEEviT0_PKT_S6_S6_PS3_S7_PS4_,comdat
	.globl	_ZN2at6native12_GLOBAL__N_128vectorized_layer_norm_kernelIddLb0EEEviT0_PKT_S6_S6_PS3_S7_PS4_ ; -- Begin function _ZN2at6native12_GLOBAL__N_128vectorized_layer_norm_kernelIddLb0EEEviT0_PKT_S6_S6_PS3_S7_PS4_
	.p2align	8
	.type	_ZN2at6native12_GLOBAL__N_128vectorized_layer_norm_kernelIddLb0EEEviT0_PKT_S6_S6_PS3_S7_PS4_,@function
_ZN2at6native12_GLOBAL__N_128vectorized_layer_norm_kernelIddLb0EEEviT0_PKT_S6_S6_PS3_S7_PS4_: ; @_ZN2at6native12_GLOBAL__N_128vectorized_layer_norm_kernelIddLb0EEEviT0_PKT_S6_S6_PS3_S7_PS4_
; %bb.0:
	s_trap 2
	.section	.rodata,"a",@progbits
	.p2align	6, 0x0
	.amdhsa_kernel _ZN2at6native12_GLOBAL__N_128vectorized_layer_norm_kernelIddLb0EEEviT0_PKT_S6_S6_PS3_S7_PS4_
		.amdhsa_group_segment_fixed_size 0
		.amdhsa_private_segment_fixed_size 0
		.amdhsa_kernarg_size 64
		.amdhsa_user_sgpr_count 2
		.amdhsa_user_sgpr_dispatch_ptr 0
		.amdhsa_user_sgpr_queue_ptr 0
		.amdhsa_user_sgpr_kernarg_segment_ptr 1
		.amdhsa_user_sgpr_dispatch_id 0
		.amdhsa_user_sgpr_kernarg_preload_length 0
		.amdhsa_user_sgpr_kernarg_preload_offset 0
		.amdhsa_user_sgpr_private_segment_size 0
		.amdhsa_uses_dynamic_stack 0
		.amdhsa_enable_private_segment 0
		.amdhsa_system_sgpr_workgroup_id_x 1
		.amdhsa_system_sgpr_workgroup_id_y 0
		.amdhsa_system_sgpr_workgroup_id_z 0
		.amdhsa_system_sgpr_workgroup_info 0
		.amdhsa_system_vgpr_workitem_id 0
		.amdhsa_next_free_vgpr 1
		.amdhsa_next_free_sgpr 0
		.amdhsa_accum_offset 4
		.amdhsa_reserve_vcc 0
		.amdhsa_float_round_mode_32 0
		.amdhsa_float_round_mode_16_64 0
		.amdhsa_float_denorm_mode_32 3
		.amdhsa_float_denorm_mode_16_64 3
		.amdhsa_dx10_clamp 1
		.amdhsa_ieee_mode 1
		.amdhsa_fp16_overflow 0
		.amdhsa_tg_split 0
		.amdhsa_exception_fp_ieee_invalid_op 0
		.amdhsa_exception_fp_denorm_src 0
		.amdhsa_exception_fp_ieee_div_zero 0
		.amdhsa_exception_fp_ieee_overflow 0
		.amdhsa_exception_fp_ieee_underflow 0
		.amdhsa_exception_fp_ieee_inexact 0
		.amdhsa_exception_int_div_zero 0
	.end_amdhsa_kernel
	.section	.text.unlikely._ZN2at6native12_GLOBAL__N_128vectorized_layer_norm_kernelIddLb0EEEviT0_PKT_S6_S6_PS3_S7_PS4_,"axG",@progbits,_ZN2at6native12_GLOBAL__N_128vectorized_layer_norm_kernelIddLb0EEEviT0_PKT_S6_S6_PS3_S7_PS4_,comdat
.Lfunc_end0:
	.size	_ZN2at6native12_GLOBAL__N_128vectorized_layer_norm_kernelIddLb0EEEviT0_PKT_S6_S6_PS3_S7_PS4_, .Lfunc_end0-_ZN2at6native12_GLOBAL__N_128vectorized_layer_norm_kernelIddLb0EEEviT0_PKT_S6_S6_PS3_S7_PS4_
                                        ; -- End function
	.set _ZN2at6native12_GLOBAL__N_128vectorized_layer_norm_kernelIddLb0EEEviT0_PKT_S6_S6_PS3_S7_PS4_.num_vgpr, 0
	.set _ZN2at6native12_GLOBAL__N_128vectorized_layer_norm_kernelIddLb0EEEviT0_PKT_S6_S6_PS3_S7_PS4_.num_agpr, 0
	.set _ZN2at6native12_GLOBAL__N_128vectorized_layer_norm_kernelIddLb0EEEviT0_PKT_S6_S6_PS3_S7_PS4_.numbered_sgpr, 0
	.set _ZN2at6native12_GLOBAL__N_128vectorized_layer_norm_kernelIddLb0EEEviT0_PKT_S6_S6_PS3_S7_PS4_.num_named_barrier, 0
	.set _ZN2at6native12_GLOBAL__N_128vectorized_layer_norm_kernelIddLb0EEEviT0_PKT_S6_S6_PS3_S7_PS4_.private_seg_size, 0
	.set _ZN2at6native12_GLOBAL__N_128vectorized_layer_norm_kernelIddLb0EEEviT0_PKT_S6_S6_PS3_S7_PS4_.uses_vcc, 0
	.set _ZN2at6native12_GLOBAL__N_128vectorized_layer_norm_kernelIddLb0EEEviT0_PKT_S6_S6_PS3_S7_PS4_.uses_flat_scratch, 0
	.set _ZN2at6native12_GLOBAL__N_128vectorized_layer_norm_kernelIddLb0EEEviT0_PKT_S6_S6_PS3_S7_PS4_.has_dyn_sized_stack, 0
	.set _ZN2at6native12_GLOBAL__N_128vectorized_layer_norm_kernelIddLb0EEEviT0_PKT_S6_S6_PS3_S7_PS4_.has_recursion, 0
	.set _ZN2at6native12_GLOBAL__N_128vectorized_layer_norm_kernelIddLb0EEEviT0_PKT_S6_S6_PS3_S7_PS4_.has_indirect_call, 0
	.section	.AMDGPU.csdata,"",@progbits
; Kernel info:
; codeLenInByte = 4
; TotalNumSgprs: 6
; NumVgprs: 0
; NumAgprs: 0
; TotalNumVgprs: 0
; ScratchSize: 0
; MemoryBound: 0
; FloatMode: 240
; IeeeMode: 1
; LDSByteSize: 0 bytes/workgroup (compile time only)
; SGPRBlocks: 0
; VGPRBlocks: 0
; NumSGPRsForWavesPerEU: 6
; NumVGPRsForWavesPerEU: 1
; AccumOffset: 4
; Occupancy: 8
; WaveLimiterHint : 0
; COMPUTE_PGM_RSRC2:SCRATCH_EN: 0
; COMPUTE_PGM_RSRC2:USER_SGPR: 2
; COMPUTE_PGM_RSRC2:TRAP_HANDLER: 0
; COMPUTE_PGM_RSRC2:TGID_X_EN: 1
; COMPUTE_PGM_RSRC2:TGID_Y_EN: 0
; COMPUTE_PGM_RSRC2:TGID_Z_EN: 0
; COMPUTE_PGM_RSRC2:TIDIG_COMP_CNT: 0
; COMPUTE_PGM_RSRC3_GFX90A:ACCUM_OFFSET: 0
; COMPUTE_PGM_RSRC3_GFX90A:TG_SPLIT: 0
	.section	.text._ZN2at6native12_GLOBAL__N_124RowwiseMomentsCUDAKernelIddLb0EEEvlT0_PKT_PS3_S7_,"axG",@progbits,_ZN2at6native12_GLOBAL__N_124RowwiseMomentsCUDAKernelIddLb0EEEvlT0_PKT_PS3_S7_,comdat
	.globl	_ZN2at6native12_GLOBAL__N_124RowwiseMomentsCUDAKernelIddLb0EEEvlT0_PKT_PS3_S7_ ; -- Begin function _ZN2at6native12_GLOBAL__N_124RowwiseMomentsCUDAKernelIddLb0EEEvlT0_PKT_PS3_S7_
	.p2align	8
	.type	_ZN2at6native12_GLOBAL__N_124RowwiseMomentsCUDAKernelIddLb0EEEvlT0_PKT_PS3_S7_,@function
_ZN2at6native12_GLOBAL__N_124RowwiseMomentsCUDAKernelIddLb0EEEvlT0_PKT_PS3_S7_: ; @_ZN2at6native12_GLOBAL__N_124RowwiseMomentsCUDAKernelIddLb0EEEvlT0_PKT_PS3_S7_
; %bb.0:
	s_load_dwordx8 s[4:11], s[0:1], 0x0
	s_load_dwordx2 s[12:13], s[0:1], 0x20
	v_mov_b32_e32 v1, 0
	s_mov_b32 s3, 0
	v_mov_b64_e32 v[14:15], 0
	s_waitcnt lgkmcnt(0)
	v_cmp_gt_i64_e32 vcc, s[4:5], v[0:1]
	v_mov_b64_e32 v[10:11], 0
	v_mov_b64_e32 v[2:3], 0
	;; [unrolled: 1-line block ×3, first 2 shown]
	s_and_saveexec_b64 s[14:15], vcc
	s_cbranch_execz .LBB1_4
; %bb.1:
	s_load_dword s16, s[0:1], 0x34
	s_mul_i32 s18, s5, s2
	s_mul_hi_u32 s19, s4, s2
	s_add_i32 s19, s19, s18
	s_mul_i32 s18, s4, s2
	s_waitcnt lgkmcnt(0)
	s_and_b32 s16, s16, 0xffff
	s_lshl_b64 s[18:19], s[18:19], 3
	s_add_u32 s8, s8, s18
	v_lshlrev_b32_e32 v2, 3, v0
	v_mov_b32_e32 v3, v1
	s_addc_u32 s9, s9, s19
	s_mov_b32 s17, s3
	v_lshl_add_u64 v[6:7], s[8:9], 0, v[2:3]
	s_lshl_b32 s8, s16, 3
	s_mov_b32 s9, s3
	v_mov_b64_e32 v[2:3], 0
	s_mov_b64 s[18:19], 0
	v_mov_b64_e32 v[8:9], v[0:1]
	s_mov_b64 s[20:21], 0
	v_mov_b64_e32 v[4:5], 0
.LBB1_2:                                ; =>This Inner Loop Header: Depth=1
	global_load_dwordx2 v[12:13], v[6:7], off
	s_add_u32 s20, s20, 1
	s_addc_u32 s21, s21, 0
	v_cvt_f64_u32_e32 v[16:17], s21
	v_cvt_f64_u32_e32 v[10:11], s20
	v_ldexp_f64 v[16:17], v[16:17], 32
	v_add_f64 v[10:11], v[16:17], v[10:11]
	v_lshl_add_u64 v[8:9], v[8:9], 0, s[16:17]
	v_cmp_le_i64_e32 vcc, s[4:5], v[8:9]
	s_or_b64 s[18:19], vcc, s[18:19]
	v_lshl_add_u64 v[6:7], v[6:7], 0, s[8:9]
	v_mov_b64_e32 v[14:15], s[20:21]
	s_waitcnt vmcnt(0)
	v_add_f64 v[16:17], v[12:13], -v[4:5]
	v_div_scale_f64 v[18:19], s[22:23], v[10:11], v[10:11], v[16:17]
	v_rcp_f64_e32 v[20:21], v[18:19]
	v_div_scale_f64 v[22:23], vcc, v[16:17], v[10:11], v[16:17]
	v_fma_f64 v[24:25], -v[18:19], v[20:21], 1.0
	v_fmac_f64_e32 v[20:21], v[20:21], v[24:25]
	v_fma_f64 v[24:25], -v[18:19], v[20:21], 1.0
	v_fmac_f64_e32 v[20:21], v[20:21], v[24:25]
	v_mul_f64 v[24:25], v[22:23], v[20:21]
	v_fma_f64 v[18:19], -v[18:19], v[24:25], v[22:23]
	v_div_fmas_f64 v[18:19], v[18:19], v[20:21], v[24:25]
	v_div_fixup_f64 v[18:19], v[18:19], v[10:11], v[16:17]
	v_add_f64 v[4:5], v[4:5], v[18:19]
	v_add_f64 v[12:13], v[12:13], -v[4:5]
	v_fmac_f64_e32 v[2:3], v[16:17], v[12:13]
	s_andn2_b64 exec, exec, s[18:19]
	s_cbranch_execnz .LBB1_2
; %bb.3:
	s_or_b64 exec, exec, s[18:19]
.LBB1_4:
	s_or_b64 exec, exec, s[14:15]
	v_mbcnt_lo_u32_b32 v1, -1, 0
	v_mbcnt_hi_u32_b32 v22, -1, v1
	v_mov_b32_e32 v1, 0x80
	v_lshl_or_b32 v1, v22, 2, v1
	ds_bpermute_b32 v8, v1, v4
	ds_bpermute_b32 v9, v1, v5
	;; [unrolled: 1-line block ×8, first 2 shown]
	v_cmp_neq_f64_e32 vcc, 0, v[10:11]
	s_and_saveexec_b64 s[4:5], vcc
	s_cbranch_execz .LBB1_8
; %bb.5:
	s_waitcnt lgkmcnt(0)
	v_cmp_neq_f64_e32 vcc, 0, v[12:13]
	s_and_saveexec_b64 s[8:9], vcc
	s_cbranch_execz .LBB1_7
; %bb.6:
	v_add_f64 v[16:17], v[10:11], v[12:13]
	v_div_scale_f64 v[14:15], s[14:15], v[16:17], v[16:17], v[12:13]
	v_rcp_f64_e32 v[18:19], v[14:15]
	v_add_f64 v[8:9], v[8:9], -v[4:5]
	v_add_f64 v[2:3], v[2:3], v[6:7]
	v_mul_f64 v[6:7], v[8:9], v[8:9]
	v_fma_f64 v[20:21], -v[14:15], v[18:19], 1.0
	v_fmac_f64_e32 v[18:19], v[18:19], v[20:21]
	v_fma_f64 v[20:21], -v[14:15], v[18:19], 1.0
	v_fmac_f64_e32 v[18:19], v[18:19], v[20:21]
	v_div_scale_f64 v[20:21], vcc, v[12:13], v[16:17], v[12:13]
	v_mul_f64 v[24:25], v[20:21], v[18:19]
	v_fma_f64 v[14:15], -v[14:15], v[24:25], v[20:21]
	v_mul_f64 v[6:7], v[10:11], v[6:7]
	s_nop 0
	v_div_fmas_f64 v[14:15], v[14:15], v[18:19], v[24:25]
	v_div_fixup_f64 v[12:13], v[14:15], v[16:17], v[12:13]
	v_fmac_f64_e32 v[4:5], v[8:9], v[12:13]
	v_fmac_f64_e32 v[2:3], v[6:7], v[12:13]
	v_mov_b64_e32 v[14:15], -1
	v_mov_b64_e32 v[10:11], v[16:17]
.LBB1_7:
	s_or_b64 exec, exec, s[8:9]
	v_mov_b64_e32 v[12:13], v[10:11]
	v_mov_b64_e32 v[16:17], v[14:15]
	;; [unrolled: 1-line block ×4, first 2 shown]
.LBB1_8:
	s_or_b64 exec, exec, s[4:5]
	v_and_b32_e32 v23, 63, v22
	v_cmp_gt_u32_e32 vcc, 48, v23
	s_nop 1
	v_cndmask_b32_e64 v2, 0, 16, vcc
	v_add_lshl_u32 v20, v2, v22, 2
	s_waitcnt lgkmcnt(7)
	ds_bpermute_b32 v10, v20, v8
	s_waitcnt lgkmcnt(7)
	ds_bpermute_b32 v11, v20, v9
	s_waitcnt lgkmcnt(7)
	ds_bpermute_b32 v2, v20, v6
	s_waitcnt lgkmcnt(7)
	ds_bpermute_b32 v3, v20, v7
	s_waitcnt lgkmcnt(7)
	ds_bpermute_b32 v18, v20, v16
	s_waitcnt lgkmcnt(7)
	ds_bpermute_b32 v19, v20, v17
	s_waitcnt lgkmcnt(7)
	ds_bpermute_b32 v14, v20, v12
	s_waitcnt lgkmcnt(7)
	ds_bpermute_b32 v15, v20, v13
	v_cmp_neq_f64_e32 vcc, 0, v[12:13]
	s_and_saveexec_b64 s[4:5], vcc
	s_cbranch_execz .LBB1_12
; %bb.9:
	s_waitcnt lgkmcnt(0)
	v_cmp_neq_f64_e32 vcc, 0, v[14:15]
	s_and_saveexec_b64 s[8:9], vcc
	s_cbranch_execz .LBB1_11
; %bb.10:
	v_add_f64 v[4:5], v[12:13], v[14:15]
	v_div_scale_f64 v[16:17], s[14:15], v[4:5], v[4:5], v[14:15]
	v_rcp_f64_e32 v[18:19], v[16:17]
	v_add_f64 v[10:11], v[10:11], -v[8:9]
	v_add_f64 v[6:7], v[6:7], v[2:3]
	v_mul_f64 v[2:3], v[10:11], v[10:11]
	v_fma_f64 v[24:25], -v[16:17], v[18:19], 1.0
	v_fmac_f64_e32 v[18:19], v[18:19], v[24:25]
	v_fma_f64 v[24:25], -v[16:17], v[18:19], 1.0
	v_fmac_f64_e32 v[18:19], v[18:19], v[24:25]
	v_div_scale_f64 v[24:25], vcc, v[14:15], v[4:5], v[14:15]
	v_mul_f64 v[26:27], v[24:25], v[18:19]
	v_fma_f64 v[16:17], -v[16:17], v[26:27], v[24:25]
	v_mul_f64 v[2:3], v[12:13], v[2:3]
	s_nop 0
	v_div_fmas_f64 v[16:17], v[16:17], v[18:19], v[26:27]
	v_div_fixup_f64 v[14:15], v[16:17], v[4:5], v[14:15]
	v_fmac_f64_e32 v[8:9], v[10:11], v[14:15]
	v_fmac_f64_e32 v[6:7], v[2:3], v[14:15]
	v_mov_b64_e32 v[16:17], -1
	v_mov_b64_e32 v[12:13], v[4:5]
.LBB1_11:
	s_or_b64 exec, exec, s[8:9]
	v_mov_b64_e32 v[14:15], v[12:13]
	v_mov_b64_e32 v[18:19], v[16:17]
	v_mov_b64_e32 v[2:3], v[6:7]
	v_mov_b64_e32 v[10:11], v[8:9]
.LBB1_12:
	s_or_b64 exec, exec, s[4:5]
	v_cmp_gt_u32_e32 vcc, 56, v23
	s_nop 1
	v_cndmask_b32_e64 v4, 0, 8, vcc
	v_add_lshl_u32 v21, v4, v22, 2
	s_waitcnt lgkmcnt(7)
	ds_bpermute_b32 v6, v21, v10
	s_waitcnt lgkmcnt(7)
	ds_bpermute_b32 v7, v21, v11
	s_waitcnt lgkmcnt(7)
	ds_bpermute_b32 v4, v21, v2
	s_waitcnt lgkmcnt(7)
	ds_bpermute_b32 v5, v21, v3
	s_waitcnt lgkmcnt(7)
	ds_bpermute_b32 v16, v21, v18
	s_waitcnt lgkmcnt(7)
	ds_bpermute_b32 v17, v21, v19
	s_waitcnt lgkmcnt(7)
	ds_bpermute_b32 v12, v21, v14
	s_waitcnt lgkmcnt(7)
	ds_bpermute_b32 v13, v21, v15
	v_cmp_neq_f64_e32 vcc, 0, v[14:15]
	s_and_saveexec_b64 s[4:5], vcc
	s_cbranch_execz .LBB1_16
; %bb.13:
	s_waitcnt lgkmcnt(0)
	v_cmp_neq_f64_e32 vcc, 0, v[12:13]
	s_and_saveexec_b64 s[8:9], vcc
	s_cbranch_execz .LBB1_15
; %bb.14:
	v_add_f64 v[8:9], v[14:15], v[12:13]
	v_div_scale_f64 v[16:17], s[14:15], v[8:9], v[8:9], v[12:13]
	v_rcp_f64_e32 v[18:19], v[16:17]
	v_add_f64 v[6:7], v[6:7], -v[10:11]
	v_add_f64 v[2:3], v[2:3], v[4:5]
	v_mul_f64 v[4:5], v[6:7], v[6:7]
	v_fma_f64 v[24:25], -v[16:17], v[18:19], 1.0
	v_fmac_f64_e32 v[18:19], v[18:19], v[24:25]
	v_fma_f64 v[24:25], -v[16:17], v[18:19], 1.0
	v_fmac_f64_e32 v[18:19], v[18:19], v[24:25]
	v_div_scale_f64 v[24:25], vcc, v[12:13], v[8:9], v[12:13]
	v_mul_f64 v[26:27], v[24:25], v[18:19]
	v_fma_f64 v[16:17], -v[16:17], v[26:27], v[24:25]
	v_mul_f64 v[4:5], v[14:15], v[4:5]
	s_nop 0
	v_div_fmas_f64 v[16:17], v[16:17], v[18:19], v[26:27]
	v_div_fixup_f64 v[12:13], v[16:17], v[8:9], v[12:13]
	v_fmac_f64_e32 v[10:11], v[6:7], v[12:13]
	v_fmac_f64_e32 v[2:3], v[4:5], v[12:13]
	v_mov_b64_e32 v[18:19], -1
	v_mov_b64_e32 v[14:15], v[8:9]
.LBB1_15:
	s_or_b64 exec, exec, s[8:9]
	v_mov_b64_e32 v[12:13], v[14:15]
	v_mov_b64_e32 v[16:17], v[18:19]
	v_mov_b64_e32 v[4:5], v[2:3]
	v_mov_b64_e32 v[6:7], v[10:11]
.LBB1_16:
	s_or_b64 exec, exec, s[4:5]
	;; [unrolled: 58-line block ×4, first 2 shown]
	v_cmp_ne_u32_e32 vcc, 63, v23
	s_nop 1
	v_addc_co_u32_e32 v2, vcc, 0, v22, vcc
	v_lshlrev_b32_e32 v22, 2, v2
	s_waitcnt lgkmcnt(7)
	ds_bpermute_b32 v10, v22, v6
	s_waitcnt lgkmcnt(7)
	ds_bpermute_b32 v11, v22, v7
	;; [unrolled: 2-line block ×8, first 2 shown]
	v_cmp_neq_f64_e32 vcc, 0, v[12:13]
	s_and_saveexec_b64 s[4:5], vcc
	s_cbranch_execz .LBB1_28
; %bb.25:
	s_waitcnt lgkmcnt(0)
	v_cmp_neq_f64_e32 vcc, 0, v[8:9]
	s_and_saveexec_b64 s[8:9], vcc
	s_cbranch_execz .LBB1_27
; %bb.26:
	v_add_f64 v[14:15], v[12:13], v[8:9]
	v_div_scale_f64 v[16:17], s[14:15], v[14:15], v[14:15], v[8:9]
	v_rcp_f64_e32 v[24:25], v[16:17]
	v_add_f64 v[10:11], v[10:11], -v[6:7]
	v_add_f64 v[4:5], v[4:5], v[2:3]
	v_mul_f64 v[2:3], v[10:11], v[10:11]
	v_fma_f64 v[26:27], -v[16:17], v[24:25], 1.0
	v_fmac_f64_e32 v[24:25], v[24:25], v[26:27]
	v_fma_f64 v[26:27], -v[16:17], v[24:25], 1.0
	v_fmac_f64_e32 v[24:25], v[24:25], v[26:27]
	v_div_scale_f64 v[26:27], vcc, v[8:9], v[14:15], v[8:9]
	v_mul_f64 v[28:29], v[26:27], v[24:25]
	v_fma_f64 v[16:17], -v[16:17], v[28:29], v[26:27]
	v_mul_f64 v[2:3], v[12:13], v[2:3]
	s_nop 0
	v_div_fmas_f64 v[16:17], v[16:17], v[24:25], v[28:29]
	v_div_fixup_f64 v[8:9], v[16:17], v[14:15], v[8:9]
	v_fmac_f64_e32 v[6:7], v[10:11], v[8:9]
	v_fmac_f64_e32 v[4:5], v[2:3], v[8:9]
	v_mov_b64_e32 v[16:17], -1
	v_mov_b64_e32 v[12:13], v[14:15]
.LBB1_27:
	s_or_b64 exec, exec, s[8:9]
	v_mov_b64_e32 v[8:9], v[12:13]
	v_mov_b64_e32 v[14:15], v[16:17]
	;; [unrolled: 1-line block ×4, first 2 shown]
.LBB1_28:
	s_or_b64 exec, exec, s[4:5]
	v_and_b32_e32 v4, 63, v0
	v_cmp_eq_u32_e32 vcc, 0, v4
	s_waitcnt lgkmcnt(0)
	s_barrier
	s_and_saveexec_b64 s[4:5], vcc
	s_cbranch_execz .LBB1_30
; %bb.29:
	v_lshrrev_b32_e32 v5, 1, v0
	ds_write2_b64 v5, v[10:11], v[2:3] offset1:1
	ds_write2_b64 v5, v[14:15], v[8:9] offset0:2 offset1:3
.LBB1_30:
	s_or_b64 exec, exec, s[4:5]
	s_waitcnt lgkmcnt(0)
	s_barrier
	s_load_dword s0, s[0:1], 0x34
	v_lshlrev_b32_e32 v8, 5, v4
	v_mov_b64_e32 v[4:5], 0
	v_mov_b64_e32 v[2:3], 0
	s_waitcnt lgkmcnt(0)
	s_bfe_u32 s0, s0, 0xa0006
	v_cmp_gt_u32_e32 vcc, s0, v0
	s_and_saveexec_b64 s[0:1], vcc
	s_cbranch_execnz .LBB1_36
; %bb.31:
	s_or_b64 exec, exec, s[0:1]
	s_and_saveexec_b64 s[0:1], vcc
	s_cbranch_execnz .LBB1_37
.LBB1_32:
	s_or_b64 exec, exec, s[0:1]
	v_mov_b64_e32 v[6:7], 0
	s_and_saveexec_b64 s[0:1], vcc
	s_cbranch_execnz .LBB1_38
.LBB1_33:
	s_or_b64 exec, exec, s[0:1]
	v_cmp_gt_u32_e32 vcc, 64, v0
	s_and_saveexec_b64 s[0:1], vcc
	s_cbranch_execnz .LBB1_39
.LBB1_34:
	s_or_b64 exec, exec, s[0:1]
	v_cmp_eq_u32_e32 vcc, 0, v0
	s_and_saveexec_b64 s[0:1], vcc
	s_cbranch_execnz .LBB1_64
.LBB1_35:
	s_endpgm
.LBB1_36:
	ds_read_b64 v[2:3], v8
	s_or_b64 exec, exec, s[0:1]
	s_and_saveexec_b64 s[0:1], vcc
	s_cbranch_execz .LBB1_32
.LBB1_37:
	ds_read_b64 v[4:5], v8 offset:8
	s_or_b64 exec, exec, s[0:1]
	v_mov_b64_e32 v[6:7], 0
	s_and_saveexec_b64 s[0:1], vcc
	s_cbranch_execz .LBB1_33
.LBB1_38:
	ds_read_b64 v[6:7], v8 offset:24
	s_or_b64 exec, exec, s[0:1]
	v_cmp_gt_u32_e32 vcc, 64, v0
	s_and_saveexec_b64 s[0:1], vcc
	s_cbranch_execz .LBB1_34
.LBB1_39:
	s_waitcnt lgkmcnt(0)
	ds_bpermute_b32 v10, v1, v2
	ds_bpermute_b32 v11, v1, v3
	;; [unrolled: 1-line block ×6, first 2 shown]
	v_cmp_neq_f64_e32 vcc, 0, v[6:7]
	s_and_saveexec_b64 s[4:5], vcc
	s_cbranch_execz .LBB1_43
; %bb.40:
	s_waitcnt lgkmcnt(0)
	v_cmp_neq_f64_e32 vcc, 0, v[12:13]
	s_and_saveexec_b64 s[8:9], vcc
	s_cbranch_execz .LBB1_42
; %bb.41:
	v_add_f64 v[14:15], v[6:7], v[12:13]
	v_div_scale_f64 v[16:17], s[14:15], v[14:15], v[14:15], v[12:13]
	v_rcp_f64_e32 v[24:25], v[16:17]
	v_add_f64 v[10:11], v[10:11], -v[2:3]
	v_add_f64 v[4:5], v[4:5], v[8:9]
	v_mul_f64 v[8:9], v[10:11], v[10:11]
	v_fma_f64 v[26:27], -v[16:17], v[24:25], 1.0
	v_fmac_f64_e32 v[24:25], v[24:25], v[26:27]
	v_fma_f64 v[26:27], -v[16:17], v[24:25], 1.0
	v_fmac_f64_e32 v[24:25], v[24:25], v[26:27]
	v_div_scale_f64 v[26:27], vcc, v[12:13], v[14:15], v[12:13]
	v_mul_f64 v[28:29], v[26:27], v[24:25]
	v_fma_f64 v[16:17], -v[16:17], v[28:29], v[26:27]
	v_mul_f64 v[6:7], v[6:7], v[8:9]
	s_nop 0
	v_div_fmas_f64 v[16:17], v[16:17], v[24:25], v[28:29]
	v_div_fixup_f64 v[12:13], v[16:17], v[14:15], v[12:13]
	v_fmac_f64_e32 v[2:3], v[10:11], v[12:13]
	v_fmac_f64_e32 v[4:5], v[6:7], v[12:13]
	v_mov_b64_e32 v[6:7], v[14:15]
.LBB1_42:
	s_or_b64 exec, exec, s[8:9]
	v_mov_b64_e32 v[12:13], v[6:7]
	v_mov_b64_e32 v[8:9], v[4:5]
	v_mov_b64_e32 v[10:11], v[2:3]
.LBB1_43:
	s_or_b64 exec, exec, s[4:5]
	s_waitcnt lgkmcnt(5)
	ds_bpermute_b32 v6, v20, v10
	s_waitcnt lgkmcnt(5)
	ds_bpermute_b32 v7, v20, v11
	s_waitcnt lgkmcnt(5)
	ds_bpermute_b32 v2, v20, v8
	s_waitcnt lgkmcnt(5)
	ds_bpermute_b32 v3, v20, v9
	s_waitcnt lgkmcnt(5)
	ds_bpermute_b32 v14, v20, v12
	s_waitcnt lgkmcnt(5)
	ds_bpermute_b32 v15, v20, v13
	v_cmp_neq_f64_e32 vcc, 0, v[12:13]
	s_and_saveexec_b64 s[4:5], vcc
	s_cbranch_execz .LBB1_47
; %bb.44:
	s_waitcnt lgkmcnt(0)
	v_cmp_neq_f64_e32 vcc, 0, v[14:15]
	s_and_saveexec_b64 s[8:9], vcc
	s_cbranch_execz .LBB1_46
; %bb.45:
	v_add_f64 v[4:5], v[12:13], v[14:15]
	v_div_scale_f64 v[16:17], s[14:15], v[4:5], v[4:5], v[14:15]
	v_rcp_f64_e32 v[24:25], v[16:17]
	v_add_f64 v[6:7], v[6:7], -v[10:11]
	v_add_f64 v[8:9], v[8:9], v[2:3]
	v_mul_f64 v[2:3], v[6:7], v[6:7]
	v_fma_f64 v[26:27], -v[16:17], v[24:25], 1.0
	v_fmac_f64_e32 v[24:25], v[24:25], v[26:27]
	v_fma_f64 v[26:27], -v[16:17], v[24:25], 1.0
	v_fmac_f64_e32 v[24:25], v[24:25], v[26:27]
	v_div_scale_f64 v[26:27], vcc, v[14:15], v[4:5], v[14:15]
	v_mul_f64 v[28:29], v[26:27], v[24:25]
	v_fma_f64 v[16:17], -v[16:17], v[28:29], v[26:27]
	v_mul_f64 v[2:3], v[12:13], v[2:3]
	s_nop 0
	v_div_fmas_f64 v[16:17], v[16:17], v[24:25], v[28:29]
	v_div_fixup_f64 v[14:15], v[16:17], v[4:5], v[14:15]
	v_fmac_f64_e32 v[10:11], v[6:7], v[14:15]
	v_fmac_f64_e32 v[8:9], v[2:3], v[14:15]
	v_mov_b64_e32 v[12:13], v[4:5]
.LBB1_46:
	s_or_b64 exec, exec, s[8:9]
	v_mov_b64_e32 v[14:15], v[12:13]
	v_mov_b64_e32 v[2:3], v[8:9]
	v_mov_b64_e32 v[6:7], v[10:11]
.LBB1_47:
	s_or_b64 exec, exec, s[4:5]
	s_waitcnt lgkmcnt(5)
	ds_bpermute_b32 v8, v21, v6
	s_waitcnt lgkmcnt(5)
	ds_bpermute_b32 v9, v21, v7
	s_waitcnt lgkmcnt(5)
	ds_bpermute_b32 v4, v21, v2
	s_waitcnt lgkmcnt(5)
	ds_bpermute_b32 v5, v21, v3
	s_waitcnt lgkmcnt(5)
	ds_bpermute_b32 v10, v21, v14
	s_waitcnt lgkmcnt(5)
	ds_bpermute_b32 v11, v21, v15
	;; [unrolled: 48-line block ×5, first 2 shown]
	v_cmp_neq_f64_e32 vcc, 0, v[12:13]
	s_and_saveexec_b64 s[4:5], vcc
	s_cbranch_execz .LBB1_63
; %bb.60:
	s_waitcnt lgkmcnt(0)
	v_cmp_neq_f64_e32 vcc, 0, v[6:7]
	s_and_saveexec_b64 s[8:9], vcc
	s_cbranch_execz .LBB1_62
; %bb.61:
	v_add_f64 v[14:15], v[12:13], v[6:7]
	v_div_scale_f64 v[16:17], s[14:15], v[14:15], v[14:15], v[6:7]
	v_rcp_f64_e32 v[18:19], v[16:17]
	v_add_f64 v[2:3], v[2:3], -v[10:11]
	v_add_f64 v[8:9], v[8:9], v[4:5]
	v_fma_f64 v[20:21], -v[16:17], v[18:19], 1.0
	v_fmac_f64_e32 v[18:19], v[18:19], v[20:21]
	v_fma_f64 v[20:21], -v[16:17], v[18:19], 1.0
	v_fmac_f64_e32 v[18:19], v[18:19], v[20:21]
	v_div_scale_f64 v[20:21], vcc, v[6:7], v[14:15], v[6:7]
	v_mul_f64 v[22:23], v[20:21], v[18:19]
	v_fma_f64 v[16:17], -v[16:17], v[22:23], v[20:21]
	s_nop 1
	v_div_fmas_f64 v[16:17], v[16:17], v[18:19], v[22:23]
	v_div_fixup_f64 v[6:7], v[16:17], v[14:15], v[6:7]
	v_fmac_f64_e32 v[10:11], v[2:3], v[6:7]
	v_mul_f64 v[2:3], v[2:3], v[2:3]
	v_mul_f64 v[2:3], v[12:13], v[2:3]
	v_fmac_f64_e32 v[8:9], v[2:3], v[6:7]
	v_mov_b64_e32 v[12:13], v[14:15]
.LBB1_62:
	s_or_b64 exec, exec, s[8:9]
	v_mov_b64_e32 v[6:7], v[12:13]
	v_mov_b64_e32 v[4:5], v[8:9]
	;; [unrolled: 1-line block ×3, first 2 shown]
.LBB1_63:
	s_or_b64 exec, exec, s[4:5]
	s_or_b64 exec, exec, s[0:1]
	v_cmp_eq_u32_e32 vcc, 0, v0
	s_and_saveexec_b64 s[0:1], vcc
	s_cbranch_execz .LBB1_35
.LBB1_64:
	s_waitcnt lgkmcnt(0)
	v_max_f64 v[0:1], v[6:7], v[6:7]
	v_max_f64 v[0:1], v[0:1], 0
	v_div_scale_f64 v[6:7], s[0:1], v[0:1], v[0:1], v[4:5]
	v_rcp_f64_e32 v[8:9], v[6:7]
	v_div_scale_f64 v[10:11], vcc, v[4:5], v[0:1], v[4:5]
	s_lshl_b64 s[0:1], s[2:3], 3
	v_fma_f64 v[12:13], -v[6:7], v[8:9], 1.0
	v_fmac_f64_e32 v[8:9], v[8:9], v[12:13]
	v_fma_f64 v[12:13], -v[6:7], v[8:9], 1.0
	v_fmac_f64_e32 v[8:9], v[8:9], v[12:13]
	v_mul_f64 v[12:13], v[10:11], v[8:9]
	v_fma_f64 v[6:7], -v[6:7], v[12:13], v[10:11]
	v_div_fmas_f64 v[6:7], v[6:7], v[8:9], v[12:13]
	v_div_fixup_f64 v[0:1], v[6:7], v[0:1], v[4:5]
	v_add_f64 v[0:1], s[6:7], v[0:1]
	v_rsq_f64_e32 v[4:5], v[0:1]
	s_add_u32 s2, s10, s0
	s_addc_u32 s3, s11, s1
	v_mov_b32_e32 v6, 0
	global_store_dwordx2 v6, v[2:3], s[2:3]
	v_mul_f64 v[0:1], v[4:5], -v[0:1]
	s_mov_b32 s2, 0
	v_fma_f64 v[0:1], v[0:1], v[4:5], 1.0
	s_mov_b32 s3, 0x3fd80000
	v_mul_f64 v[2:3], v[4:5], v[0:1]
	v_fma_f64 v[0:1], v[0:1], s[2:3], 0.5
	v_fma_f64 v[0:1], v[2:3], v[0:1], v[4:5]
	v_mov_b32_e32 v2, 0x180
	v_cmp_class_f64_e32 vcc, v[4:5], v2
	s_add_u32 s0, s12, s0
	s_addc_u32 s1, s13, s1
	v_cndmask_b32_e32 v1, v5, v1, vcc
	v_cndmask_b32_e32 v0, v4, v0, vcc
	global_store_dwordx2 v6, v[0:1], s[0:1]
	s_endpgm
	.section	.rodata,"a",@progbits
	.p2align	6, 0x0
	.amdhsa_kernel _ZN2at6native12_GLOBAL__N_124RowwiseMomentsCUDAKernelIddLb0EEEvlT0_PKT_PS3_S7_
		.amdhsa_group_segment_fixed_size 2048
		.amdhsa_private_segment_fixed_size 0
		.amdhsa_kernarg_size 296
		.amdhsa_user_sgpr_count 2
		.amdhsa_user_sgpr_dispatch_ptr 0
		.amdhsa_user_sgpr_queue_ptr 0
		.amdhsa_user_sgpr_kernarg_segment_ptr 1
		.amdhsa_user_sgpr_dispatch_id 0
		.amdhsa_user_sgpr_kernarg_preload_length 0
		.amdhsa_user_sgpr_kernarg_preload_offset 0
		.amdhsa_user_sgpr_private_segment_size 0
		.amdhsa_uses_dynamic_stack 0
		.amdhsa_enable_private_segment 0
		.amdhsa_system_sgpr_workgroup_id_x 1
		.amdhsa_system_sgpr_workgroup_id_y 0
		.amdhsa_system_sgpr_workgroup_id_z 0
		.amdhsa_system_sgpr_workgroup_info 0
		.amdhsa_system_vgpr_workitem_id 0
		.amdhsa_next_free_vgpr 30
		.amdhsa_next_free_sgpr 24
		.amdhsa_accum_offset 32
		.amdhsa_reserve_vcc 1
		.amdhsa_float_round_mode_32 0
		.amdhsa_float_round_mode_16_64 0
		.amdhsa_float_denorm_mode_32 3
		.amdhsa_float_denorm_mode_16_64 3
		.amdhsa_dx10_clamp 1
		.amdhsa_ieee_mode 1
		.amdhsa_fp16_overflow 0
		.amdhsa_tg_split 0
		.amdhsa_exception_fp_ieee_invalid_op 0
		.amdhsa_exception_fp_denorm_src 0
		.amdhsa_exception_fp_ieee_div_zero 0
		.amdhsa_exception_fp_ieee_overflow 0
		.amdhsa_exception_fp_ieee_underflow 0
		.amdhsa_exception_fp_ieee_inexact 0
		.amdhsa_exception_int_div_zero 0
	.end_amdhsa_kernel
	.section	.text._ZN2at6native12_GLOBAL__N_124RowwiseMomentsCUDAKernelIddLb0EEEvlT0_PKT_PS3_S7_,"axG",@progbits,_ZN2at6native12_GLOBAL__N_124RowwiseMomentsCUDAKernelIddLb0EEEvlT0_PKT_PS3_S7_,comdat
.Lfunc_end1:
	.size	_ZN2at6native12_GLOBAL__N_124RowwiseMomentsCUDAKernelIddLb0EEEvlT0_PKT_PS3_S7_, .Lfunc_end1-_ZN2at6native12_GLOBAL__N_124RowwiseMomentsCUDAKernelIddLb0EEEvlT0_PKT_PS3_S7_
                                        ; -- End function
	.set _ZN2at6native12_GLOBAL__N_124RowwiseMomentsCUDAKernelIddLb0EEEvlT0_PKT_PS3_S7_.num_vgpr, 30
	.set _ZN2at6native12_GLOBAL__N_124RowwiseMomentsCUDAKernelIddLb0EEEvlT0_PKT_PS3_S7_.num_agpr, 0
	.set _ZN2at6native12_GLOBAL__N_124RowwiseMomentsCUDAKernelIddLb0EEEvlT0_PKT_PS3_S7_.numbered_sgpr, 24
	.set _ZN2at6native12_GLOBAL__N_124RowwiseMomentsCUDAKernelIddLb0EEEvlT0_PKT_PS3_S7_.num_named_barrier, 0
	.set _ZN2at6native12_GLOBAL__N_124RowwiseMomentsCUDAKernelIddLb0EEEvlT0_PKT_PS3_S7_.private_seg_size, 0
	.set _ZN2at6native12_GLOBAL__N_124RowwiseMomentsCUDAKernelIddLb0EEEvlT0_PKT_PS3_S7_.uses_vcc, 1
	.set _ZN2at6native12_GLOBAL__N_124RowwiseMomentsCUDAKernelIddLb0EEEvlT0_PKT_PS3_S7_.uses_flat_scratch, 0
	.set _ZN2at6native12_GLOBAL__N_124RowwiseMomentsCUDAKernelIddLb0EEEvlT0_PKT_PS3_S7_.has_dyn_sized_stack, 0
	.set _ZN2at6native12_GLOBAL__N_124RowwiseMomentsCUDAKernelIddLb0EEEvlT0_PKT_PS3_S7_.has_recursion, 0
	.set _ZN2at6native12_GLOBAL__N_124RowwiseMomentsCUDAKernelIddLb0EEEvlT0_PKT_PS3_S7_.has_indirect_call, 0
	.section	.AMDGPU.csdata,"",@progbits
; Kernel info:
; codeLenInByte = 4128
; TotalNumSgprs: 30
; NumVgprs: 30
; NumAgprs: 0
; TotalNumVgprs: 30
; ScratchSize: 0
; MemoryBound: 0
; FloatMode: 240
; IeeeMode: 1
; LDSByteSize: 2048 bytes/workgroup (compile time only)
; SGPRBlocks: 3
; VGPRBlocks: 3
; NumSGPRsForWavesPerEU: 30
; NumVGPRsForWavesPerEU: 30
; AccumOffset: 32
; Occupancy: 8
; WaveLimiterHint : 0
; COMPUTE_PGM_RSRC2:SCRATCH_EN: 0
; COMPUTE_PGM_RSRC2:USER_SGPR: 2
; COMPUTE_PGM_RSRC2:TRAP_HANDLER: 0
; COMPUTE_PGM_RSRC2:TGID_X_EN: 1
; COMPUTE_PGM_RSRC2:TGID_Y_EN: 0
; COMPUTE_PGM_RSRC2:TGID_Z_EN: 0
; COMPUTE_PGM_RSRC2:TIDIG_COMP_CNT: 0
; COMPUTE_PGM_RSRC3_GFX90A:ACCUM_OFFSET: 7
; COMPUTE_PGM_RSRC3_GFX90A:TG_SPLIT: 0
	.section	.text._ZN2at6native12_GLOBAL__N_126LayerNormForwardCUDAKernelIddLb0EEEvlPKT_PKT0_S8_S5_S5_PS3_,"axG",@progbits,_ZN2at6native12_GLOBAL__N_126LayerNormForwardCUDAKernelIddLb0EEEvlPKT_PKT0_S8_S5_S5_PS3_,comdat
	.globl	_ZN2at6native12_GLOBAL__N_126LayerNormForwardCUDAKernelIddLb0EEEvlPKT_PKT0_S8_S5_S5_PS3_ ; -- Begin function _ZN2at6native12_GLOBAL__N_126LayerNormForwardCUDAKernelIddLb0EEEvlPKT_PKT0_S8_S5_S5_PS3_
	.p2align	8
	.type	_ZN2at6native12_GLOBAL__N_126LayerNormForwardCUDAKernelIddLb0EEEvlPKT_PKT0_S8_S5_S5_PS3_,@function
_ZN2at6native12_GLOBAL__N_126LayerNormForwardCUDAKernelIddLb0EEEvlPKT_PKT0_S8_S5_S5_PS3_: ; @_ZN2at6native12_GLOBAL__N_126LayerNormForwardCUDAKernelIddLb0EEEvlPKT_PKT0_S8_S5_S5_PS3_
; %bb.0:
	s_load_dwordx8 s[8:15], s[0:1], 0x0
	v_mov_b32_e32 v1, 0
	s_waitcnt lgkmcnt(0)
	v_cmp_gt_i64_e32 vcc, s[8:9], v[0:1]
	s_and_saveexec_b64 s[4:5], vcc
	s_cbranch_execz .LBB2_8
; %bb.1:
	s_load_dwordx8 s[16:23], s[0:1], 0x20
	s_mov_b32 s3, 0
	s_load_dword s0, s[0:1], 0x44
	s_mul_hi_u32 s1, s8, s2
	s_mov_b64 s[6:7], 0
	s_waitcnt lgkmcnt(0)
	s_cmp_lg_u64 s[16:17], 0
	s_cselect_b64 s[4:5], -1, 0
	s_cmp_lg_u64 s[18:19], 0
	s_cselect_b64 s[24:25], -1, 0
	s_lshl_b64 s[22:23], s[2:3], 3
	s_add_u32 s12, s12, s22
	s_addc_u32 s13, s13, s23
	s_add_u32 s14, s14, s22
	s_addc_u32 s15, s15, s23
	s_and_b32 s22, s0, 0xffff
	s_mul_i32 s0, s9, s2
	s_add_i32 s1, s1, s0
	s_mul_i32 s0, s8, s2
	s_lshl_b64 s[0:1], s[0:1], 3
	s_add_u32 s10, s10, s0
	s_addc_u32 s11, s11, s1
	s_lshl_b32 s2, s22, 3
	s_add_u32 s20, s20, s0
	v_cndmask_b32_e64 v4, 0, 1, s[4:5]
	v_cndmask_b32_e64 v5, 0, 1, s[24:25]
	s_mov_b32 s23, s3
	v_lshlrev_b32_e32 v2, 3, v0
	v_mov_b32_e32 v3, v1
	s_addc_u32 s21, s21, s1
	v_cmp_ne_u32_e64 s[0:1], 1, v4
	v_cmp_ne_u32_e64 s[4:5], 1, v5
	v_mov_b64_e32 v[4:5], v[0:1]
	s_branch .LBB2_4
.LBB2_2:                                ;   in Loop: Header=BB2_4 Depth=1
	v_lshl_add_u64 v[8:9], s[18:19], 0, v[2:3]
	global_load_dwordx2 v[8:9], v[8:9], off
.LBB2_3:                                ;   in Loop: Header=BB2_4 Depth=1
	v_lshl_add_u64 v[10:11], s[10:11], 0, v[2:3]
	global_load_dwordx2 v[12:13], v[10:11], off
	global_load_dwordx2 v[14:15], v1, s[12:13]
	global_load_dwordx2 v[16:17], v1, s[14:15]
	v_lshl_add_u64 v[4:5], v[4:5], 0, s[22:23]
	v_cmp_le_i64_e32 vcc, s[8:9], v[4:5]
	v_lshl_add_u64 v[10:11], s[20:21], 0, v[2:3]
	s_or_b64 s[6:7], vcc, s[6:7]
	v_lshl_add_u64 v[2:3], v[2:3], 0, s[2:3]
	s_waitcnt vmcnt(1)
	v_add_f64 v[12:13], v[12:13], -v[14:15]
	s_waitcnt vmcnt(0)
	v_mul_f64 v[12:13], v[12:13], v[16:17]
	v_fmac_f64_e32 v[8:9], v[6:7], v[12:13]
	global_store_dwordx2 v[10:11], v[8:9], off
	s_andn2_b64 exec, exec, s[6:7]
	s_cbranch_execz .LBB2_8
.LBB2_4:                                ; =>This Inner Loop Header: Depth=1
	s_and_b64 vcc, exec, s[0:1]
	s_cbranch_vccnz .LBB2_6
; %bb.5:                                ;   in Loop: Header=BB2_4 Depth=1
	v_lshl_add_u64 v[6:7], s[16:17], 0, v[2:3]
	global_load_dwordx2 v[6:7], v[6:7], off
	s_and_b64 vcc, exec, s[4:5]
	s_cbranch_vccz .LBB2_2
	s_branch .LBB2_7
.LBB2_6:                                ;   in Loop: Header=BB2_4 Depth=1
	v_mov_b64_e32 v[6:7], 1.0
	s_and_b64 vcc, exec, s[4:5]
	s_cbranch_vccz .LBB2_2
.LBB2_7:                                ;   in Loop: Header=BB2_4 Depth=1
	v_mov_b64_e32 v[8:9], 0
	s_branch .LBB2_3
.LBB2_8:
	s_endpgm
	.section	.rodata,"a",@progbits
	.p2align	6, 0x0
	.amdhsa_kernel _ZN2at6native12_GLOBAL__N_126LayerNormForwardCUDAKernelIddLb0EEEvlPKT_PKT0_S8_S5_S5_PS3_
		.amdhsa_group_segment_fixed_size 0
		.amdhsa_private_segment_fixed_size 0
		.amdhsa_kernarg_size 312
		.amdhsa_user_sgpr_count 2
		.amdhsa_user_sgpr_dispatch_ptr 0
		.amdhsa_user_sgpr_queue_ptr 0
		.amdhsa_user_sgpr_kernarg_segment_ptr 1
		.amdhsa_user_sgpr_dispatch_id 0
		.amdhsa_user_sgpr_kernarg_preload_length 0
		.amdhsa_user_sgpr_kernarg_preload_offset 0
		.amdhsa_user_sgpr_private_segment_size 0
		.amdhsa_uses_dynamic_stack 0
		.amdhsa_enable_private_segment 0
		.amdhsa_system_sgpr_workgroup_id_x 1
		.amdhsa_system_sgpr_workgroup_id_y 0
		.amdhsa_system_sgpr_workgroup_id_z 0
		.amdhsa_system_sgpr_workgroup_info 0
		.amdhsa_system_vgpr_workitem_id 0
		.amdhsa_next_free_vgpr 18
		.amdhsa_next_free_sgpr 26
		.amdhsa_accum_offset 20
		.amdhsa_reserve_vcc 1
		.amdhsa_float_round_mode_32 0
		.amdhsa_float_round_mode_16_64 0
		.amdhsa_float_denorm_mode_32 3
		.amdhsa_float_denorm_mode_16_64 3
		.amdhsa_dx10_clamp 1
		.amdhsa_ieee_mode 1
		.amdhsa_fp16_overflow 0
		.amdhsa_tg_split 0
		.amdhsa_exception_fp_ieee_invalid_op 0
		.amdhsa_exception_fp_denorm_src 0
		.amdhsa_exception_fp_ieee_div_zero 0
		.amdhsa_exception_fp_ieee_overflow 0
		.amdhsa_exception_fp_ieee_underflow 0
		.amdhsa_exception_fp_ieee_inexact 0
		.amdhsa_exception_int_div_zero 0
	.end_amdhsa_kernel
	.section	.text._ZN2at6native12_GLOBAL__N_126LayerNormForwardCUDAKernelIddLb0EEEvlPKT_PKT0_S8_S5_S5_PS3_,"axG",@progbits,_ZN2at6native12_GLOBAL__N_126LayerNormForwardCUDAKernelIddLb0EEEvlPKT_PKT0_S8_S5_S5_PS3_,comdat
.Lfunc_end2:
	.size	_ZN2at6native12_GLOBAL__N_126LayerNormForwardCUDAKernelIddLb0EEEvlPKT_PKT0_S8_S5_S5_PS3_, .Lfunc_end2-_ZN2at6native12_GLOBAL__N_126LayerNormForwardCUDAKernelIddLb0EEEvlPKT_PKT0_S8_S5_S5_PS3_
                                        ; -- End function
	.set _ZN2at6native12_GLOBAL__N_126LayerNormForwardCUDAKernelIddLb0EEEvlPKT_PKT0_S8_S5_S5_PS3_.num_vgpr, 18
	.set _ZN2at6native12_GLOBAL__N_126LayerNormForwardCUDAKernelIddLb0EEEvlPKT_PKT0_S8_S5_S5_PS3_.num_agpr, 0
	.set _ZN2at6native12_GLOBAL__N_126LayerNormForwardCUDAKernelIddLb0EEEvlPKT_PKT0_S8_S5_S5_PS3_.numbered_sgpr, 26
	.set _ZN2at6native12_GLOBAL__N_126LayerNormForwardCUDAKernelIddLb0EEEvlPKT_PKT0_S8_S5_S5_PS3_.num_named_barrier, 0
	.set _ZN2at6native12_GLOBAL__N_126LayerNormForwardCUDAKernelIddLb0EEEvlPKT_PKT0_S8_S5_S5_PS3_.private_seg_size, 0
	.set _ZN2at6native12_GLOBAL__N_126LayerNormForwardCUDAKernelIddLb0EEEvlPKT_PKT0_S8_S5_S5_PS3_.uses_vcc, 1
	.set _ZN2at6native12_GLOBAL__N_126LayerNormForwardCUDAKernelIddLb0EEEvlPKT_PKT0_S8_S5_S5_PS3_.uses_flat_scratch, 0
	.set _ZN2at6native12_GLOBAL__N_126LayerNormForwardCUDAKernelIddLb0EEEvlPKT_PKT0_S8_S5_S5_PS3_.has_dyn_sized_stack, 0
	.set _ZN2at6native12_GLOBAL__N_126LayerNormForwardCUDAKernelIddLb0EEEvlPKT_PKT0_S8_S5_S5_PS3_.has_recursion, 0
	.set _ZN2at6native12_GLOBAL__N_126LayerNormForwardCUDAKernelIddLb0EEEvlPKT_PKT0_S8_S5_S5_PS3_.has_indirect_call, 0
	.section	.AMDGPU.csdata,"",@progbits
; Kernel info:
; codeLenInByte = 376
; TotalNumSgprs: 32
; NumVgprs: 18
; NumAgprs: 0
; TotalNumVgprs: 18
; ScratchSize: 0
; MemoryBound: 0
; FloatMode: 240
; IeeeMode: 1
; LDSByteSize: 0 bytes/workgroup (compile time only)
; SGPRBlocks: 3
; VGPRBlocks: 2
; NumSGPRsForWavesPerEU: 32
; NumVGPRsForWavesPerEU: 18
; AccumOffset: 20
; Occupancy: 8
; WaveLimiterHint : 0
; COMPUTE_PGM_RSRC2:SCRATCH_EN: 0
; COMPUTE_PGM_RSRC2:USER_SGPR: 2
; COMPUTE_PGM_RSRC2:TRAP_HANDLER: 0
; COMPUTE_PGM_RSRC2:TGID_X_EN: 1
; COMPUTE_PGM_RSRC2:TGID_Y_EN: 0
; COMPUTE_PGM_RSRC2:TGID_Z_EN: 0
; COMPUTE_PGM_RSRC2:TIDIG_COMP_CNT: 0
; COMPUTE_PGM_RSRC3_GFX90A:ACCUM_OFFSET: 4
; COMPUTE_PGM_RSRC3_GFX90A:TG_SPLIT: 0
	.section	.text._ZN2at6native12_GLOBAL__N_128vectorized_layer_norm_kernelIffLb0EEEviT0_PKT_S6_S6_PS3_S7_PS4_,"axG",@progbits,_ZN2at6native12_GLOBAL__N_128vectorized_layer_norm_kernelIffLb0EEEviT0_PKT_S6_S6_PS3_S7_PS4_,comdat
	.globl	_ZN2at6native12_GLOBAL__N_128vectorized_layer_norm_kernelIffLb0EEEviT0_PKT_S6_S6_PS3_S7_PS4_ ; -- Begin function _ZN2at6native12_GLOBAL__N_128vectorized_layer_norm_kernelIffLb0EEEviT0_PKT_S6_S6_PS3_S7_PS4_
	.p2align	8
	.type	_ZN2at6native12_GLOBAL__N_128vectorized_layer_norm_kernelIffLb0EEEviT0_PKT_S6_S6_PS3_S7_PS4_,@function
_ZN2at6native12_GLOBAL__N_128vectorized_layer_norm_kernelIffLb0EEEviT0_PKT_S6_S6_PS3_S7_PS4_: ; @_ZN2at6native12_GLOBAL__N_128vectorized_layer_norm_kernelIffLb0EEEviT0_PKT_S6_S6_PS3_S7_PS4_
; %bb.0:
	s_load_dwordx4 s[16:19], s[0:1], 0x0
	s_load_dword s4, s[0:1], 0x44
	v_and_b32_e32 v15, 0x3ff, v0
	v_bfe_u32 v16, v0, 10, 10
	s_mov_b32 s3, 0
	s_waitcnt lgkmcnt(0)
	s_ashr_i32 s5, s16, 31
	s_lshr_b32 s26, s4, 16
	s_and_b32 s4, s4, 0xffff
	s_mul_i32 s20, s26, s4
	v_mul_u32_u24_e32 v0, s4, v16
	v_mad_u32_u24 v14, v16, s4, v15
	s_lshr_b32 s4, s5, 30
	s_add_i32 s4, s16, s4
	s_mul_hi_u32 s6, s16, s2
	s_mul_i32 s7, s5, s2
	s_ashr_i32 s30, s4, 2
	s_add_i32 s23, s6, s7
	s_mul_i32 s22, s16, s2
	v_cmp_gt_i32_e64 s[4:5], s30, v14
	v_mov_b32_e32 v9, 0
	v_add_lshl_u32 v8, v0, v15, 4
	v_mov_b32_e32 v5, 0
	v_mov_b32_e32 v4, 0
	s_and_saveexec_b64 s[12:13], s[4:5]
	s_cbranch_execz .LBB3_4
; %bb.1:
	s_lshl_b64 s[6:7], s[22:23], 2
	s_add_u32 s6, s18, s6
	v_mov_b32_e32 v9, 0
	s_addc_u32 s7, s19, s7
	v_lshl_add_u64 v[0:1], s[6:7], 0, v[8:9]
	s_ashr_i32 s21, s20, 31
	v_lshl_add_u64 v[6:7], v[0:1], 0, 8
	s_lshl_b64 s[24:25], s[20:21], 4
	s_mov_b64 s[14:15], 0
	v_mov_b32_e32 v10, v14
	v_mov_b32_e32 v5, v9
	;; [unrolled: 1-line block ×3, first 2 shown]
.LBB3_2:                                ; =>This Inner Loop Header: Depth=1
	global_load_dwordx4 v[0:3], v[6:7], off offset:-8
	v_add_f32_e32 v11, 1.0, v9
	v_add_u32_e32 v10, s20, v10
	v_div_scale_f32 v12, s[6:7], v11, v11, 1.0
	v_add_f32_e32 v17, 1.0, v11
	v_cmp_le_i32_e64 s[6:7], s30, v10
	v_rcp_f32_e32 v18, v12
	v_div_scale_f32 v19, s[8:9], v17, v17, 1.0
	v_add_f32_e32 v21, 1.0, v17
	s_or_b64 s[14:15], s[6:7], s[14:15]
	v_rcp_f32_e32 v22, v19
	v_div_scale_f32 v23, s[6:7], v21, v21, 1.0
	v_add_f32_e32 v9, 1.0, v21
	v_rcp_f32_e32 v25, v23
	v_div_scale_f32 v26, s[10:11], v9, v9, 1.0
	v_rcp_f32_e32 v28, v26
	v_fma_f32 v29, -v12, v18, 1.0
	v_div_scale_f32 v13, vcc, 1.0, v11, 1.0
	v_fmac_f32_e32 v18, v29, v18
	v_fma_f32 v29, -v19, v22, 1.0
	v_div_scale_f32 v20, s[8:9], 1.0, v17, 1.0
	v_mul_f32_e32 v30, v13, v18
	v_fmac_f32_e32 v22, v29, v22
	v_fma_f32 v29, -v23, v25, 1.0
	v_div_scale_f32 v24, s[6:7], 1.0, v21, 1.0
	v_fma_f32 v31, -v12, v30, v13
	v_mul_f32_e32 v32, v20, v22
	v_fmac_f32_e32 v25, v29, v25
	v_fma_f32 v29, -v26, v28, 1.0
	v_div_scale_f32 v27, s[10:11], 1.0, v9, 1.0
	v_fmac_f32_e32 v30, v31, v18
	v_fma_f32 v31, -v19, v32, v20
	v_mul_f32_e32 v33, v24, v25
	v_fmac_f32_e32 v28, v29, v28
	v_fma_f32 v12, -v12, v30, v13
	v_fmac_f32_e32 v32, v31, v22
	v_fma_f32 v13, -v23, v33, v24
	v_mul_f32_e32 v29, v27, v28
	v_div_fmas_f32 v12, v12, v18, v30
	v_fma_f32 v18, -v19, v32, v20
	v_fmac_f32_e32 v33, v13, v25
	v_fma_f32 v13, -v26, v29, v27
	s_mov_b64 vcc, s[8:9]
	v_div_fixup_f32 v11, v12, v11, 1.0
	v_div_fmas_f32 v12, v18, v22, v32
	v_fma_f32 v18, -v23, v33, v24
	v_fmac_f32_e32 v29, v13, v28
	s_mov_b64 vcc, s[6:7]
	v_div_fixup_f32 v13, v12, v17, 1.0
	v_div_fmas_f32 v12, v18, v25, v33
	v_fma_f32 v17, -v26, v29, v27
	s_mov_b64 vcc, s[10:11]
	v_div_fixup_f32 v21, v12, v21, 1.0
	v_div_fmas_f32 v12, v17, v28, v29
	v_div_fixup_f32 v17, v12, v9, 1.0
	v_lshl_add_u64 v[6:7], v[6:7], 0, s[24:25]
	s_waitcnt vmcnt(0)
	v_sub_f32_e32 v12, v0, v4
	v_fmac_f32_e32 v4, v11, v12
	v_pk_add_f32 v[18:19], v[0:1], v[4:5] op_sel_hi:[1,0] neg_lo:[0,1] neg_hi:[0,1]
	s_nop 0
	v_fmac_f32_e32 v4, v13, v19
	v_sub_f32_e32 v13, v1, v4
	v_sub_f32_e32 v0, v2, v4
	v_mov_b32_e32 v20, v4
	v_pk_mul_f32 v[12:13], v[18:19], v[12:13]
	v_fmac_f32_e32 v20, v21, v0
	v_add_f32_e32 v4, v5, v12
	v_sub_f32_e32 v1, v3, v20
	v_add_f32_e32 v5, v4, v13
	v_fma_f32 v4, v17, v1, v20
	v_mov_b32_e32 v21, v4
	v_pk_add_f32 v[2:3], v[2:3], v[20:21] neg_lo:[0,1] neg_hi:[0,1]
	s_nop 0
	v_pk_mul_f32 v[0:1], v[0:1], v[2:3]
	s_nop 0
	v_add_f32_e32 v0, v5, v0
	v_add_f32_e32 v5, v0, v1
	s_andn2_b64 exec, exec, s[14:15]
	s_cbranch_execnz .LBB3_2
; %bb.3:
	s_or_b64 exec, exec, s[14:15]
.LBB3_4:
	s_or_b64 exec, exec, s[12:13]
	v_mbcnt_lo_u32_b32 v0, -1, 0
	v_mbcnt_hi_u32_b32 v18, -1, v0
	v_lshlrev_b32_e32 v17, 2, v18
	v_or_b32_e32 v1, 0x80, v17
	ds_bpermute_b32 v10, v1, v9
	ds_bpermute_b32 v6, v1, v4
	;; [unrolled: 1-line block ×3, first 2 shown]
	v_mov_b32_e32 v0, 0
	v_mov_b32_e32 v2, 0
	s_waitcnt lgkmcnt(2)
	v_add_f32_e32 v12, v9, v10
	v_cmp_lt_f32_e32 vcc, 0, v12
	v_mov_b32_e32 v3, 0
	s_and_saveexec_b64 s[6:7], vcc
	s_cbranch_execz .LBB3_6
; %bb.5:
	v_div_scale_f32 v2, s[8:9], v12, v12, 1.0
	v_rcp_f32_e32 v3, v2
	s_waitcnt lgkmcnt(1)
	v_sub_f32_e32 v11, v4, v6
	s_waitcnt lgkmcnt(0)
	v_add_f32_e32 v5, v5, v1
	v_fma_f32 v7, -v2, v3, 1.0
	v_fmac_f32_e32 v3, v7, v3
	v_div_scale_f32 v7, vcc, 1.0, v12, 1.0
	v_mul_f32_e32 v13, v7, v3
	v_fma_f32 v19, -v2, v13, v7
	v_fmac_f32_e32 v13, v19, v3
	v_fma_f32 v2, -v2, v13, v7
	v_div_fmas_f32 v2, v2, v3, v13
	v_div_fixup_f32 v2, v2, v12, 1.0
	v_mul_f32_e32 v7, v9, v2
	v_mul_f32_e32 v3, v11, v11
	;; [unrolled: 1-line block ×3, first 2 shown]
	v_pk_mul_f32 v[2:3], v[2:3], v[10:11] op_sel_hi:[1,0]
	s_nop 0
	v_pk_fma_f32 v[2:3], v[2:3], v[6:7], v[4:5]
.LBB3_6:
	s_or_b64 exec, exec, s[6:7]
	v_and_b32_e32 v7, 63, v18
	v_cmp_gt_u32_e32 vcc, 48, v7
	s_waitcnt lgkmcnt(0)
	s_nop 0
	v_cndmask_b32_e64 v1, 0, 16, vcc
	v_add_lshl_u32 v1, v1, v18, 2
	ds_bpermute_b32 v6, v1, v12
	ds_bpermute_b32 v4, v1, v2
	ds_bpermute_b32 v11, v1, v3
	v_mov_b32_e32 v1, 0
	s_waitcnt lgkmcnt(2)
	v_add_f32_e32 v9, v12, v6
	v_cmp_lt_f32_e32 vcc, 0, v9
	s_and_saveexec_b64 s[6:7], vcc
	s_cbranch_execz .LBB3_8
; %bb.7:
	v_div_scale_f32 v0, s[8:9], v9, v9, 1.0
	v_rcp_f32_e32 v1, v0
	s_waitcnt lgkmcnt(1)
	v_sub_f32_e32 v5, v2, v4
	v_fma_f32 v10, -v0, v1, 1.0
	v_fmac_f32_e32 v1, v10, v1
	v_div_scale_f32 v10, vcc, 1.0, v9, 1.0
	v_mul_f32_e32 v13, v10, v1
	v_fma_f32 v19, -v0, v13, v10
	v_fmac_f32_e32 v13, v19, v1
	v_fma_f32 v0, -v0, v13, v10
	v_div_fmas_f32 v0, v0, v1, v13
	v_div_fixup_f32 v0, v0, v9, 1.0
	v_mul_f32_e32 v10, v12, v0
	s_waitcnt lgkmcnt(0)
	v_pk_mul_f32 v[12:13], v[2:3], v[10:11]
	v_pk_add_f32 v[2:3], v[2:3], v[10:11]
	v_mul_f32_e32 v1, v5, v5
	v_mov_b32_e32 v13, v3
	v_pk_mul_f32 v[0:1], v[0:1], v[6:7] op_sel_hi:[1,0]
	v_mov_b32_e32 v5, v10
	v_pk_fma_f32 v[0:1], v[0:1], v[4:5], v[12:13]
.LBB3_8:
	s_or_b64 exec, exec, s[6:7]
	v_cmp_gt_u32_e32 vcc, 56, v7
	s_waitcnt lgkmcnt(1)
	v_mov_b32_e32 v4, 0
	v_mov_b32_e32 v5, 0
	v_cndmask_b32_e64 v2, 0, 8, vcc
	v_add_lshl_u32 v3, v2, v18, 2
	ds_bpermute_b32 v6, v3, v9
	ds_bpermute_b32 v10, v3, v0
	;; [unrolled: 1-line block ×3, first 2 shown]
	v_mov_b32_e32 v2, 0
	s_waitcnt lgkmcnt(2)
	v_add_f32_e32 v19, v9, v6
	v_cmp_lt_f32_e32 vcc, 0, v19
	s_and_saveexec_b64 s[6:7], vcc
	s_cbranch_execz .LBB3_10
; %bb.9:
	v_div_scale_f32 v3, s[8:9], v19, v19, 1.0
	v_rcp_f32_e32 v4, v3
	s_waitcnt lgkmcnt(1)
	v_sub_f32_e32 v5, v0, v10
	v_mul_f32_e32 v5, v5, v5
	v_fma_f32 v11, -v3, v4, 1.0
	v_fmac_f32_e32 v4, v11, v4
	v_div_scale_f32 v11, vcc, 1.0, v19, 1.0
	v_mul_f32_e32 v12, v11, v4
	v_fma_f32 v20, -v3, v12, v11
	v_fmac_f32_e32 v12, v20, v4
	v_fma_f32 v3, -v3, v12, v11
	v_div_fmas_f32 v3, v3, v4, v12
	v_div_fixup_f32 v4, v3, v19, 1.0
	v_mul_f32_e32 v12, v9, v4
	s_waitcnt lgkmcnt(0)
	v_pk_mul_f32 v[20:21], v[0:1], v[12:13]
	v_pk_add_f32 v[0:1], v[0:1], v[12:13]
	v_mov_b32_e32 v11, v12
	v_mov_b32_e32 v21, v1
	v_pk_mul_f32 v[0:1], v[4:5], v[6:7] op_sel_hi:[1,0]
	s_nop 0
	v_pk_fma_f32 v[4:5], v[0:1], v[10:11], v[20:21]
.LBB3_10:
	s_or_b64 exec, exec, s[6:7]
	v_cmp_gt_u32_e32 vcc, 60, v7
	v_mov_b32_e32 v3, 0
	s_nop 0
	v_cndmask_b32_e64 v0, 0, 4, vcc
	v_add_lshl_u32 v1, v0, v18, 2
	ds_bpermute_b32 v6, v1, v19
	ds_bpermute_b32 v0, v1, v4
	;; [unrolled: 1-line block ×3, first 2 shown]
	s_waitcnt lgkmcnt(2)
	v_add_f32_e32 v9, v19, v6
	v_cmp_lt_f32_e32 vcc, 0, v9
	s_and_saveexec_b64 s[6:7], vcc
	s_cbranch_execz .LBB3_12
; %bb.11:
	v_div_scale_f32 v1, s[8:9], v9, v9, 1.0
	v_rcp_f32_e32 v2, v1
	s_waitcnt lgkmcnt(1)
	v_sub_f32_e32 v3, v4, v0
	v_mul_f32_e32 v3, v3, v3
	v_fma_f32 v10, -v1, v2, 1.0
	v_fmac_f32_e32 v2, v10, v2
	v_div_scale_f32 v10, vcc, 1.0, v9, 1.0
	v_mul_f32_e32 v12, v10, v2
	v_fma_f32 v13, -v1, v12, v10
	v_fmac_f32_e32 v12, v13, v2
	v_fma_f32 v1, -v1, v12, v10
	v_div_fmas_f32 v1, v1, v2, v12
	v_div_fixup_f32 v2, v1, v9, 1.0
	v_mul_f32_e32 v10, v19, v2
	s_waitcnt lgkmcnt(0)
	v_pk_mul_f32 v[12:13], v[4:5], v[10:11]
	v_pk_add_f32 v[4:5], v[4:5], v[10:11]
	v_pk_mul_f32 v[2:3], v[2:3], v[6:7] op_sel_hi:[1,0]
	v_mov_b32_e32 v13, v5
	v_mov_b32_e32 v1, v10
	v_pk_fma_f32 v[2:3], v[2:3], v[0:1], v[12:13]
.LBB3_12:
	s_or_b64 exec, exec, s[6:7]
	v_cmp_gt_u32_e32 vcc, 62, v7
	v_mov_b32_e32 v4, 0
	v_mov_b32_e32 v5, 0
	s_waitcnt lgkmcnt(1)
	v_cndmask_b32_e64 v0, 0, 2, vcc
	v_add_lshl_u32 v1, v0, v18, 2
	ds_bpermute_b32 v6, v1, v9
	ds_bpermute_b32 v10, v1, v2
	;; [unrolled: 1-line block ×3, first 2 shown]
	v_mov_b32_e32 v0, 0
	s_waitcnt lgkmcnt(2)
	v_add_f32_e32 v19, v9, v6
	v_cmp_lt_f32_e32 vcc, 0, v19
	s_and_saveexec_b64 s[6:7], vcc
	s_cbranch_execz .LBB3_14
; %bb.13:
	v_div_scale_f32 v1, s[8:9], v19, v19, 1.0
	v_rcp_f32_e32 v4, v1
	s_waitcnt lgkmcnt(1)
	v_sub_f32_e32 v5, v2, v10
	v_mul_f32_e32 v5, v5, v5
	v_fma_f32 v11, -v1, v4, 1.0
	v_fmac_f32_e32 v4, v11, v4
	v_div_scale_f32 v11, vcc, 1.0, v19, 1.0
	v_mul_f32_e32 v12, v11, v4
	v_fma_f32 v20, -v1, v12, v11
	v_fmac_f32_e32 v12, v20, v4
	v_fma_f32 v1, -v1, v12, v11
	v_div_fmas_f32 v1, v1, v4, v12
	v_div_fixup_f32 v4, v1, v19, 1.0
	v_mul_f32_e32 v12, v9, v4
	s_waitcnt lgkmcnt(0)
	v_pk_mul_f32 v[20:21], v[2:3], v[12:13]
	v_pk_add_f32 v[2:3], v[2:3], v[12:13]
	v_mov_b32_e32 v11, v12
	v_mov_b32_e32 v21, v3
	v_pk_mul_f32 v[2:3], v[4:5], v[6:7] op_sel_hi:[1,0]
	s_nop 0
	v_pk_fma_f32 v[4:5], v[2:3], v[10:11], v[20:21]
.LBB3_14:
	s_or_b64 exec, exec, s[6:7]
	v_cmp_ne_u32_e32 vcc, 63, v7
	s_nop 1
	v_addc_co_u32_e32 v1, vcc, 0, v18, vcc
	v_lshlrev_b32_e32 v1, 2, v1
	ds_bpermute_b32 v6, v1, v19
	ds_bpermute_b32 v2, v1, v4
	ds_bpermute_b32 v11, v1, v5
	v_mov_b32_e32 v1, 0
	s_waitcnt lgkmcnt(2)
	v_add_f32_e32 v7, v19, v6
	v_cmp_lt_f32_e32 vcc, 0, v7
	s_and_saveexec_b64 s[6:7], vcc
	s_cbranch_execz .LBB3_16
; %bb.15:
	v_div_scale_f32 v0, s[8:9], v7, v7, 1.0
	v_rcp_f32_e32 v1, v0
	s_waitcnt lgkmcnt(1)
	v_sub_f32_e32 v3, v4, v2
	v_fma_f32 v9, -v0, v1, 1.0
	v_fmac_f32_e32 v1, v9, v1
	v_div_scale_f32 v9, vcc, 1.0, v7, 1.0
	v_mul_f32_e32 v10, v9, v1
	v_fma_f32 v12, -v0, v10, v9
	v_fmac_f32_e32 v10, v12, v1
	v_fma_f32 v0, -v0, v10, v9
	v_div_fmas_f32 v0, v0, v1, v10
	v_div_fixup_f32 v0, v0, v7, 1.0
	v_mul_f32_e32 v10, v19, v0
	s_waitcnt lgkmcnt(0)
	v_pk_mul_f32 v[12:13], v[4:5], v[10:11]
	v_pk_add_f32 v[4:5], v[4:5], v[10:11]
	v_mul_f32_e32 v1, v3, v3
	v_mov_b32_e32 v13, v5
	v_pk_mul_f32 v[0:1], v[0:1], v[6:7] op_sel_hi:[1,0]
	v_mov_b32_e32 v3, v10
	v_pk_fma_f32 v[0:1], v[0:1], v[2:3], v[12:13]
.LBB3_16:
	s_or_b64 exec, exec, s[6:7]
	s_cmp_lt_u32 s26, 2
	s_cbranch_scc0 .LBB3_18
; %bb.17:
	s_waitcnt lgkmcnt(1)
	v_and_b32_e32 v2, 0x100, v17
	ds_bpermute_b32 v3, v2, v1
	v_cvt_f32_i32_e32 v4, s16
	ds_bpermute_b32 v10, v2, v0
	s_waitcnt lgkmcnt(1)
	v_div_scale_f32 v5, s[6:7], v4, v4, v3
	v_rcp_f32_e32 v6, v5
	v_div_scale_f32 v2, vcc, v3, v4, v3
	v_fma_f32 v9, -v5, v6, 1.0
	v_fmac_f32_e32 v6, v9, v6
	v_mul_f32_e32 v9, v2, v6
	v_fma_f32 v11, -v5, v9, v2
	v_fmac_f32_e32 v9, v11, v6
	v_fma_f32 v2, -v5, v9, v2
	v_div_fmas_f32 v2, v2, v6, v9
	v_div_fixup_f32 v11, v2, v4, v3
	s_cbranch_execz .LBB3_19
	s_branch .LBB3_31
.LBB3_18:
                                        ; implicit-def: $vgpr10_vgpr11
.LBB3_19:
	s_lshl_b32 s6, s26, 2
	s_add_i32 s12, s6, 0
	s_waitcnt lgkmcnt(1)
	v_lshlrev_b32_e32 v2, 3, v16
	v_cmp_eq_u32_e64 s[6:7], 0, v15
	v_lshl_add_u32 v4, v16, 2, s12
	v_add_u32_e32 v5, 0, v2
.LBB3_20:                               ; =>This Inner Loop Header: Depth=1
	s_lshr_b32 s13, s26, 1
	v_cmp_le_u32_e32 vcc, s13, v16
	s_and_b32 s10, s26, 0xfffe
	s_and_b64 s[8:9], s[6:7], vcc
	v_cmp_gt_u32_e32 vcc, s10, v16
	s_and_b64 s[10:11], s[8:9], vcc
	s_and_saveexec_b64 s[8:9], s[10:11]
	s_cbranch_execz .LBB3_22
; %bb.21:                               ;   in Loop: Header=BB3_20 Depth=1
	v_subrev_u32_e32 v2, s13, v16
	v_lshl_add_u32 v3, v2, 2, s12
	v_lshl_add_u32 v2, v2, 3, 0
	ds_write2_b32 v2, v0, v1 offset1:1
	ds_write_b32 v3, v7
.LBB3_22:                               ;   in Loop: Header=BB3_20 Depth=1
	s_or_b64 exec, exec, s[8:9]
	v_cmp_gt_u32_e32 vcc, s13, v16
	s_and_b64 s[10:11], s[6:7], vcc
	s_waitcnt lgkmcnt(0)
	s_barrier
	s_and_saveexec_b64 s[8:9], s[10:11]
	s_cbranch_execz .LBB3_26
; %bb.23:                               ;   in Loop: Header=BB3_20 Depth=1
	ds_read_b32 v9, v4
	v_mov_b32_e32 v3, 0
	v_mov_b32_e32 v2, 0
	s_waitcnt lgkmcnt(0)
	v_add_f32_e32 v6, v7, v9
	v_cmp_lt_f32_e32 vcc, 0, v6
	s_and_saveexec_b64 s[10:11], vcc
	s_cbranch_execz .LBB3_25
; %bb.24:                               ;   in Loop: Header=BB3_20 Depth=1
	v_div_scale_f32 v10, s[14:15], v6, v6, 1.0
	v_rcp_f32_e32 v11, v10
	ds_read2_b32 v[2:3], v5 offset1:1
	v_fma_f32 v13, -v10, v11, 1.0
	v_fmac_f32_e32 v11, v13, v11
	v_div_scale_f32 v13, vcc, 1.0, v6, 1.0
	v_mul_f32_e32 v17, v13, v11
	v_fma_f32 v18, -v10, v17, v13
	v_fmac_f32_e32 v17, v18, v11
	v_fma_f32 v10, -v10, v17, v13
	v_div_fmas_f32 v10, v10, v11, v17
	s_waitcnt lgkmcnt(0)
	v_sub_f32_e32 v12, v0, v2
	v_div_fixup_f32 v10, v10, v6, 1.0
	v_mul_f32_e32 v11, v9, v10
	v_add_f32_e32 v3, v1, v3
	v_mul_f32_e32 v1, v12, v12
	v_mul_f32_e32 v10, v7, v10
	;; [unrolled: 1-line block ×4, first 2 shown]
	v_pk_fma_f32 v[2:3], v[0:1], v[10:11], v[2:3] op_sel_hi:[1,0,1]
.LBB3_25:                               ;   in Loop: Header=BB3_20 Depth=1
	s_or_b64 exec, exec, s[10:11]
	v_mov_b32_e32 v7, v6
	v_mov_b32_e32 v0, v2
	;; [unrolled: 1-line block ×3, first 2 shown]
.LBB3_26:                               ;   in Loop: Header=BB3_20 Depth=1
	s_or_b64 exec, exec, s[8:9]
	s_cmp_lt_u32 s26, 4
	s_barrier
	s_cbranch_scc1 .LBB3_28
; %bb.27:                               ;   in Loop: Header=BB3_20 Depth=1
	s_mov_b32 s26, s13
	s_branch .LBB3_20
.LBB3_28:
	v_or_b32_e32 v2, v15, v16
	v_cmp_eq_u32_e32 vcc, 0, v2
	s_and_saveexec_b64 s[6:7], vcc
	s_cbranch_execz .LBB3_30
; %bb.29:
	v_cvt_f32_i32_e32 v2, s16
	v_div_scale_f32 v3, s[8:9], v2, v2, v1
	v_rcp_f32_e32 v4, v3
	v_div_scale_f32 v5, vcc, v1, v2, v1
	v_fma_f32 v6, -v3, v4, 1.0
	v_fmac_f32_e32 v4, v6, v4
	v_mul_f32_e32 v6, v5, v4
	v_fma_f32 v7, -v3, v6, v5
	v_fmac_f32_e32 v6, v7, v4
	v_fma_f32 v3, -v3, v6, v5
	v_div_fmas_f32 v3, v3, v4, v6
	v_div_fixup_f32 v1, v3, v2, v1
	v_mov_b32_e32 v2, 0
	ds_write2_b32 v2, v0, v1 offset1:1
.LBB3_30:
	s_or_b64 exec, exec, s[6:7]
	v_mov_b32_e32 v0, 0
	s_waitcnt lgkmcnt(0)
	s_barrier
	ds_read2_b32 v[10:11], v0 offset1:1
.LBB3_31:
	s_waitcnt lgkmcnt(0)
	v_add_f32_e32 v0, s17, v11
	s_mov_b32 s6, 0x800000
	v_mul_f32_e32 v1, 0x4b800000, v0
	v_cmp_gt_f32_e32 vcc, s6, v0
	s_load_dwordx8 s[8:15], s[0:1], 0x10
	s_nop 0
	v_cndmask_b32_e32 v0, v0, v1, vcc
	v_rsq_f32_e32 v0, v0
	s_load_dwordx2 s[0:1], s[0:1], 0x30
	v_mul_f32_e32 v1, 0x45800000, v0
	v_cndmask_b32_e32 v12, v0, v1, vcc
	s_and_saveexec_b64 s[6:7], s[4:5]
	s_cbranch_execz .LBB3_46
; %bb.32:
	s_waitcnt lgkmcnt(0)
	s_cmp_eq_u64 s[8:9], 0
	s_cselect_b64 s[16:17], -1, 0
	s_cmp_eq_u64 s[10:11], 0
	s_cselect_b64 s[24:25], -1, 0
	s_lshl_b64 s[28:29], s[22:23], 2
	s_add_u32 s22, s0, s28
	s_addc_u32 s23, s1, s29
	s_ashr_i32 s21, s20, 31
	v_cndmask_b32_e64 v0, 0, 1, s[24:25]
	s_or_b64 s[24:25], s[16:17], s[24:25]
	s_lshl_b64 s[26:27], s[20:21], 4
	s_add_u32 s0, s18, s28
	s_addc_u32 s1, s19, s29
	s_add_u32 s18, s0, 8
	s_addc_u32 s19, s1, 0
	s_add_u32 s8, s8, 8
	s_mov_b64 s[4:5], 0
	v_mov_b32_e32 v13, v12
	v_mov_b32_e32 v11, v10
	;; [unrolled: 1-line block ×3, first 2 shown]
	s_addc_u32 s9, s9, 0
	v_cmp_ne_u32_e64 s[0:1], 1, v0
	v_mov_b32_e32 v15, v14
	s_branch .LBB3_34
.LBB3_33:                               ;   in Loop: Header=BB3_34 Depth=1
	v_add_u32_e32 v15, s20, v15
	v_cmp_le_i32_e32 vcc, s30, v15
	s_waitcnt vmcnt(0)
	v_lshl_add_u64 v[0:1], s[22:23], 0, v[8:9]
	s_or_b64 s[4:5], vcc, s[4:5]
	v_lshl_add_u64 v[8:9], v[8:9], 0, s[26:27]
	global_store_dwordx4 v[0:1], v[4:7], off
	s_andn2_b64 exec, exec, s[4:5]
	s_cbranch_execz .LBB3_46
.LBB3_34:                               ; =>This Inner Loop Header: Depth=1
	v_lshl_add_u64 v[0:1], s[18:19], 0, v[8:9]
	global_load_dwordx4 v[0:3], v[0:1], off offset:-8
	s_mov_b64 s[28:29], -1
	s_and_b64 vcc, exec, s[24:25]
                                        ; implicit-def: $vgpr6_vgpr7
	s_cbranch_vccz .LBB3_44
; %bb.35:                               ;   in Loop: Header=BB3_34 Depth=1
	s_and_b64 vcc, exec, s[16:17]
                                        ; implicit-def: $vgpr6_vgpr7
	s_cbranch_vccz .LBB3_41
; %bb.36:                               ;   in Loop: Header=BB3_34 Depth=1
	s_and_b64 vcc, exec, s[0:1]
                                        ; implicit-def: $vgpr6_vgpr7
	s_cbranch_vccnz .LBB3_38
; %bb.37:                               ;   in Loop: Header=BB3_34 Depth=1
	s_waitcnt vmcnt(0)
	v_pk_add_f32 v[4:5], v[0:1], v[10:11] neg_lo:[0,1] neg_hi:[0,1]
	v_pk_add_f32 v[6:7], v[2:3], v[10:11] neg_lo:[0,1] neg_hi:[0,1]
	v_pk_mul_f32 v[4:5], v[12:13], v[4:5]
	v_pk_mul_f32 v[6:7], v[12:13], v[6:7]
	s_mov_b64 s[28:29], 0
.LBB3_38:                               ;   in Loop: Header=BB3_34 Depth=1
	s_andn2_b64 vcc, exec, s[28:29]
	s_cbranch_vccnz .LBB3_40
; %bb.39:                               ;   in Loop: Header=BB3_34 Depth=1
	v_lshl_add_u64 v[4:5], s[10:11], 0, v[8:9]
	global_load_dwordx4 v[4:7], v[4:5], off
	s_waitcnt vmcnt(1)
	v_pk_add_f32 v[16:17], v[0:1], v[10:11] neg_lo:[0,1] neg_hi:[0,1]
	v_pk_add_f32 v[18:19], v[2:3], v[10:11] neg_lo:[0,1] neg_hi:[0,1]
	s_waitcnt vmcnt(0)
	v_pk_fma_f32 v[4:5], v[12:13], v[16:17], v[4:5]
	v_pk_fma_f32 v[6:7], v[12:13], v[18:19], v[6:7]
.LBB3_40:                               ;   in Loop: Header=BB3_34 Depth=1
	s_mov_b64 s[28:29], 0
.LBB3_41:                               ;   in Loop: Header=BB3_34 Depth=1
	s_andn2_b64 vcc, exec, s[28:29]
	s_cbranch_vccnz .LBB3_43
; %bb.42:                               ;   in Loop: Header=BB3_34 Depth=1
	v_lshl_add_u64 v[4:5], s[8:9], 0, v[8:9]
	global_load_dwordx4 v[4:7], v[4:5], off offset:-8
	s_waitcnt vmcnt(1)
	v_pk_add_f32 v[16:17], v[0:1], v[10:11] neg_lo:[0,1] neg_hi:[0,1]
	v_pk_add_f32 v[18:19], v[2:3], v[10:11] neg_lo:[0,1] neg_hi:[0,1]
	v_pk_mul_f32 v[16:17], v[12:13], v[16:17]
	v_pk_mul_f32 v[18:19], v[12:13], v[18:19]
	s_waitcnt vmcnt(0)
	v_pk_mul_f32 v[4:5], v[16:17], v[4:5]
	v_pk_mul_f32 v[6:7], v[18:19], v[6:7]
.LBB3_43:                               ;   in Loop: Header=BB3_34 Depth=1
	s_mov_b64 s[28:29], 0
.LBB3_44:                               ;   in Loop: Header=BB3_34 Depth=1
	s_andn2_b64 vcc, exec, s[28:29]
	s_cbranch_vccnz .LBB3_33
; %bb.45:                               ;   in Loop: Header=BB3_34 Depth=1
	v_lshl_add_u64 v[20:21], s[8:9], 0, v[8:9]
	v_lshl_add_u64 v[22:23], s[10:11], 0, v[8:9]
	global_load_dwordx4 v[4:7], v[20:21], off offset:-8
	global_load_dwordx4 v[16:19], v[22:23], off
	s_waitcnt vmcnt(2)
	v_pk_add_f32 v[0:1], v[0:1], v[10:11] neg_lo:[0,1] neg_hi:[0,1]
	v_pk_add_f32 v[2:3], v[2:3], v[10:11] neg_lo:[0,1] neg_hi:[0,1]
	v_pk_mul_f32 v[0:1], v[12:13], v[0:1]
	v_pk_mul_f32 v[2:3], v[12:13], v[2:3]
	s_waitcnt vmcnt(0)
	v_pk_fma_f32 v[4:5], v[0:1], v[4:5], v[16:17]
	v_pk_fma_f32 v[6:7], v[2:3], v[6:7], v[18:19]
	s_branch .LBB3_33
.LBB3_46:
	s_or_b64 exec, exec, s[6:7]
	v_cmp_eq_u32_e32 vcc, 0, v14
	s_waitcnt lgkmcnt(0)
	s_and_saveexec_b64 s[0:1], vcc
	s_cbranch_execz .LBB3_48
; %bb.47:
	s_lshl_b64 s[0:1], s[2:3], 2
	s_add_u32 s2, s12, s0
	s_addc_u32 s3, s13, s1
	v_mov_b32_e32 v0, 0
	s_add_u32 s0, s14, s0
	s_addc_u32 s1, s15, s1
	global_store_dword v0, v10, s[2:3]
	global_store_dword v0, v12, s[0:1]
.LBB3_48:
	s_endpgm
	.section	.rodata,"a",@progbits
	.p2align	6, 0x0
	.amdhsa_kernel _ZN2at6native12_GLOBAL__N_128vectorized_layer_norm_kernelIffLb0EEEviT0_PKT_S6_S6_PS3_S7_PS4_
		.amdhsa_group_segment_fixed_size 0
		.amdhsa_private_segment_fixed_size 0
		.amdhsa_kernarg_size 312
		.amdhsa_user_sgpr_count 2
		.amdhsa_user_sgpr_dispatch_ptr 0
		.amdhsa_user_sgpr_queue_ptr 0
		.amdhsa_user_sgpr_kernarg_segment_ptr 1
		.amdhsa_user_sgpr_dispatch_id 0
		.amdhsa_user_sgpr_kernarg_preload_length 0
		.amdhsa_user_sgpr_kernarg_preload_offset 0
		.amdhsa_user_sgpr_private_segment_size 0
		.amdhsa_uses_dynamic_stack 0
		.amdhsa_enable_private_segment 0
		.amdhsa_system_sgpr_workgroup_id_x 1
		.amdhsa_system_sgpr_workgroup_id_y 0
		.amdhsa_system_sgpr_workgroup_id_z 0
		.amdhsa_system_sgpr_workgroup_info 0
		.amdhsa_system_vgpr_workitem_id 1
		.amdhsa_next_free_vgpr 34
		.amdhsa_next_free_sgpr 31
		.amdhsa_accum_offset 36
		.amdhsa_reserve_vcc 1
		.amdhsa_float_round_mode_32 0
		.amdhsa_float_round_mode_16_64 0
		.amdhsa_float_denorm_mode_32 3
		.amdhsa_float_denorm_mode_16_64 3
		.amdhsa_dx10_clamp 1
		.amdhsa_ieee_mode 1
		.amdhsa_fp16_overflow 0
		.amdhsa_tg_split 0
		.amdhsa_exception_fp_ieee_invalid_op 0
		.amdhsa_exception_fp_denorm_src 0
		.amdhsa_exception_fp_ieee_div_zero 0
		.amdhsa_exception_fp_ieee_overflow 0
		.amdhsa_exception_fp_ieee_underflow 0
		.amdhsa_exception_fp_ieee_inexact 0
		.amdhsa_exception_int_div_zero 0
	.end_amdhsa_kernel
	.section	.text._ZN2at6native12_GLOBAL__N_128vectorized_layer_norm_kernelIffLb0EEEviT0_PKT_S6_S6_PS3_S7_PS4_,"axG",@progbits,_ZN2at6native12_GLOBAL__N_128vectorized_layer_norm_kernelIffLb0EEEviT0_PKT_S6_S6_PS3_S7_PS4_,comdat
.Lfunc_end3:
	.size	_ZN2at6native12_GLOBAL__N_128vectorized_layer_norm_kernelIffLb0EEEviT0_PKT_S6_S6_PS3_S7_PS4_, .Lfunc_end3-_ZN2at6native12_GLOBAL__N_128vectorized_layer_norm_kernelIffLb0EEEviT0_PKT_S6_S6_PS3_S7_PS4_
                                        ; -- End function
	.set _ZN2at6native12_GLOBAL__N_128vectorized_layer_norm_kernelIffLb0EEEviT0_PKT_S6_S6_PS3_S7_PS4_.num_vgpr, 34
	.set _ZN2at6native12_GLOBAL__N_128vectorized_layer_norm_kernelIffLb0EEEviT0_PKT_S6_S6_PS3_S7_PS4_.num_agpr, 0
	.set _ZN2at6native12_GLOBAL__N_128vectorized_layer_norm_kernelIffLb0EEEviT0_PKT_S6_S6_PS3_S7_PS4_.numbered_sgpr, 31
	.set _ZN2at6native12_GLOBAL__N_128vectorized_layer_norm_kernelIffLb0EEEviT0_PKT_S6_S6_PS3_S7_PS4_.num_named_barrier, 0
	.set _ZN2at6native12_GLOBAL__N_128vectorized_layer_norm_kernelIffLb0EEEviT0_PKT_S6_S6_PS3_S7_PS4_.private_seg_size, 0
	.set _ZN2at6native12_GLOBAL__N_128vectorized_layer_norm_kernelIffLb0EEEviT0_PKT_S6_S6_PS3_S7_PS4_.uses_vcc, 1
	.set _ZN2at6native12_GLOBAL__N_128vectorized_layer_norm_kernelIffLb0EEEviT0_PKT_S6_S6_PS3_S7_PS4_.uses_flat_scratch, 0
	.set _ZN2at6native12_GLOBAL__N_128vectorized_layer_norm_kernelIffLb0EEEviT0_PKT_S6_S6_PS3_S7_PS4_.has_dyn_sized_stack, 0
	.set _ZN2at6native12_GLOBAL__N_128vectorized_layer_norm_kernelIffLb0EEEviT0_PKT_S6_S6_PS3_S7_PS4_.has_recursion, 0
	.set _ZN2at6native12_GLOBAL__N_128vectorized_layer_norm_kernelIffLb0EEEviT0_PKT_S6_S6_PS3_S7_PS4_.has_indirect_call, 0
	.section	.AMDGPU.csdata,"",@progbits
; Kernel info:
; codeLenInByte = 3152
; TotalNumSgprs: 37
; NumVgprs: 34
; NumAgprs: 0
; TotalNumVgprs: 34
; ScratchSize: 0
; MemoryBound: 0
; FloatMode: 240
; IeeeMode: 1
; LDSByteSize: 0 bytes/workgroup (compile time only)
; SGPRBlocks: 4
; VGPRBlocks: 4
; NumSGPRsForWavesPerEU: 37
; NumVGPRsForWavesPerEU: 34
; AccumOffset: 36
; Occupancy: 8
; WaveLimiterHint : 0
; COMPUTE_PGM_RSRC2:SCRATCH_EN: 0
; COMPUTE_PGM_RSRC2:USER_SGPR: 2
; COMPUTE_PGM_RSRC2:TRAP_HANDLER: 0
; COMPUTE_PGM_RSRC2:TGID_X_EN: 1
; COMPUTE_PGM_RSRC2:TGID_Y_EN: 0
; COMPUTE_PGM_RSRC2:TGID_Z_EN: 0
; COMPUTE_PGM_RSRC2:TIDIG_COMP_CNT: 1
; COMPUTE_PGM_RSRC3_GFX90A:ACCUM_OFFSET: 8
; COMPUTE_PGM_RSRC3_GFX90A:TG_SPLIT: 0
	.section	.text._ZN2at6native12_GLOBAL__N_124RowwiseMomentsCUDAKernelIffLb0EEEvlT0_PKT_PS3_S7_,"axG",@progbits,_ZN2at6native12_GLOBAL__N_124RowwiseMomentsCUDAKernelIffLb0EEEvlT0_PKT_PS3_S7_,comdat
	.globl	_ZN2at6native12_GLOBAL__N_124RowwiseMomentsCUDAKernelIffLb0EEEvlT0_PKT_PS3_S7_ ; -- Begin function _ZN2at6native12_GLOBAL__N_124RowwiseMomentsCUDAKernelIffLb0EEEvlT0_PKT_PS3_S7_
	.p2align	8
	.type	_ZN2at6native12_GLOBAL__N_124RowwiseMomentsCUDAKernelIffLb0EEEvlT0_PKT_PS3_S7_,@function
_ZN2at6native12_GLOBAL__N_124RowwiseMomentsCUDAKernelIffLb0EEEvlT0_PKT_PS3_S7_: ; @_ZN2at6native12_GLOBAL__N_124RowwiseMomentsCUDAKernelIffLb0EEEvlT0_PKT_PS3_S7_
; %bb.0:
	s_load_dwordx2 s[10:11], s[0:1], 0x0
	s_load_dwordx4 s[4:7], s[0:1], 0x10
	s_load_dwordx2 s[8:9], s[0:1], 0x20
	v_mov_b32_e32 v1, 0
	s_mov_b32 s3, 0
	s_waitcnt lgkmcnt(0)
	v_cmp_gt_i64_e32 vcc, s[10:11], v[0:1]
	v_mov_b32_e32 v2, v1
	v_mov_b32_e32 v3, v1
	v_mov_b64_e32 v[6:7], 0
	s_and_saveexec_b64 s[12:13], vcc
	s_cbranch_execz .LBB4_4
; %bb.1:
	s_load_dword s14, s[0:1], 0x34
	s_mul_i32 s16, s11, s2
	s_mul_hi_u32 s17, s10, s2
	s_add_i32 s17, s17, s16
	s_mul_i32 s16, s10, s2
	s_waitcnt lgkmcnt(0)
	s_and_b32 s14, s14, 0xffff
	s_lshl_b64 s[16:17], s[16:17], 2
	s_add_u32 s4, s4, s16
	v_lshlrev_b32_e32 v2, 2, v0
	v_mov_b32_e32 v3, v1
	s_addc_u32 s5, s5, s17
	s_mov_b32 s15, s3
	v_lshl_add_u64 v[4:5], s[4:5], 0, v[2:3]
	s_lshl_b32 s4, s14, 2
	s_mov_b32 s5, s3
	s_mov_b64 s[16:17], 0
	v_mov_b64_e32 v[8:9], v[0:1]
	s_mov_b64 s[18:19], 0
.LBB4_2:                                ; =>This Inner Loop Header: Depth=1
	global_load_dword v2, v[4:5], off
	s_add_u32 s18, s18, 1
	s_addc_u32 s19, s19, 0
	s_flbit_i32_b32 s20, s19
	s_min_u32 s22, s20, 32
	s_lshl_b64 s[20:21], s[18:19], s22
	s_min_u32 s20, s20, 1
	s_or_b32 s20, s21, s20
	v_cvt_f32_u32_e32 v10, s20
	s_sub_i32 s22, 32, s22
	v_lshl_add_u64 v[8:9], v[8:9], 0, s[14:15]
	v_cmp_le_i64_e32 vcc, s[10:11], v[8:9]
	v_ldexp_f32 v10, v10, s22
	s_or_b64 s[16:17], vcc, s[16:17]
	v_lshl_add_u64 v[4:5], v[4:5], 0, s[4:5]
	v_mov_b64_e32 v[6:7], s[18:19]
	s_waitcnt vmcnt(0)
	v_sub_f32_e32 v11, v2, v3
	v_div_scale_f32 v12, s[20:21], v10, v10, v11
	v_rcp_f32_e32 v13, v12
	v_div_scale_f32 v14, vcc, v11, v10, v11
	v_fma_f32 v15, -v12, v13, 1.0
	v_fmac_f32_e32 v13, v15, v13
	v_mul_f32_e32 v15, v14, v13
	v_fma_f32 v16, -v12, v15, v14
	v_fmac_f32_e32 v15, v16, v13
	v_fma_f32 v12, -v12, v15, v14
	v_div_fmas_f32 v12, v12, v13, v15
	v_div_fixup_f32 v12, v12, v10, v11
	v_add_f32_e32 v3, v3, v12
	v_sub_f32_e32 v2, v2, v3
	v_fmac_f32_e32 v1, v11, v2
	s_andn2_b64 exec, exec, s[16:17]
	s_cbranch_execnz .LBB4_2
; %bb.3:
	s_or_b64 exec, exec, s[16:17]
	v_mov_b32_e32 v2, v1
	v_mov_b32_e32 v1, v10
.LBB4_4:
	s_or_b64 exec, exec, s[12:13]
	v_mbcnt_lo_u32_b32 v4, -1, 0
	v_mbcnt_hi_u32_b32 v14, -1, v4
	v_mov_b32_e32 v4, 0x80
	v_lshl_or_b32 v10, v14, 2, v4
	ds_bpermute_b32 v5, v10, v3
	ds_bpermute_b32 v4, v10, v2
	;; [unrolled: 1-line block ×5, first 2 shown]
	v_cmp_neq_f32_e32 vcc, 0, v1
	s_and_saveexec_b64 s[4:5], vcc
	s_cbranch_execz .LBB4_8
; %bb.5:
	s_waitcnt lgkmcnt(0)
	v_cmp_neq_f32_e32 vcc, 0, v11
	s_and_saveexec_b64 s[10:11], vcc
	s_cbranch_execz .LBB4_7
; %bb.6:
	v_add_f32_e32 v9, v1, v11
	v_div_scale_f32 v8, s[12:13], v9, v9, v11
	v_rcp_f32_e32 v12, v8
	v_pk_add_f32 v[6:7], v[4:5], v[2:3] neg_lo:[0,1] neg_hi:[0,1]
	v_pk_add_f32 v[4:5], v[2:3], v[4:5]
	v_mul_f32_e32 v2, v7, v7
	v_fma_f32 v6, -v8, v12, 1.0
	v_fmac_f32_e32 v12, v6, v12
	v_div_scale_f32 v6, vcc, v11, v9, v11
	v_mul_f32_e32 v13, v6, v12
	v_fma_f32 v15, -v8, v13, v6
	v_fmac_f32_e32 v13, v15, v12
	v_fma_f32 v6, -v8, v13, v6
	v_div_fmas_f32 v6, v6, v12, v13
	v_div_fixup_f32 v8, v6, v9, v11
	v_mul_f32_e32 v6, v1, v2
	v_mov_b32_e32 v5, v3
	v_pk_fma_f32 v[2:3], v[6:7], v[8:9], v[4:5] op_sel_hi:[1,0,1]
	v_mov_b64_e32 v[6:7], -1
	v_mov_b32_e32 v1, v9
.LBB4_7:
	s_or_b64 exec, exec, s[10:11]
	v_mov_b32_e32 v11, v1
	v_mov_b64_e32 v[8:9], v[6:7]
	v_mov_b64_e32 v[4:5], v[2:3]
.LBB4_8:
	s_or_b64 exec, exec, s[4:5]
	v_and_b32_e32 v15, 63, v14
	v_cmp_gt_u32_e32 vcc, 48, v15
	s_nop 1
	v_cndmask_b32_e64 v1, 0, 16, vcc
	v_add_lshl_u32 v1, v1, v14, 2
	s_waitcnt lgkmcnt(4)
	ds_bpermute_b32 v3, v1, v5
	s_waitcnt lgkmcnt(4)
	ds_bpermute_b32 v2, v1, v4
	;; [unrolled: 2-line block ×5, first 2 shown]
	v_cmp_neq_f32_e32 vcc, 0, v11
	s_and_saveexec_b64 s[4:5], vcc
	s_cbranch_execz .LBB4_12
; %bb.9:
	s_waitcnt lgkmcnt(0)
	v_cmp_neq_f32_e32 vcc, 0, v12
	s_and_saveexec_b64 s[10:11], vcc
	s_cbranch_execz .LBB4_11
; %bb.10:
	v_add_f32_e32 v13, v11, v12
	v_div_scale_f32 v8, s[12:13], v13, v13, v12
	v_rcp_f32_e32 v9, v8
	v_pk_add_f32 v[6:7], v[2:3], v[4:5] neg_lo:[0,1] neg_hi:[0,1]
	v_pk_add_f32 v[2:3], v[4:5], v[2:3]
	v_fma_f32 v6, -v8, v9, 1.0
	v_fmac_f32_e32 v9, v6, v9
	v_div_scale_f32 v6, vcc, v12, v13, v12
	v_mul_f32_e32 v16, v6, v9
	v_fma_f32 v17, -v8, v16, v6
	v_fmac_f32_e32 v16, v17, v9
	v_fma_f32 v6, -v8, v16, v6
	v_div_fmas_f32 v6, v6, v9, v16
	v_mul_f32_e32 v3, v7, v7
	v_div_fixup_f32 v8, v6, v13, v12
	v_mul_f32_e32 v6, v11, v3
	v_mov_b32_e32 v3, v5
	v_pk_fma_f32 v[4:5], v[6:7], v[8:9], v[2:3] op_sel_hi:[1,0,1]
	v_mov_b64_e32 v[8:9], -1
	v_mov_b32_e32 v11, v13
.LBB4_11:
	s_or_b64 exec, exec, s[10:11]
	v_mov_b32_e32 v12, v11
	v_mov_b64_e32 v[6:7], v[8:9]
	v_mov_b64_e32 v[2:3], v[4:5]
.LBB4_12:
	s_or_b64 exec, exec, s[4:5]
	v_cmp_gt_u32_e32 vcc, 56, v15
	s_nop 1
	v_cndmask_b32_e64 v4, 0, 8, vcc
	v_add_lshl_u32 v11, v4, v14, 2
	s_waitcnt lgkmcnt(4)
	ds_bpermute_b32 v5, v11, v3
	s_waitcnt lgkmcnt(4)
	ds_bpermute_b32 v4, v11, v2
	;; [unrolled: 2-line block ×5, first 2 shown]
	v_cmp_neq_f32_e32 vcc, 0, v12
	s_and_saveexec_b64 s[4:5], vcc
	s_cbranch_execz .LBB4_16
; %bb.13:
	s_waitcnt lgkmcnt(0)
	v_cmp_neq_f32_e32 vcc, 0, v13
	s_and_saveexec_b64 s[10:11], vcc
	s_cbranch_execz .LBB4_15
; %bb.14:
	v_add_f32_e32 v9, v12, v13
	v_div_scale_f32 v8, s[12:13], v9, v9, v13
	v_rcp_f32_e32 v16, v8
	v_pk_add_f32 v[6:7], v[4:5], v[2:3] neg_lo:[0,1] neg_hi:[0,1]
	v_pk_add_f32 v[4:5], v[2:3], v[4:5]
	v_mul_f32_e32 v2, v7, v7
	v_fma_f32 v6, -v8, v16, 1.0
	v_fmac_f32_e32 v16, v6, v16
	v_div_scale_f32 v6, vcc, v13, v9, v13
	v_mul_f32_e32 v17, v6, v16
	v_fma_f32 v18, -v8, v17, v6
	v_fmac_f32_e32 v17, v18, v16
	v_fma_f32 v6, -v8, v17, v6
	v_div_fmas_f32 v6, v6, v16, v17
	v_div_fixup_f32 v8, v6, v9, v13
	v_mul_f32_e32 v6, v12, v2
	v_mov_b32_e32 v5, v3
	v_pk_fma_f32 v[2:3], v[6:7], v[8:9], v[4:5] op_sel_hi:[1,0,1]
	v_mov_b64_e32 v[6:7], -1
	v_mov_b32_e32 v12, v9
.LBB4_15:
	s_or_b64 exec, exec, s[10:11]
	v_mov_b32_e32 v13, v12
	v_mov_b64_e32 v[8:9], v[6:7]
	v_mov_b64_e32 v[4:5], v[2:3]
.LBB4_16:
	s_or_b64 exec, exec, s[4:5]
	v_cmp_gt_u32_e32 vcc, 60, v15
	s_nop 1
	v_cndmask_b32_e64 v2, 0, 4, vcc
	v_add_lshl_u32 v12, v2, v14, 2
	s_waitcnt lgkmcnt(4)
	ds_bpermute_b32 v3, v12, v5
	s_waitcnt lgkmcnt(4)
	ds_bpermute_b32 v2, v12, v4
	;; [unrolled: 2-line block ×5, first 2 shown]
	v_cmp_neq_f32_e32 vcc, 0, v13
	s_and_saveexec_b64 s[4:5], vcc
	s_cbranch_execz .LBB4_20
; %bb.17:
	s_waitcnt lgkmcnt(0)
	v_cmp_neq_f32_e32 vcc, 0, v16
	s_and_saveexec_b64 s[10:11], vcc
	s_cbranch_execz .LBB4_19
; %bb.18:
	v_add_f32_e32 v17, v13, v16
	v_div_scale_f32 v8, s[12:13], v17, v17, v16
	v_rcp_f32_e32 v9, v8
	v_pk_add_f32 v[6:7], v[2:3], v[4:5] neg_lo:[0,1] neg_hi:[0,1]
	v_pk_add_f32 v[2:3], v[4:5], v[2:3]
	v_fma_f32 v6, -v8, v9, 1.0
	v_fmac_f32_e32 v9, v6, v9
	v_div_scale_f32 v6, vcc, v16, v17, v16
	v_mul_f32_e32 v18, v6, v9
	v_fma_f32 v19, -v8, v18, v6
	v_fmac_f32_e32 v18, v19, v9
	v_fma_f32 v6, -v8, v18, v6
	v_div_fmas_f32 v6, v6, v9, v18
	v_mul_f32_e32 v3, v7, v7
	v_div_fixup_f32 v8, v6, v17, v16
	v_mul_f32_e32 v6, v13, v3
	v_mov_b32_e32 v3, v5
	v_pk_fma_f32 v[4:5], v[6:7], v[8:9], v[2:3] op_sel_hi:[1,0,1]
	v_mov_b64_e32 v[8:9], -1
	v_mov_b32_e32 v13, v17
.LBB4_19:
	s_or_b64 exec, exec, s[10:11]
	v_mov_b32_e32 v16, v13
	v_mov_b64_e32 v[6:7], v[8:9]
	v_mov_b64_e32 v[2:3], v[4:5]
.LBB4_20:
	s_or_b64 exec, exec, s[4:5]
	v_cmp_gt_u32_e32 vcc, 62, v15
	s_nop 1
	v_cndmask_b32_e64 v4, 0, 2, vcc
	v_add_lshl_u32 v13, v4, v14, 2
	s_waitcnt lgkmcnt(4)
	ds_bpermute_b32 v5, v13, v3
	s_waitcnt lgkmcnt(4)
	ds_bpermute_b32 v4, v13, v2
	;; [unrolled: 2-line block ×5, first 2 shown]
	v_cmp_neq_f32_e32 vcc, 0, v16
	s_and_saveexec_b64 s[4:5], vcc
	s_cbranch_execz .LBB4_24
; %bb.21:
	s_waitcnt lgkmcnt(0)
	v_cmp_neq_f32_e32 vcc, 0, v17
	s_and_saveexec_b64 s[10:11], vcc
	s_cbranch_execz .LBB4_23
; %bb.22:
	v_add_f32_e32 v9, v16, v17
	v_div_scale_f32 v8, s[12:13], v9, v9, v17
	v_rcp_f32_e32 v18, v8
	v_pk_add_f32 v[6:7], v[4:5], v[2:3] neg_lo:[0,1] neg_hi:[0,1]
	v_pk_add_f32 v[4:5], v[2:3], v[4:5]
	v_mul_f32_e32 v2, v7, v7
	v_fma_f32 v6, -v8, v18, 1.0
	v_fmac_f32_e32 v18, v6, v18
	v_div_scale_f32 v6, vcc, v17, v9, v17
	v_mul_f32_e32 v19, v6, v18
	v_fma_f32 v20, -v8, v19, v6
	v_fmac_f32_e32 v19, v20, v18
	v_fma_f32 v6, -v8, v19, v6
	v_div_fmas_f32 v6, v6, v18, v19
	v_div_fixup_f32 v8, v6, v9, v17
	v_mul_f32_e32 v6, v16, v2
	v_mov_b32_e32 v5, v3
	v_pk_fma_f32 v[2:3], v[6:7], v[8:9], v[4:5] op_sel_hi:[1,0,1]
	v_mov_b64_e32 v[6:7], -1
	v_mov_b32_e32 v16, v9
.LBB4_23:
	s_or_b64 exec, exec, s[10:11]
	v_mov_b32_e32 v17, v16
	v_mov_b64_e32 v[8:9], v[6:7]
	v_mov_b64_e32 v[4:5], v[2:3]
.LBB4_24:
	s_or_b64 exec, exec, s[4:5]
	v_cmp_ne_u32_e32 vcc, 63, v15
	s_nop 1
	v_addc_co_u32_e32 v2, vcc, 0, v14, vcc
	v_lshlrev_b32_e32 v14, 2, v2
	s_waitcnt lgkmcnt(4)
	ds_bpermute_b32 v3, v14, v5
	s_waitcnt lgkmcnt(4)
	ds_bpermute_b32 v2, v14, v4
	;; [unrolled: 2-line block ×5, first 2 shown]
	v_cmp_neq_f32_e32 vcc, 0, v17
	s_and_saveexec_b64 s[4:5], vcc
	s_cbranch_execz .LBB4_28
; %bb.25:
	s_waitcnt lgkmcnt(0)
	v_cmp_neq_f32_e32 vcc, 0, v15
	s_and_saveexec_b64 s[10:11], vcc
	s_cbranch_execz .LBB4_27
; %bb.26:
	v_add_f32_e32 v16, v17, v15
	v_div_scale_f32 v8, s[12:13], v16, v16, v15
	v_rcp_f32_e32 v9, v8
	v_pk_add_f32 v[6:7], v[2:3], v[4:5] neg_lo:[0,1] neg_hi:[0,1]
	v_pk_add_f32 v[2:3], v[4:5], v[2:3]
	v_fma_f32 v6, -v8, v9, 1.0
	v_fmac_f32_e32 v9, v6, v9
	v_div_scale_f32 v6, vcc, v15, v16, v15
	v_mul_f32_e32 v18, v6, v9
	v_fma_f32 v19, -v8, v18, v6
	v_fmac_f32_e32 v18, v19, v9
	v_fma_f32 v6, -v8, v18, v6
	v_div_fmas_f32 v6, v6, v9, v18
	v_mul_f32_e32 v3, v7, v7
	v_div_fixup_f32 v8, v6, v16, v15
	v_mul_f32_e32 v6, v17, v3
	v_mov_b32_e32 v3, v5
	v_pk_fma_f32 v[4:5], v[6:7], v[8:9], v[2:3] op_sel_hi:[1,0,1]
	v_mov_b64_e32 v[8:9], -1
	v_mov_b32_e32 v17, v16
.LBB4_27:
	s_or_b64 exec, exec, s[10:11]
	v_mov_b32_e32 v15, v17
	v_mov_b64_e32 v[6:7], v[8:9]
	v_mov_b64_e32 v[2:3], v[4:5]
.LBB4_28:
	s_or_b64 exec, exec, s[4:5]
	v_and_b32_e32 v4, 63, v0
	v_cmp_eq_u32_e32 vcc, 0, v4
	s_waitcnt lgkmcnt(0)
	s_barrier
	s_and_saveexec_b64 s[4:5], vcc
	s_cbranch_execz .LBB4_30
; %bb.29:
	v_lshrrev_b32_e32 v5, 6, v0
	v_mul_u32_u24_e32 v5, 24, v5
	v_pk_mov_b32 v[2:3], v[2:3], v[2:3] op_sel:[1,0]
	ds_write2_b64 v5, v[2:3], v[6:7] offset1:1
	ds_write_b32 v5, v15 offset:16
.LBB4_30:
	s_or_b64 exec, exec, s[4:5]
	s_waitcnt lgkmcnt(0)
	s_barrier
	s_load_dword s4, s[0:1], 0x34
	v_mul_u32_u24_e32 v4, 24, v4
	v_mov_b32_e32 v2, 0
	v_mov_b32_e32 v3, 0
	s_waitcnt lgkmcnt(0)
	s_bfe_u32 s4, s4, 0xa0006
	v_cmp_gt_u32_e32 vcc, s4, v0
	s_and_saveexec_b64 s[4:5], vcc
	s_cbranch_execnz .LBB4_36
; %bb.31:
	s_or_b64 exec, exec, s[4:5]
	s_and_saveexec_b64 s[4:5], vcc
	s_cbranch_execnz .LBB4_37
.LBB4_32:
	s_or_b64 exec, exec, s[4:5]
	v_mov_b32_e32 v6, 0
	s_and_saveexec_b64 s[4:5], vcc
	s_cbranch_execnz .LBB4_38
.LBB4_33:
	s_or_b64 exec, exec, s[4:5]
	v_cmp_gt_u32_e32 vcc, 64, v0
	s_and_saveexec_b64 s[4:5], vcc
	s_cbranch_execnz .LBB4_39
.LBB4_34:
	s_or_b64 exec, exec, s[4:5]
	v_cmp_eq_u32_e32 vcc, 0, v0
	s_and_saveexec_b64 s[4:5], vcc
	s_cbranch_execnz .LBB4_64
.LBB4_35:
	s_endpgm
.LBB4_36:
	ds_read_b32 v3, v4
	s_or_b64 exec, exec, s[4:5]
	s_and_saveexec_b64 s[4:5], vcc
	s_cbranch_execz .LBB4_32
.LBB4_37:
	ds_read_b32 v2, v4 offset:4
	s_or_b64 exec, exec, s[4:5]
	v_mov_b32_e32 v6, 0
	s_and_saveexec_b64 s[4:5], vcc
	s_cbranch_execz .LBB4_33
.LBB4_38:
	ds_read_b32 v6, v4 offset:16
	s_or_b64 exec, exec, s[4:5]
	v_cmp_gt_u32_e32 vcc, 64, v0
	s_and_saveexec_b64 s[4:5], vcc
	s_cbranch_execz .LBB4_34
.LBB4_39:
	s_waitcnt lgkmcnt(0)
	ds_bpermute_b32 v5, v10, v3
	ds_bpermute_b32 v4, v10, v2
	;; [unrolled: 1-line block ×3, first 2 shown]
	v_cmp_neq_f32_e32 vcc, 0, v6
	s_and_saveexec_b64 s[10:11], vcc
	s_cbranch_execz .LBB4_43
; %bb.40:
	s_waitcnt lgkmcnt(0)
	v_cmp_neq_f32_e32 vcc, 0, v7
	s_and_saveexec_b64 s[12:13], vcc
	s_cbranch_execz .LBB4_42
; %bb.41:
	v_add_f32_e32 v10, v6, v7
	v_div_scale_f32 v9, s[14:15], v10, v10, v7
	v_rcp_f32_e32 v15, v9
	v_add_f32_e32 v8, v2, v4
	v_pk_add_f32 v[4:5], v[4:5], v[2:3] neg_lo:[0,1] neg_hi:[0,1]
	v_fma_f32 v2, -v9, v15, 1.0
	v_fmac_f32_e32 v15, v2, v15
	v_div_scale_f32 v2, vcc, v7, v10, v7
	v_mul_f32_e32 v4, v2, v15
	v_fma_f32 v16, -v9, v4, v2
	v_fmac_f32_e32 v4, v16, v15
	v_fma_f32 v2, -v9, v4, v2
	v_div_fmas_f32 v2, v2, v15, v4
	v_div_fixup_f32 v4, v2, v10, v7
	v_mul_f32_e32 v2, v5, v5
	v_mul_f32_e32 v6, v6, v2
	v_mov_b32_e32 v7, v4
	v_mov_b32_e32 v9, v3
	v_pk_fma_f32 v[2:3], v[4:5], v[6:7], v[8:9]
	v_mov_b32_e32 v6, v10
.LBB4_42:
	s_or_b64 exec, exec, s[12:13]
	v_mov_b32_e32 v7, v6
	v_mov_b64_e32 v[4:5], v[2:3]
.LBB4_43:
	s_or_b64 exec, exec, s[10:11]
	s_waitcnt lgkmcnt(2)
	ds_bpermute_b32 v3, v1, v5
	s_waitcnt lgkmcnt(2)
	ds_bpermute_b32 v2, v1, v4
	;; [unrolled: 2-line block ×3, first 2 shown]
	v_cmp_neq_f32_e32 vcc, 0, v7
	s_and_saveexec_b64 s[10:11], vcc
	s_cbranch_execz .LBB4_47
; %bb.44:
	s_waitcnt lgkmcnt(0)
	v_cmp_neq_f32_e32 vcc, 0, v1
	s_and_saveexec_b64 s[12:13], vcc
	s_cbranch_execz .LBB4_46
; %bb.45:
	v_add_f32_e32 v10, v7, v1
	v_div_scale_f32 v6, s[14:15], v10, v10, v1
	v_rcp_f32_e32 v15, v6
	v_pk_add_f32 v[8:9], v[2:3], v[4:5] neg_lo:[0,1] neg_hi:[0,1]
	v_pk_add_f32 v[2:3], v[4:5], v[2:3]
	v_fma_f32 v8, -v6, v15, 1.0
	v_fmac_f32_e32 v15, v8, v15
	v_div_scale_f32 v8, vcc, v1, v10, v1
	v_mul_f32_e32 v16, v8, v15
	v_fma_f32 v17, -v6, v16, v8
	v_fmac_f32_e32 v16, v17, v15
	v_fma_f32 v6, -v6, v16, v8
	v_div_fmas_f32 v6, v6, v15, v16
	v_div_fixup_f32 v6, v6, v10, v1
	v_mul_f32_e32 v1, v9, v9
	v_mul_f32_e32 v8, v7, v1
	v_mov_b32_e32 v3, v5
	v_pk_fma_f32 v[4:5], v[8:9], v[6:7], v[2:3] op_sel_hi:[1,0,1]
	v_mov_b32_e32 v7, v10
.LBB4_46:
	s_or_b64 exec, exec, s[12:13]
	v_mov_b32_e32 v1, v7
	v_mov_b64_e32 v[2:3], v[4:5]
.LBB4_47:
	s_or_b64 exec, exec, s[10:11]
	s_waitcnt lgkmcnt(2)
	ds_bpermute_b32 v5, v11, v3
	s_waitcnt lgkmcnt(2)
	ds_bpermute_b32 v4, v11, v2
	;; [unrolled: 2-line block ×3, first 2 shown]
	v_cmp_neq_f32_e32 vcc, 0, v1
	s_and_saveexec_b64 s[10:11], vcc
	s_cbranch_execz .LBB4_51
; %bb.48:
	s_waitcnt lgkmcnt(0)
	v_cmp_neq_f32_e32 vcc, 0, v6
	s_and_saveexec_b64 s[12:13], vcc
	s_cbranch_execz .LBB4_50
; %bb.49:
	v_add_f32_e32 v7, v1, v6
	v_div_scale_f32 v10, s[14:15], v7, v7, v6
	v_rcp_f32_e32 v11, v10
	v_pk_add_f32 v[8:9], v[4:5], v[2:3] neg_lo:[0,1] neg_hi:[0,1]
	v_pk_add_f32 v[4:5], v[2:3], v[4:5]
	v_mul_f32_e32 v2, v9, v9
	v_fma_f32 v8, -v10, v11, 1.0
	v_fmac_f32_e32 v11, v8, v11
	v_div_scale_f32 v8, vcc, v6, v7, v6
	v_mul_f32_e32 v15, v8, v11
	v_fma_f32 v16, -v10, v15, v8
	v_fmac_f32_e32 v15, v16, v11
	v_fma_f32 v8, -v10, v15, v8
	v_div_fmas_f32 v8, v8, v11, v15
	v_div_fixup_f32 v6, v8, v7, v6
	v_mul_f32_e32 v8, v1, v2
	v_mov_b32_e32 v5, v3
	v_pk_fma_f32 v[2:3], v[8:9], v[6:7], v[4:5] op_sel_hi:[1,0,1]
	v_mov_b32_e32 v1, v7
.LBB4_50:
	s_or_b64 exec, exec, s[12:13]
	v_mov_b32_e32 v6, v1
	v_mov_b64_e32 v[4:5], v[2:3]
.LBB4_51:
	s_or_b64 exec, exec, s[10:11]
	s_waitcnt lgkmcnt(2)
	ds_bpermute_b32 v3, v12, v5
	s_waitcnt lgkmcnt(2)
	ds_bpermute_b32 v2, v12, v4
	;; [unrolled: 2-line block ×3, first 2 shown]
	v_cmp_neq_f32_e32 vcc, 0, v6
	s_and_saveexec_b64 s[10:11], vcc
	s_cbranch_execz .LBB4_55
; %bb.52:
	s_waitcnt lgkmcnt(0)
	v_cmp_neq_f32_e32 vcc, 0, v7
	s_and_saveexec_b64 s[12:13], vcc
	s_cbranch_execz .LBB4_54
; %bb.53:
	v_add_f32_e32 v1, v6, v7
	v_div_scale_f32 v10, s[14:15], v1, v1, v7
	v_rcp_f32_e32 v11, v10
	v_pk_add_f32 v[8:9], v[2:3], v[4:5] neg_lo:[0,1] neg_hi:[0,1]
	v_pk_add_f32 v[2:3], v[4:5], v[2:3]
	v_fma_f32 v8, -v10, v11, 1.0
	v_fmac_f32_e32 v11, v8, v11
	v_div_scale_f32 v8, vcc, v7, v1, v7
	v_mul_f32_e32 v12, v8, v11
	v_fma_f32 v15, -v10, v12, v8
	v_fmac_f32_e32 v12, v15, v11
	v_fma_f32 v8, -v10, v12, v8
	v_div_fmas_f32 v8, v8, v11, v12
	v_mul_f32_e32 v3, v9, v9
	v_div_fixup_f32 v10, v8, v1, v7
	v_mul_f32_e32 v8, v6, v3
	v_mov_b32_e32 v3, v5
	v_pk_fma_f32 v[4:5], v[8:9], v[10:11], v[2:3] op_sel_hi:[1,0,1]
	v_mov_b32_e32 v6, v1
.LBB4_54:
	s_or_b64 exec, exec, s[12:13]
	v_mov_b32_e32 v7, v6
	v_mov_b64_e32 v[2:3], v[4:5]
.LBB4_55:
	s_or_b64 exec, exec, s[10:11]
	s_waitcnt lgkmcnt(2)
	ds_bpermute_b32 v5, v13, v3
	s_waitcnt lgkmcnt(2)
	ds_bpermute_b32 v4, v13, v2
	s_waitcnt lgkmcnt(2)
	ds_bpermute_b32 v1, v13, v7
	v_cmp_neq_f32_e32 vcc, 0, v7
	s_and_saveexec_b64 s[10:11], vcc
	s_cbranch_execz .LBB4_59
; %bb.56:
	s_waitcnt lgkmcnt(0)
	v_cmp_neq_f32_e32 vcc, 0, v1
	s_and_saveexec_b64 s[12:13], vcc
	s_cbranch_execz .LBB4_58
; %bb.57:
	v_add_f32_e32 v10, v7, v1
	v_div_scale_f32 v6, s[14:15], v10, v10, v1
	v_rcp_f32_e32 v11, v6
	v_pk_add_f32 v[8:9], v[4:5], v[2:3] neg_lo:[0,1] neg_hi:[0,1]
	v_pk_add_f32 v[4:5], v[2:3], v[4:5]
	v_fma_f32 v8, -v6, v11, 1.0
	v_fmac_f32_e32 v11, v8, v11
	v_div_scale_f32 v8, vcc, v1, v10, v1
	v_mul_f32_e32 v12, v8, v11
	v_fma_f32 v13, -v6, v12, v8
	v_fmac_f32_e32 v12, v13, v11
	v_fma_f32 v6, -v6, v12, v8
	v_div_fmas_f32 v6, v6, v11, v12
	v_div_fixup_f32 v6, v6, v10, v1
	v_mul_f32_e32 v1, v9, v9
	v_mul_f32_e32 v8, v7, v1
	v_mov_b32_e32 v5, v3
	v_pk_fma_f32 v[2:3], v[8:9], v[6:7], v[4:5] op_sel_hi:[1,0,1]
	v_mov_b32_e32 v7, v10
.LBB4_58:
	s_or_b64 exec, exec, s[12:13]
	v_mov_b32_e32 v1, v7
	v_mov_b64_e32 v[4:5], v[2:3]
.LBB4_59:
	s_or_b64 exec, exec, s[10:11]
	s_waitcnt lgkmcnt(2)
	ds_bpermute_b32 v3, v14, v5
	s_waitcnt lgkmcnt(2)
	ds_bpermute_b32 v2, v14, v4
	;; [unrolled: 2-line block ×3, first 2 shown]
	v_cmp_neq_f32_e32 vcc, 0, v1
	s_and_saveexec_b64 s[10:11], vcc
	s_cbranch_execz .LBB4_63
; %bb.60:
	s_waitcnt lgkmcnt(0)
	v_cmp_neq_f32_e32 vcc, 0, v6
	s_and_saveexec_b64 s[12:13], vcc
	s_cbranch_execz .LBB4_62
; %bb.61:
	v_add_f32_e32 v7, v1, v6
	v_div_scale_f32 v10, s[14:15], v7, v7, v6
	v_rcp_f32_e32 v11, v10
	v_pk_add_f32 v[8:9], v[2:3], v[4:5] neg_lo:[0,1] neg_hi:[0,1]
	v_pk_add_f32 v[2:3], v[4:5], v[2:3]
	v_fma_f32 v8, -v10, v11, 1.0
	v_fmac_f32_e32 v11, v8, v11
	v_div_scale_f32 v8, vcc, v6, v7, v6
	v_mul_f32_e32 v12, v8, v11
	v_fma_f32 v13, -v10, v12, v8
	v_fmac_f32_e32 v12, v13, v11
	v_fma_f32 v8, -v10, v12, v8
	v_div_fmas_f32 v8, v8, v11, v12
	v_mul_f32_e32 v3, v9, v9
	v_div_fixup_f32 v6, v8, v7, v6
	v_mul_f32_e32 v8, v1, v3
	v_mov_b32_e32 v3, v5
	v_pk_fma_f32 v[4:5], v[8:9], v[6:7], v[2:3] op_sel_hi:[1,0,1]
	v_mov_b32_e32 v1, v7
.LBB4_62:
	s_or_b64 exec, exec, s[12:13]
	v_mov_b64_e32 v[2:3], v[4:5]
	v_mov_b32_e32 v6, v1
.LBB4_63:
	s_or_b64 exec, exec, s[10:11]
	s_or_b64 exec, exec, s[4:5]
	v_cmp_eq_u32_e32 vcc, 0, v0
	s_and_saveexec_b64 s[4:5], vcc
	s_cbranch_execz .LBB4_35
.LBB4_64:
	s_waitcnt lgkmcnt(0)
	v_max_f32_e32 v0, v6, v6
	v_max_f32_e32 v0, 0, v0
	v_div_scale_f32 v1, s[4:5], v0, v0, v2
	v_rcp_f32_e32 v4, v1
	s_load_dword s4, s[0:1], 0x8
	s_lshl_b64 s[0:1], s[2:3], 2
	s_mov_b32 s3, 0x800000
	v_fma_f32 v5, -v1, v4, 1.0
	v_fmac_f32_e32 v4, v5, v4
	v_div_scale_f32 v5, vcc, v2, v0, v2
	v_mul_f32_e32 v6, v5, v4
	v_fma_f32 v7, -v1, v6, v5
	v_fmac_f32_e32 v6, v7, v4
	v_fma_f32 v1, -v1, v6, v5
	v_div_fmas_f32 v1, v1, v4, v6
	v_div_fixup_f32 v0, v1, v0, v2
	s_waitcnt lgkmcnt(0)
	v_add_f32_e32 v0, s4, v0
	v_mul_f32_e32 v1, 0x4b800000, v0
	v_cmp_gt_f32_e32 vcc, s3, v0
	s_add_u32 s2, s6, s0
	s_addc_u32 s3, s7, s1
	v_cndmask_b32_e32 v0, v0, v1, vcc
	v_rsq_f32_e32 v0, v0
	s_add_u32 s0, s8, s0
	v_mov_b32_e32 v1, 0
	s_addc_u32 s1, s9, s1
	v_mul_f32_e32 v2, 0x45800000, v0
	v_cndmask_b32_e32 v0, v0, v2, vcc
	global_store_dword v1, v3, s[2:3]
	global_store_dword v1, v0, s[0:1]
	s_endpgm
	.section	.rodata,"a",@progbits
	.p2align	6, 0x0
	.amdhsa_kernel _ZN2at6native12_GLOBAL__N_124RowwiseMomentsCUDAKernelIffLb0EEEvlT0_PKT_PS3_S7_
		.amdhsa_group_segment_fixed_size 1536
		.amdhsa_private_segment_fixed_size 0
		.amdhsa_kernarg_size 296
		.amdhsa_user_sgpr_count 2
		.amdhsa_user_sgpr_dispatch_ptr 0
		.amdhsa_user_sgpr_queue_ptr 0
		.amdhsa_user_sgpr_kernarg_segment_ptr 1
		.amdhsa_user_sgpr_dispatch_id 0
		.amdhsa_user_sgpr_kernarg_preload_length 0
		.amdhsa_user_sgpr_kernarg_preload_offset 0
		.amdhsa_user_sgpr_private_segment_size 0
		.amdhsa_uses_dynamic_stack 0
		.amdhsa_enable_private_segment 0
		.amdhsa_system_sgpr_workgroup_id_x 1
		.amdhsa_system_sgpr_workgroup_id_y 0
		.amdhsa_system_sgpr_workgroup_id_z 0
		.amdhsa_system_sgpr_workgroup_info 0
		.amdhsa_system_vgpr_workitem_id 0
		.amdhsa_next_free_vgpr 21
		.amdhsa_next_free_sgpr 23
		.amdhsa_accum_offset 24
		.amdhsa_reserve_vcc 1
		.amdhsa_float_round_mode_32 0
		.amdhsa_float_round_mode_16_64 0
		.amdhsa_float_denorm_mode_32 3
		.amdhsa_float_denorm_mode_16_64 3
		.amdhsa_dx10_clamp 1
		.amdhsa_ieee_mode 1
		.amdhsa_fp16_overflow 0
		.amdhsa_tg_split 0
		.amdhsa_exception_fp_ieee_invalid_op 0
		.amdhsa_exception_fp_denorm_src 0
		.amdhsa_exception_fp_ieee_div_zero 0
		.amdhsa_exception_fp_ieee_overflow 0
		.amdhsa_exception_fp_ieee_underflow 0
		.amdhsa_exception_fp_ieee_inexact 0
		.amdhsa_exception_int_div_zero 0
	.end_amdhsa_kernel
	.section	.text._ZN2at6native12_GLOBAL__N_124RowwiseMomentsCUDAKernelIffLb0EEEvlT0_PKT_PS3_S7_,"axG",@progbits,_ZN2at6native12_GLOBAL__N_124RowwiseMomentsCUDAKernelIffLb0EEEvlT0_PKT_PS3_S7_,comdat
.Lfunc_end4:
	.size	_ZN2at6native12_GLOBAL__N_124RowwiseMomentsCUDAKernelIffLb0EEEvlT0_PKT_PS3_S7_, .Lfunc_end4-_ZN2at6native12_GLOBAL__N_124RowwiseMomentsCUDAKernelIffLb0EEEvlT0_PKT_PS3_S7_
                                        ; -- End function
	.set _ZN2at6native12_GLOBAL__N_124RowwiseMomentsCUDAKernelIffLb0EEEvlT0_PKT_PS3_S7_.num_vgpr, 21
	.set _ZN2at6native12_GLOBAL__N_124RowwiseMomentsCUDAKernelIffLb0EEEvlT0_PKT_PS3_S7_.num_agpr, 0
	.set _ZN2at6native12_GLOBAL__N_124RowwiseMomentsCUDAKernelIffLb0EEEvlT0_PKT_PS3_S7_.numbered_sgpr, 23
	.set _ZN2at6native12_GLOBAL__N_124RowwiseMomentsCUDAKernelIffLb0EEEvlT0_PKT_PS3_S7_.num_named_barrier, 0
	.set _ZN2at6native12_GLOBAL__N_124RowwiseMomentsCUDAKernelIffLb0EEEvlT0_PKT_PS3_S7_.private_seg_size, 0
	.set _ZN2at6native12_GLOBAL__N_124RowwiseMomentsCUDAKernelIffLb0EEEvlT0_PKT_PS3_S7_.uses_vcc, 1
	.set _ZN2at6native12_GLOBAL__N_124RowwiseMomentsCUDAKernelIffLb0EEEvlT0_PKT_PS3_S7_.uses_flat_scratch, 0
	.set _ZN2at6native12_GLOBAL__N_124RowwiseMomentsCUDAKernelIffLb0EEEvlT0_PKT_PS3_S7_.has_dyn_sized_stack, 0
	.set _ZN2at6native12_GLOBAL__N_124RowwiseMomentsCUDAKernelIffLb0EEEvlT0_PKT_PS3_S7_.has_recursion, 0
	.set _ZN2at6native12_GLOBAL__N_124RowwiseMomentsCUDAKernelIffLb0EEEvlT0_PKT_PS3_S7_.has_indirect_call, 0
	.section	.AMDGPU.csdata,"",@progbits
; Kernel info:
; codeLenInByte = 3452
; TotalNumSgprs: 29
; NumVgprs: 21
; NumAgprs: 0
; TotalNumVgprs: 21
; ScratchSize: 0
; MemoryBound: 0
; FloatMode: 240
; IeeeMode: 1
; LDSByteSize: 1536 bytes/workgroup (compile time only)
; SGPRBlocks: 3
; VGPRBlocks: 2
; NumSGPRsForWavesPerEU: 29
; NumVGPRsForWavesPerEU: 21
; AccumOffset: 24
; Occupancy: 8
; WaveLimiterHint : 0
; COMPUTE_PGM_RSRC2:SCRATCH_EN: 0
; COMPUTE_PGM_RSRC2:USER_SGPR: 2
; COMPUTE_PGM_RSRC2:TRAP_HANDLER: 0
; COMPUTE_PGM_RSRC2:TGID_X_EN: 1
; COMPUTE_PGM_RSRC2:TGID_Y_EN: 0
; COMPUTE_PGM_RSRC2:TGID_Z_EN: 0
; COMPUTE_PGM_RSRC2:TIDIG_COMP_CNT: 0
; COMPUTE_PGM_RSRC3_GFX90A:ACCUM_OFFSET: 5
; COMPUTE_PGM_RSRC3_GFX90A:TG_SPLIT: 0
	.section	.text._ZN2at6native12_GLOBAL__N_126LayerNormForwardCUDAKernelIffLb0EEEvlPKT_PKT0_S8_S5_S5_PS3_,"axG",@progbits,_ZN2at6native12_GLOBAL__N_126LayerNormForwardCUDAKernelIffLb0EEEvlPKT_PKT0_S8_S5_S5_PS3_,comdat
	.globl	_ZN2at6native12_GLOBAL__N_126LayerNormForwardCUDAKernelIffLb0EEEvlPKT_PKT0_S8_S5_S5_PS3_ ; -- Begin function _ZN2at6native12_GLOBAL__N_126LayerNormForwardCUDAKernelIffLb0EEEvlPKT_PKT0_S8_S5_S5_PS3_
	.p2align	8
	.type	_ZN2at6native12_GLOBAL__N_126LayerNormForwardCUDAKernelIffLb0EEEvlPKT_PKT0_S8_S5_S5_PS3_,@function
_ZN2at6native12_GLOBAL__N_126LayerNormForwardCUDAKernelIffLb0EEEvlPKT_PKT0_S8_S5_S5_PS3_: ; @_ZN2at6native12_GLOBAL__N_126LayerNormForwardCUDAKernelIffLb0EEEvlPKT_PKT0_S8_S5_S5_PS3_
; %bb.0:
	s_load_dwordx8 s[8:15], s[0:1], 0x0
	v_mov_b32_e32 v1, 0
	s_waitcnt lgkmcnt(0)
	v_cmp_gt_i64_e32 vcc, s[8:9], v[0:1]
	s_and_saveexec_b64 s[4:5], vcc
	s_cbranch_execz .LBB5_8
; %bb.1:
	s_load_dwordx8 s[16:23], s[0:1], 0x20
	s_mov_b32 s3, 0
	s_load_dword s0, s[0:1], 0x44
	s_mul_hi_u32 s1, s8, s2
	s_mov_b64 s[6:7], 0
	s_waitcnt lgkmcnt(0)
	s_cmp_lg_u64 s[16:17], 0
	s_cselect_b64 s[4:5], -1, 0
	s_cmp_lg_u64 s[18:19], 0
	s_cselect_b64 s[24:25], -1, 0
	s_lshl_b64 s[22:23], s[2:3], 2
	s_add_u32 s12, s12, s22
	s_addc_u32 s13, s13, s23
	s_add_u32 s14, s14, s22
	s_addc_u32 s15, s15, s23
	s_and_b32 s22, s0, 0xffff
	s_mul_i32 s0, s9, s2
	s_add_i32 s1, s1, s0
	s_mul_i32 s0, s8, s2
	s_lshl_b64 s[0:1], s[0:1], 2
	s_add_u32 s10, s10, s0
	s_addc_u32 s11, s11, s1
	s_lshl_b32 s2, s22, 2
	s_add_u32 s20, s20, s0
	v_cndmask_b32_e64 v4, 0, 1, s[4:5]
	v_cndmask_b32_e64 v5, 0, 1, s[24:25]
	s_mov_b32 s23, s3
	v_lshlrev_b32_e32 v2, 2, v0
	v_mov_b32_e32 v3, v1
	s_addc_u32 s21, s21, s1
	v_cmp_ne_u32_e64 s[0:1], 1, v4
	v_cmp_ne_u32_e64 s[4:5], 1, v5
	v_mov_b64_e32 v[4:5], v[0:1]
	s_branch .LBB5_4
.LBB5_2:                                ;   in Loop: Header=BB5_4 Depth=1
	v_lshl_add_u64 v[6:7], s[18:19], 0, v[2:3]
	global_load_dword v6, v[6:7], off
.LBB5_3:                                ;   in Loop: Header=BB5_4 Depth=1
	v_lshl_add_u64 v[8:9], s[10:11], 0, v[2:3]
	global_load_dword v7, v[8:9], off
	global_load_dword v10, v1, s[12:13]
	global_load_dword v11, v1, s[14:15]
	v_lshl_add_u64 v[4:5], v[4:5], 0, s[22:23]
	v_cmp_le_i64_e32 vcc, s[8:9], v[4:5]
	v_lshl_add_u64 v[8:9], s[20:21], 0, v[2:3]
	s_or_b64 s[6:7], vcc, s[6:7]
	v_lshl_add_u64 v[2:3], v[2:3], 0, s[2:3]
	s_waitcnt vmcnt(1)
	v_sub_f32_e32 v7, v7, v10
	s_waitcnt vmcnt(0)
	v_mul_f32_e32 v7, v7, v11
	v_fmac_f32_e32 v6, v0, v7
	global_store_dword v[8:9], v6, off
	s_andn2_b64 exec, exec, s[6:7]
	s_cbranch_execz .LBB5_8
.LBB5_4:                                ; =>This Inner Loop Header: Depth=1
	s_and_b64 vcc, exec, s[0:1]
	s_cbranch_vccnz .LBB5_6
; %bb.5:                                ;   in Loop: Header=BB5_4 Depth=1
	v_lshl_add_u64 v[6:7], s[16:17], 0, v[2:3]
	global_load_dword v0, v[6:7], off
	s_and_b64 vcc, exec, s[4:5]
	s_cbranch_vccz .LBB5_2
	s_branch .LBB5_7
.LBB5_6:                                ;   in Loop: Header=BB5_4 Depth=1
	v_mov_b32_e32 v0, 1.0
	s_and_b64 vcc, exec, s[4:5]
	s_cbranch_vccz .LBB5_2
.LBB5_7:                                ;   in Loop: Header=BB5_4 Depth=1
	v_mov_b32_e32 v6, 0
	s_branch .LBB5_3
.LBB5_8:
	s_endpgm
	.section	.rodata,"a",@progbits
	.p2align	6, 0x0
	.amdhsa_kernel _ZN2at6native12_GLOBAL__N_126LayerNormForwardCUDAKernelIffLb0EEEvlPKT_PKT0_S8_S5_S5_PS3_
		.amdhsa_group_segment_fixed_size 0
		.amdhsa_private_segment_fixed_size 0
		.amdhsa_kernarg_size 312
		.amdhsa_user_sgpr_count 2
		.amdhsa_user_sgpr_dispatch_ptr 0
		.amdhsa_user_sgpr_queue_ptr 0
		.amdhsa_user_sgpr_kernarg_segment_ptr 1
		.amdhsa_user_sgpr_dispatch_id 0
		.amdhsa_user_sgpr_kernarg_preload_length 0
		.amdhsa_user_sgpr_kernarg_preload_offset 0
		.amdhsa_user_sgpr_private_segment_size 0
		.amdhsa_uses_dynamic_stack 0
		.amdhsa_enable_private_segment 0
		.amdhsa_system_sgpr_workgroup_id_x 1
		.amdhsa_system_sgpr_workgroup_id_y 0
		.amdhsa_system_sgpr_workgroup_id_z 0
		.amdhsa_system_sgpr_workgroup_info 0
		.amdhsa_system_vgpr_workitem_id 0
		.amdhsa_next_free_vgpr 12
		.amdhsa_next_free_sgpr 26
		.amdhsa_accum_offset 12
		.amdhsa_reserve_vcc 1
		.amdhsa_float_round_mode_32 0
		.amdhsa_float_round_mode_16_64 0
		.amdhsa_float_denorm_mode_32 3
		.amdhsa_float_denorm_mode_16_64 3
		.amdhsa_dx10_clamp 1
		.amdhsa_ieee_mode 1
		.amdhsa_fp16_overflow 0
		.amdhsa_tg_split 0
		.amdhsa_exception_fp_ieee_invalid_op 0
		.amdhsa_exception_fp_denorm_src 0
		.amdhsa_exception_fp_ieee_div_zero 0
		.amdhsa_exception_fp_ieee_overflow 0
		.amdhsa_exception_fp_ieee_underflow 0
		.amdhsa_exception_fp_ieee_inexact 0
		.amdhsa_exception_int_div_zero 0
	.end_amdhsa_kernel
	.section	.text._ZN2at6native12_GLOBAL__N_126LayerNormForwardCUDAKernelIffLb0EEEvlPKT_PKT0_S8_S5_S5_PS3_,"axG",@progbits,_ZN2at6native12_GLOBAL__N_126LayerNormForwardCUDAKernelIffLb0EEEvlPKT_PKT0_S8_S5_S5_PS3_,comdat
.Lfunc_end5:
	.size	_ZN2at6native12_GLOBAL__N_126LayerNormForwardCUDAKernelIffLb0EEEvlPKT_PKT0_S8_S5_S5_PS3_, .Lfunc_end5-_ZN2at6native12_GLOBAL__N_126LayerNormForwardCUDAKernelIffLb0EEEvlPKT_PKT0_S8_S5_S5_PS3_
                                        ; -- End function
	.set _ZN2at6native12_GLOBAL__N_126LayerNormForwardCUDAKernelIffLb0EEEvlPKT_PKT0_S8_S5_S5_PS3_.num_vgpr, 12
	.set _ZN2at6native12_GLOBAL__N_126LayerNormForwardCUDAKernelIffLb0EEEvlPKT_PKT0_S8_S5_S5_PS3_.num_agpr, 0
	.set _ZN2at6native12_GLOBAL__N_126LayerNormForwardCUDAKernelIffLb0EEEvlPKT_PKT0_S8_S5_S5_PS3_.numbered_sgpr, 26
	.set _ZN2at6native12_GLOBAL__N_126LayerNormForwardCUDAKernelIffLb0EEEvlPKT_PKT0_S8_S5_S5_PS3_.num_named_barrier, 0
	.set _ZN2at6native12_GLOBAL__N_126LayerNormForwardCUDAKernelIffLb0EEEvlPKT_PKT0_S8_S5_S5_PS3_.private_seg_size, 0
	.set _ZN2at6native12_GLOBAL__N_126LayerNormForwardCUDAKernelIffLb0EEEvlPKT_PKT0_S8_S5_S5_PS3_.uses_vcc, 1
	.set _ZN2at6native12_GLOBAL__N_126LayerNormForwardCUDAKernelIffLb0EEEvlPKT_PKT0_S8_S5_S5_PS3_.uses_flat_scratch, 0
	.set _ZN2at6native12_GLOBAL__N_126LayerNormForwardCUDAKernelIffLb0EEEvlPKT_PKT0_S8_S5_S5_PS3_.has_dyn_sized_stack, 0
	.set _ZN2at6native12_GLOBAL__N_126LayerNormForwardCUDAKernelIffLb0EEEvlPKT_PKT0_S8_S5_S5_PS3_.has_recursion, 0
	.set _ZN2at6native12_GLOBAL__N_126LayerNormForwardCUDAKernelIffLb0EEEvlPKT_PKT0_S8_S5_S5_PS3_.has_indirect_call, 0
	.section	.AMDGPU.csdata,"",@progbits
; Kernel info:
; codeLenInByte = 368
; TotalNumSgprs: 32
; NumVgprs: 12
; NumAgprs: 0
; TotalNumVgprs: 12
; ScratchSize: 0
; MemoryBound: 0
; FloatMode: 240
; IeeeMode: 1
; LDSByteSize: 0 bytes/workgroup (compile time only)
; SGPRBlocks: 3
; VGPRBlocks: 1
; NumSGPRsForWavesPerEU: 32
; NumVGPRsForWavesPerEU: 12
; AccumOffset: 12
; Occupancy: 8
; WaveLimiterHint : 0
; COMPUTE_PGM_RSRC2:SCRATCH_EN: 0
; COMPUTE_PGM_RSRC2:USER_SGPR: 2
; COMPUTE_PGM_RSRC2:TRAP_HANDLER: 0
; COMPUTE_PGM_RSRC2:TGID_X_EN: 1
; COMPUTE_PGM_RSRC2:TGID_Y_EN: 0
; COMPUTE_PGM_RSRC2:TGID_Z_EN: 0
; COMPUTE_PGM_RSRC2:TIDIG_COMP_CNT: 0
; COMPUTE_PGM_RSRC3_GFX90A:ACCUM_OFFSET: 2
; COMPUTE_PGM_RSRC3_GFX90A:TG_SPLIT: 0
	.section	.text._ZN2at6native12_GLOBAL__N_128vectorized_layer_norm_kernelIN3c104HalfEfLb0EEEviT0_PKT_S8_S8_PS5_S9_PS6_,"axG",@progbits,_ZN2at6native12_GLOBAL__N_128vectorized_layer_norm_kernelIN3c104HalfEfLb0EEEviT0_PKT_S8_S8_PS5_S9_PS6_,comdat
	.globl	_ZN2at6native12_GLOBAL__N_128vectorized_layer_norm_kernelIN3c104HalfEfLb0EEEviT0_PKT_S8_S8_PS5_S9_PS6_ ; -- Begin function _ZN2at6native12_GLOBAL__N_128vectorized_layer_norm_kernelIN3c104HalfEfLb0EEEviT0_PKT_S8_S8_PS5_S9_PS6_
	.p2align	8
	.type	_ZN2at6native12_GLOBAL__N_128vectorized_layer_norm_kernelIN3c104HalfEfLb0EEEviT0_PKT_S8_S8_PS5_S9_PS6_,@function
_ZN2at6native12_GLOBAL__N_128vectorized_layer_norm_kernelIN3c104HalfEfLb0EEEviT0_PKT_S8_S8_PS5_S9_PS6_: ; @_ZN2at6native12_GLOBAL__N_128vectorized_layer_norm_kernelIN3c104HalfEfLb0EEEviT0_PKT_S8_S8_PS5_S9_PS6_
; %bb.0:
	s_load_dwordx4 s[16:19], s[0:1], 0x0
	s_load_dword s4, s[0:1], 0x44
	v_and_b32_e32 v14, 0x3ff, v0
	v_bfe_u32 v15, v0, 10, 10
	s_mov_b32 s3, 0
	s_waitcnt lgkmcnt(0)
	s_ashr_i32 s5, s16, 31
	s_lshr_b32 s26, s4, 16
	s_and_b32 s4, s4, 0xffff
	s_mul_i32 s20, s26, s4
	v_mul_u32_u24_e32 v0, s4, v15
	v_mad_u32_u24 v16, v15, s4, v14
	s_lshr_b32 s4, s5, 30
	s_add_i32 s4, s16, s4
	s_mul_hi_u32 s6, s16, s2
	s_mul_i32 s7, s5, s2
	s_ashr_i32 s30, s4, 2
	s_add_i32 s23, s6, s7
	s_mul_i32 s22, s16, s2
	v_cmp_gt_i32_e64 s[4:5], s30, v16
	v_mov_b32_e32 v9, 0
	v_add_lshl_u32 v8, v0, v14, 3
	v_mov_b32_e32 v1, 0
	v_mov_b32_e32 v0, 0
	s_and_saveexec_b64 s[12:13], s[4:5]
	s_cbranch_execz .LBB6_4
; %bb.1:
	s_lshl_b64 s[6:7], s[22:23], 1
	s_add_u32 s6, s18, s6
	v_mov_b32_e32 v9, 0
	s_addc_u32 s7, s19, s7
	v_lshl_add_u64 v[0:1], s[6:7], 0, v[8:9]
	s_ashr_i32 s21, s20, 31
	v_lshl_add_u64 v[2:3], v[0:1], 0, 4
	s_lshl_b64 s[24:25], s[20:21], 3
	s_mov_b64 s[14:15], 0
	v_mov_b32_e32 v4, v16
	v_mov_b32_e32 v1, v9
	v_mov_b32_e32 v0, v9
.LBB6_2:                                ; =>This Inner Loop Header: Depth=1
	global_load_dwordx2 v[6:7], v[2:3], off offset:-4
	v_add_f32_e32 v5, 1.0, v9
	v_add_u32_e32 v4, s20, v4
	v_div_scale_f32 v10, s[6:7], v5, v5, 1.0
	v_add_f32_e32 v12, 1.0, v5
	v_cmp_le_i32_e64 s[6:7], s30, v4
	v_rcp_f32_e32 v13, v10
	v_div_scale_f32 v17, s[8:9], v12, v12, 1.0
	v_add_f32_e32 v19, 1.0, v12
	s_or_b64 s[14:15], s[6:7], s[14:15]
	v_rcp_f32_e32 v20, v17
	v_div_scale_f32 v21, s[6:7], v19, v19, 1.0
	v_add_f32_e32 v9, 1.0, v19
	v_rcp_f32_e32 v23, v21
	v_div_scale_f32 v24, s[10:11], v9, v9, 1.0
	v_rcp_f32_e32 v26, v24
	v_fma_f32 v27, -v10, v13, 1.0
	v_div_scale_f32 v11, vcc, 1.0, v5, 1.0
	v_fmac_f32_e32 v13, v27, v13
	v_fma_f32 v27, -v17, v20, 1.0
	v_div_scale_f32 v18, s[8:9], 1.0, v12, 1.0
	v_mul_f32_e32 v28, v11, v13
	v_fmac_f32_e32 v20, v27, v20
	v_fma_f32 v27, -v21, v23, 1.0
	v_div_scale_f32 v22, s[6:7], 1.0, v19, 1.0
	v_fma_f32 v29, -v10, v28, v11
	v_mul_f32_e32 v30, v18, v20
	v_fmac_f32_e32 v23, v27, v23
	v_fma_f32 v27, -v24, v26, 1.0
	v_div_scale_f32 v25, s[10:11], 1.0, v9, 1.0
	v_fmac_f32_e32 v28, v29, v13
	v_fma_f32 v29, -v17, v30, v18
	v_mul_f32_e32 v31, v22, v23
	v_fmac_f32_e32 v26, v27, v26
	v_fma_f32 v10, -v10, v28, v11
	v_fmac_f32_e32 v30, v29, v20
	v_fma_f32 v11, -v21, v31, v22
	v_mul_f32_e32 v27, v25, v26
	v_div_fmas_f32 v10, v10, v13, v28
	v_fma_f32 v13, -v17, v30, v18
	v_fmac_f32_e32 v31, v11, v23
	v_fma_f32 v11, -v24, v27, v25
	s_mov_b64 vcc, s[8:9]
	v_div_fixup_f32 v5, v10, v5, 1.0
	v_div_fmas_f32 v10, v13, v20, v30
	v_fma_f32 v13, -v21, v31, v22
	v_fmac_f32_e32 v27, v11, v26
	s_mov_b64 vcc, s[6:7]
	v_div_fixup_f32 v17, v10, v12, 1.0
	v_div_fmas_f32 v10, v13, v23, v31
	v_fma_f32 v11, -v24, v27, v25
	s_mov_b64 vcc, s[10:11]
	v_div_fixup_f32 v21, v10, v19, 1.0
	v_div_fmas_f32 v10, v11, v26, v27
	v_div_fixup_f32 v22, v10, v9, 1.0
	v_lshl_add_u64 v[2:3], v[2:3], 0, s[24:25]
	s_waitcnt vmcnt(0)
	v_cvt_f32_f16_e32 v10, v6
	v_cvt_f32_f16_sdwa v11, v6 dst_sel:DWORD dst_unused:UNUSED_PAD src0_sel:WORD_1
	v_cvt_f32_f16_e32 v12, v7
	v_cvt_f32_f16_sdwa v13, v7 dst_sel:DWORD dst_unused:UNUSED_PAD src0_sel:WORD_1
	v_sub_f32_e32 v6, v10, v0
	v_fmac_f32_e32 v0, v5, v6
	v_pk_add_f32 v[18:19], v[10:11], v[0:1] op_sel_hi:[1,0] neg_lo:[0,1] neg_hi:[0,1]
	s_nop 0
	v_fmac_f32_e32 v0, v17, v19
	v_sub_f32_e32 v7, v11, v0
	v_sub_f32_e32 v10, v12, v0
	v_mov_b32_e32 v20, v0
	v_pk_mul_f32 v[6:7], v[18:19], v[6:7]
	v_fmac_f32_e32 v20, v21, v10
	v_add_f32_e32 v0, v1, v6
	v_sub_f32_e32 v11, v13, v20
	v_add_f32_e32 v1, v0, v7
	v_fma_f32 v0, v22, v11, v20
	v_mov_b32_e32 v21, v0
	v_pk_add_f32 v[6:7], v[12:13], v[20:21] neg_lo:[0,1] neg_hi:[0,1]
	s_nop 0
	v_pk_mul_f32 v[6:7], v[10:11], v[6:7]
	s_nop 0
	v_add_f32_e32 v1, v1, v6
	v_add_f32_e32 v1, v1, v7
	s_andn2_b64 exec, exec, s[14:15]
	s_cbranch_execnz .LBB6_2
; %bb.3:
	s_or_b64 exec, exec, s[14:15]
.LBB6_4:
	s_or_b64 exec, exec, s[12:13]
	v_mbcnt_lo_u32_b32 v2, -1, 0
	v_mbcnt_hi_u32_b32 v18, -1, v2
	v_lshlrev_b32_e32 v17, 2, v18
	v_or_b32_e32 v3, 0x80, v17
	ds_bpermute_b32 v10, v3, v9
	ds_bpermute_b32 v6, v3, v0
	;; [unrolled: 1-line block ×3, first 2 shown]
	v_mov_b32_e32 v2, 0
	v_mov_b32_e32 v4, 0
	s_waitcnt lgkmcnt(2)
	v_add_f32_e32 v12, v9, v10
	v_cmp_lt_f32_e32 vcc, 0, v12
	v_mov_b32_e32 v5, 0
	s_and_saveexec_b64 s[6:7], vcc
	s_cbranch_execz .LBB6_6
; %bb.5:
	v_div_scale_f32 v4, s[8:9], v12, v12, 1.0
	v_rcp_f32_e32 v5, v4
	s_waitcnt lgkmcnt(1)
	v_sub_f32_e32 v11, v0, v6
	s_waitcnt lgkmcnt(0)
	v_add_f32_e32 v1, v1, v3
	v_fma_f32 v7, -v4, v5, 1.0
	v_fmac_f32_e32 v5, v7, v5
	v_div_scale_f32 v7, vcc, 1.0, v12, 1.0
	v_mul_f32_e32 v13, v7, v5
	v_fma_f32 v19, -v4, v13, v7
	v_fmac_f32_e32 v13, v19, v5
	v_fma_f32 v4, -v4, v13, v7
	v_div_fmas_f32 v4, v4, v5, v13
	v_div_fixup_f32 v4, v4, v12, 1.0
	v_mul_f32_e32 v7, v9, v4
	v_mul_f32_e32 v5, v11, v11
	v_mul_f32_e32 v0, v0, v7
	v_pk_mul_f32 v[4:5], v[4:5], v[10:11] op_sel_hi:[1,0]
	s_nop 0
	v_pk_fma_f32 v[4:5], v[4:5], v[6:7], v[0:1]
.LBB6_6:
	s_or_b64 exec, exec, s[6:7]
	v_and_b32_e32 v7, 63, v18
	v_cmp_gt_u32_e32 vcc, 48, v7
	s_waitcnt lgkmcnt(0)
	v_mov_b32_e32 v3, 0
	v_cndmask_b32_e64 v0, 0, 16, vcc
	v_add_lshl_u32 v1, v0, v18, 2
	ds_bpermute_b32 v6, v1, v12
	ds_bpermute_b32 v0, v1, v4
	;; [unrolled: 1-line block ×3, first 2 shown]
	s_waitcnt lgkmcnt(2)
	v_add_f32_e32 v9, v12, v6
	v_cmp_lt_f32_e32 vcc, 0, v9
	s_and_saveexec_b64 s[6:7], vcc
	s_cbranch_execz .LBB6_8
; %bb.7:
	v_div_scale_f32 v1, s[8:9], v9, v9, 1.0
	v_rcp_f32_e32 v2, v1
	s_waitcnt lgkmcnt(1)
	v_sub_f32_e32 v3, v4, v0
	v_mul_f32_e32 v3, v3, v3
	v_fma_f32 v10, -v1, v2, 1.0
	v_fmac_f32_e32 v2, v10, v2
	v_div_scale_f32 v10, vcc, 1.0, v9, 1.0
	v_mul_f32_e32 v13, v10, v2
	v_fma_f32 v19, -v1, v13, v10
	v_fmac_f32_e32 v13, v19, v2
	v_fma_f32 v1, -v1, v13, v10
	v_div_fmas_f32 v1, v1, v2, v13
	v_div_fixup_f32 v2, v1, v9, 1.0
	v_mul_f32_e32 v10, v12, v2
	s_waitcnt lgkmcnt(0)
	v_pk_mul_f32 v[12:13], v[4:5], v[10:11]
	v_pk_add_f32 v[4:5], v[4:5], v[10:11]
	v_pk_mul_f32 v[2:3], v[2:3], v[6:7] op_sel_hi:[1,0]
	v_mov_b32_e32 v13, v5
	v_mov_b32_e32 v1, v10
	v_pk_fma_f32 v[2:3], v[2:3], v[0:1], v[12:13]
.LBB6_8:
	s_or_b64 exec, exec, s[6:7]
	v_cmp_gt_u32_e32 vcc, 56, v7
	v_mov_b32_e32 v4, 0
	v_mov_b32_e32 v5, 0
	s_waitcnt lgkmcnt(1)
	v_cndmask_b32_e64 v0, 0, 8, vcc
	v_add_lshl_u32 v1, v0, v18, 2
	ds_bpermute_b32 v6, v1, v9
	ds_bpermute_b32 v10, v1, v2
	;; [unrolled: 1-line block ×3, first 2 shown]
	v_mov_b32_e32 v0, 0
	s_waitcnt lgkmcnt(2)
	v_add_f32_e32 v19, v9, v6
	v_cmp_lt_f32_e32 vcc, 0, v19
	s_and_saveexec_b64 s[6:7], vcc
	s_cbranch_execz .LBB6_10
; %bb.9:
	v_div_scale_f32 v1, s[8:9], v19, v19, 1.0
	v_rcp_f32_e32 v4, v1
	s_waitcnt lgkmcnt(1)
	v_sub_f32_e32 v5, v2, v10
	v_mul_f32_e32 v5, v5, v5
	v_fma_f32 v11, -v1, v4, 1.0
	v_fmac_f32_e32 v4, v11, v4
	v_div_scale_f32 v11, vcc, 1.0, v19, 1.0
	v_mul_f32_e32 v12, v11, v4
	v_fma_f32 v20, -v1, v12, v11
	v_fmac_f32_e32 v12, v20, v4
	v_fma_f32 v1, -v1, v12, v11
	v_div_fmas_f32 v1, v1, v4, v12
	v_div_fixup_f32 v4, v1, v19, 1.0
	v_mul_f32_e32 v12, v9, v4
	s_waitcnt lgkmcnt(0)
	v_pk_mul_f32 v[20:21], v[2:3], v[12:13]
	v_pk_add_f32 v[2:3], v[2:3], v[12:13]
	v_mov_b32_e32 v11, v12
	v_mov_b32_e32 v21, v3
	v_pk_mul_f32 v[2:3], v[4:5], v[6:7] op_sel_hi:[1,0]
	s_nop 0
	v_pk_fma_f32 v[4:5], v[2:3], v[10:11], v[20:21]
.LBB6_10:
	s_or_b64 exec, exec, s[6:7]
	v_cmp_gt_u32_e32 vcc, 60, v7
	s_nop 1
	v_cndmask_b32_e64 v1, 0, 4, vcc
	v_add_lshl_u32 v1, v1, v18, 2
	ds_bpermute_b32 v6, v1, v19
	ds_bpermute_b32 v2, v1, v4
	;; [unrolled: 1-line block ×3, first 2 shown]
	v_mov_b32_e32 v1, 0
	s_waitcnt lgkmcnt(2)
	v_add_f32_e32 v9, v19, v6
	v_cmp_lt_f32_e32 vcc, 0, v9
	s_and_saveexec_b64 s[6:7], vcc
	s_cbranch_execz .LBB6_12
; %bb.11:
	v_div_scale_f32 v0, s[8:9], v9, v9, 1.0
	v_rcp_f32_e32 v1, v0
	s_waitcnt lgkmcnt(1)
	v_sub_f32_e32 v3, v4, v2
	v_fma_f32 v10, -v0, v1, 1.0
	v_fmac_f32_e32 v1, v10, v1
	v_div_scale_f32 v10, vcc, 1.0, v9, 1.0
	v_mul_f32_e32 v12, v10, v1
	v_fma_f32 v13, -v0, v12, v10
	v_fmac_f32_e32 v12, v13, v1
	v_fma_f32 v0, -v0, v12, v10
	v_div_fmas_f32 v0, v0, v1, v12
	v_div_fixup_f32 v0, v0, v9, 1.0
	v_mul_f32_e32 v10, v19, v0
	s_waitcnt lgkmcnt(0)
	v_pk_mul_f32 v[12:13], v[4:5], v[10:11]
	v_pk_add_f32 v[4:5], v[4:5], v[10:11]
	v_mul_f32_e32 v1, v3, v3
	v_mov_b32_e32 v13, v5
	v_pk_mul_f32 v[0:1], v[0:1], v[6:7] op_sel_hi:[1,0]
	v_mov_b32_e32 v3, v10
	v_pk_fma_f32 v[0:1], v[0:1], v[2:3], v[12:13]
.LBB6_12:
	s_or_b64 exec, exec, s[6:7]
	v_cmp_gt_u32_e32 vcc, 62, v7
	v_mov_b32_e32 v4, 0
	v_mov_b32_e32 v5, 0
	s_waitcnt lgkmcnt(1)
	v_cndmask_b32_e64 v2, 0, 2, vcc
	v_add_lshl_u32 v3, v2, v18, 2
	ds_bpermute_b32 v6, v3, v9
	ds_bpermute_b32 v10, v3, v0
	;; [unrolled: 1-line block ×3, first 2 shown]
	v_mov_b32_e32 v2, 0
	s_waitcnt lgkmcnt(2)
	v_add_f32_e32 v19, v9, v6
	v_cmp_lt_f32_e32 vcc, 0, v19
	s_and_saveexec_b64 s[6:7], vcc
	s_cbranch_execz .LBB6_14
; %bb.13:
	v_div_scale_f32 v3, s[8:9], v19, v19, 1.0
	v_rcp_f32_e32 v4, v3
	s_waitcnt lgkmcnt(1)
	v_sub_f32_e32 v5, v0, v10
	v_mul_f32_e32 v5, v5, v5
	v_fma_f32 v11, -v3, v4, 1.0
	v_fmac_f32_e32 v4, v11, v4
	v_div_scale_f32 v11, vcc, 1.0, v19, 1.0
	v_mul_f32_e32 v12, v11, v4
	v_fma_f32 v20, -v3, v12, v11
	v_fmac_f32_e32 v12, v20, v4
	v_fma_f32 v3, -v3, v12, v11
	v_div_fmas_f32 v3, v3, v4, v12
	v_div_fixup_f32 v4, v3, v19, 1.0
	v_mul_f32_e32 v12, v9, v4
	s_waitcnt lgkmcnt(0)
	v_pk_mul_f32 v[20:21], v[0:1], v[12:13]
	v_pk_add_f32 v[0:1], v[0:1], v[12:13]
	v_mov_b32_e32 v11, v12
	v_mov_b32_e32 v21, v1
	v_pk_mul_f32 v[0:1], v[4:5], v[6:7] op_sel_hi:[1,0]
	s_nop 0
	v_pk_fma_f32 v[4:5], v[0:1], v[10:11], v[20:21]
.LBB6_14:
	s_or_b64 exec, exec, s[6:7]
	v_cmp_ne_u32_e32 vcc, 63, v7
	v_mov_b32_e32 v3, 0
	s_nop 0
	v_addc_co_u32_e32 v0, vcc, 0, v18, vcc
	v_lshlrev_b32_e32 v1, 2, v0
	ds_bpermute_b32 v6, v1, v19
	ds_bpermute_b32 v0, v1, v4
	;; [unrolled: 1-line block ×3, first 2 shown]
	s_waitcnt lgkmcnt(2)
	v_add_f32_e32 v7, v19, v6
	v_cmp_lt_f32_e32 vcc, 0, v7
	s_and_saveexec_b64 s[6:7], vcc
	s_cbranch_execz .LBB6_16
; %bb.15:
	v_div_scale_f32 v1, s[8:9], v7, v7, 1.0
	v_rcp_f32_e32 v2, v1
	s_waitcnt lgkmcnt(1)
	v_sub_f32_e32 v3, v4, v0
	v_mul_f32_e32 v3, v3, v3
	v_fma_f32 v9, -v1, v2, 1.0
	v_fmac_f32_e32 v2, v9, v2
	v_div_scale_f32 v9, vcc, 1.0, v7, 1.0
	v_mul_f32_e32 v10, v9, v2
	v_fma_f32 v12, -v1, v10, v9
	v_fmac_f32_e32 v10, v12, v2
	v_fma_f32 v1, -v1, v10, v9
	v_div_fmas_f32 v1, v1, v2, v10
	v_div_fixup_f32 v2, v1, v7, 1.0
	v_mul_f32_e32 v10, v19, v2
	s_waitcnt lgkmcnt(0)
	v_pk_mul_f32 v[12:13], v[4:5], v[10:11]
	v_pk_add_f32 v[4:5], v[4:5], v[10:11]
	v_pk_mul_f32 v[2:3], v[2:3], v[6:7] op_sel_hi:[1,0]
	v_mov_b32_e32 v13, v5
	v_mov_b32_e32 v1, v10
	v_pk_fma_f32 v[2:3], v[2:3], v[0:1], v[12:13]
.LBB6_16:
	s_or_b64 exec, exec, s[6:7]
	s_cmp_lt_u32 s26, 2
	s_cbranch_scc0 .LBB6_18
; %bb.17:
	s_waitcnt lgkmcnt(1)
	v_and_b32_e32 v0, 0x100, v17
	ds_bpermute_b32 v1, v0, v3
	v_cvt_f32_i32_e32 v4, s16
	ds_bpermute_b32 v0, v0, v2
	s_waitcnt lgkmcnt(1)
	v_div_scale_f32 v5, s[6:7], v4, v4, v1
	v_rcp_f32_e32 v6, v5
	v_div_scale_f32 v9, vcc, v1, v4, v1
	v_fma_f32 v10, -v5, v6, 1.0
	v_fmac_f32_e32 v6, v10, v6
	v_mul_f32_e32 v10, v9, v6
	v_fma_f32 v11, -v5, v10, v9
	v_fmac_f32_e32 v10, v11, v6
	v_fma_f32 v5, -v5, v10, v9
	v_div_fmas_f32 v5, v5, v6, v10
	v_div_fixup_f32 v1, v5, v4, v1
	s_cbranch_execz .LBB6_19
	s_branch .LBB6_31
.LBB6_18:
                                        ; implicit-def: $vgpr0_vgpr1
.LBB6_19:
	s_lshl_b32 s6, s26, 2
	s_add_i32 s12, s6, 0
	s_waitcnt lgkmcnt(0)
	v_lshlrev_b32_e32 v0, 3, v15
	v_cmp_eq_u32_e64 s[6:7], 0, v14
	v_lshl_add_u32 v4, v15, 2, s12
	v_add_u32_e32 v5, 0, v0
.LBB6_20:                               ; =>This Inner Loop Header: Depth=1
	s_lshr_b32 s13, s26, 1
	v_cmp_le_u32_e32 vcc, s13, v15
	s_and_b32 s10, s26, 0xfffe
	s_and_b64 s[8:9], s[6:7], vcc
	v_cmp_gt_u32_e32 vcc, s10, v15
	s_and_b64 s[10:11], s[8:9], vcc
	s_and_saveexec_b64 s[8:9], s[10:11]
	s_cbranch_execz .LBB6_22
; %bb.21:                               ;   in Loop: Header=BB6_20 Depth=1
	v_subrev_u32_e32 v0, s13, v15
	v_lshl_add_u32 v1, v0, 2, s12
	v_lshl_add_u32 v0, v0, 3, 0
	ds_write2_b32 v0, v2, v3 offset1:1
	ds_write_b32 v1, v7
.LBB6_22:                               ;   in Loop: Header=BB6_20 Depth=1
	s_or_b64 exec, exec, s[8:9]
	v_cmp_gt_u32_e32 vcc, s13, v15
	s_and_b64 s[10:11], s[6:7], vcc
	s_waitcnt lgkmcnt(0)
	s_barrier
	s_and_saveexec_b64 s[8:9], s[10:11]
	s_cbranch_execz .LBB6_26
; %bb.23:                               ;   in Loop: Header=BB6_20 Depth=1
	ds_read_b32 v9, v4
	v_mov_b32_e32 v1, 0
	v_mov_b32_e32 v0, 0
	s_waitcnt lgkmcnt(0)
	v_add_f32_e32 v6, v7, v9
	v_cmp_lt_f32_e32 vcc, 0, v6
	s_and_saveexec_b64 s[10:11], vcc
	s_cbranch_execz .LBB6_25
; %bb.24:                               ;   in Loop: Header=BB6_20 Depth=1
	v_div_scale_f32 v10, s[14:15], v6, v6, 1.0
	v_rcp_f32_e32 v11, v10
	ds_read2_b32 v[0:1], v5 offset1:1
	v_fma_f32 v13, -v10, v11, 1.0
	v_fmac_f32_e32 v11, v13, v11
	v_div_scale_f32 v13, vcc, 1.0, v6, 1.0
	v_mul_f32_e32 v17, v13, v11
	v_fma_f32 v18, -v10, v17, v13
	v_fmac_f32_e32 v17, v18, v11
	v_fma_f32 v10, -v10, v17, v13
	v_div_fmas_f32 v10, v10, v11, v17
	s_waitcnt lgkmcnt(0)
	v_sub_f32_e32 v12, v2, v0
	v_div_fixup_f32 v10, v10, v6, 1.0
	v_mul_f32_e32 v11, v9, v10
	v_add_f32_e32 v1, v3, v1
	v_mul_f32_e32 v3, v12, v12
	v_mul_f32_e32 v10, v7, v10
	;; [unrolled: 1-line block ×4, first 2 shown]
	v_pk_fma_f32 v[0:1], v[2:3], v[10:11], v[0:1] op_sel_hi:[1,0,1]
.LBB6_25:                               ;   in Loop: Header=BB6_20 Depth=1
	s_or_b64 exec, exec, s[10:11]
	v_mov_b32_e32 v7, v6
	v_mov_b32_e32 v2, v0
	;; [unrolled: 1-line block ×3, first 2 shown]
.LBB6_26:                               ;   in Loop: Header=BB6_20 Depth=1
	s_or_b64 exec, exec, s[8:9]
	s_cmp_lt_u32 s26, 4
	s_barrier
	s_cbranch_scc1 .LBB6_28
; %bb.27:                               ;   in Loop: Header=BB6_20 Depth=1
	s_mov_b32 s26, s13
	s_branch .LBB6_20
.LBB6_28:
	v_or_b32_e32 v0, v14, v15
	v_cmp_eq_u32_e32 vcc, 0, v0
	s_and_saveexec_b64 s[6:7], vcc
	s_cbranch_execz .LBB6_30
; %bb.29:
	v_cvt_f32_i32_e32 v0, s16
	v_div_scale_f32 v1, s[8:9], v0, v0, v3
	v_rcp_f32_e32 v4, v1
	v_div_scale_f32 v5, vcc, v3, v0, v3
	v_fma_f32 v6, -v1, v4, 1.0
	v_fmac_f32_e32 v4, v6, v4
	v_mul_f32_e32 v6, v5, v4
	v_fma_f32 v7, -v1, v6, v5
	v_fmac_f32_e32 v6, v7, v4
	v_fma_f32 v1, -v1, v6, v5
	v_div_fmas_f32 v1, v1, v4, v6
	v_div_fixup_f32 v0, v1, v0, v3
	v_mov_b32_e32 v1, 0
	ds_write2_b32 v1, v2, v0 offset1:1
.LBB6_30:
	s_or_b64 exec, exec, s[6:7]
	v_mov_b32_e32 v0, 0
	s_waitcnt lgkmcnt(0)
	s_barrier
	ds_read2_b32 v[0:1], v0 offset1:1
.LBB6_31:
	s_waitcnt lgkmcnt(0)
	v_add_f32_e32 v1, s17, v1
	s_mov_b32 s6, 0x800000
	v_mul_f32_e32 v2, 0x4b800000, v1
	v_cmp_gt_f32_e32 vcc, s6, v1
	s_load_dwordx8 s[8:15], s[0:1], 0x10
	s_nop 0
	v_cndmask_b32_e32 v1, v1, v2, vcc
	v_rsq_f32_e32 v1, v1
	s_load_dwordx2 s[0:1], s[0:1], 0x30
	v_mul_f32_e32 v2, 0x45800000, v1
	v_cndmask_b32_e32 v10, v1, v2, vcc
	s_and_saveexec_b64 s[6:7], s[4:5]
	s_cbranch_execz .LBB6_46
; %bb.32:
	s_waitcnt lgkmcnt(0)
	s_cmp_eq_u64 s[8:9], 0
	s_cselect_b64 s[16:17], -1, 0
	s_cmp_eq_u64 s[10:11], 0
	s_cselect_b64 s[24:25], -1, 0
	s_lshl_b64 s[26:27], s[22:23], 1
	s_add_u32 s22, s0, s26
	s_addc_u32 s23, s1, s27
	s_add_u32 s18, s18, s26
	s_addc_u32 s19, s19, s27
	v_cndmask_b32_e64 v4, 0, 1, s[24:25]
	s_ashr_i32 s21, s20, 31
	s_mov_b64 s[4:5], 0
	s_or_b64 s[24:25], s[16:17], s[24:25]
	v_mov_b32_e32 v11, v10
	v_mov_b32_e32 v12, v10
	;; [unrolled: 1-line block ×7, first 2 shown]
	s_lshl_b64 s[26:27], s[20:21], 3
	v_cmp_ne_u32_e64 s[0:1], 1, v4
	v_mov_b32_e32 v17, v16
	s_branch .LBB6_34
.LBB6_33:                               ;   in Loop: Header=BB6_34 Depth=1
	v_add_u32_e32 v17, s20, v17
	v_cmp_le_i32_e32 vcc, s30, v17
	v_cvt_pk_f16_f32 v7, v6, v7
	v_cvt_pk_f16_f32 v6, v4, v5
	v_lshl_add_u64 v[4:5], s[22:23], 0, v[8:9]
	s_or_b64 s[4:5], vcc, s[4:5]
	v_lshl_add_u64 v[8:9], v[8:9], 0, s[26:27]
	global_store_dwordx2 v[4:5], v[6:7], off
	s_andn2_b64 exec, exec, s[4:5]
	s_cbranch_execz .LBB6_46
.LBB6_34:                               ; =>This Inner Loop Header: Depth=1
	v_lshl_add_u64 v[4:5], s[18:19], 0, v[8:9]
	global_load_dwordx2 v[14:15], v[4:5], off
	s_mov_b64 s[28:29], -1
	s_and_b64 vcc, exec, s[24:25]
                                        ; implicit-def: $vgpr4_vgpr5_vgpr6_vgpr7
	s_cbranch_vccz .LBB6_44
; %bb.35:                               ;   in Loop: Header=BB6_34 Depth=1
	s_and_b64 vcc, exec, s[16:17]
                                        ; implicit-def: $vgpr4_vgpr5_vgpr6_vgpr7
	s_cbranch_vccz .LBB6_41
; %bb.36:                               ;   in Loop: Header=BB6_34 Depth=1
	s_and_b64 vcc, exec, s[0:1]
                                        ; implicit-def: $vgpr4_vgpr5_vgpr6_vgpr7
	s_cbranch_vccnz .LBB6_38
; %bb.37:                               ;   in Loop: Header=BB6_34 Depth=1
	s_waitcnt vmcnt(0)
	v_cvt_f32_f16_e32 v4, v14
	v_cvt_f32_f16_sdwa v5, v14 dst_sel:DWORD dst_unused:UNUSED_PAD src0_sel:WORD_1
	v_cvt_f32_f16_e32 v6, v15
	v_cvt_f32_f16_sdwa v7, v15 dst_sel:DWORD dst_unused:UNUSED_PAD src0_sel:WORD_1
	v_sub_f32_e32 v4, v4, v0
	v_sub_f32_e32 v5, v5, v1
	;; [unrolled: 1-line block ×4, first 2 shown]
	v_pk_mul_f32 v[6:7], v[12:13], v[6:7]
	v_pk_mul_f32 v[4:5], v[10:11], v[4:5]
	s_mov_b64 s[28:29], 0
.LBB6_38:                               ;   in Loop: Header=BB6_34 Depth=1
	s_andn2_b64 vcc, exec, s[28:29]
	s_cbranch_vccnz .LBB6_40
; %bb.39:                               ;   in Loop: Header=BB6_34 Depth=1
	v_lshl_add_u64 v[4:5], s[10:11], 0, v[8:9]
	global_load_dwordx2 v[4:5], v[4:5], off
	s_waitcnt vmcnt(1)
	v_cvt_f32_f16_e32 v6, v14
	v_cvt_f32_f16_sdwa v7, v14 dst_sel:DWORD dst_unused:UNUSED_PAD src0_sel:WORD_1
	v_cvt_f32_f16_sdwa v22, v15 dst_sel:DWORD dst_unused:UNUSED_PAD src0_sel:WORD_1
	v_cvt_f32_f16_e32 v23, v15
	v_sub_f32_e32 v18, v6, v0
	v_sub_f32_e32 v19, v7, v1
	s_waitcnt vmcnt(0)
	v_cvt_f32_f16_e32 v20, v4
	v_cvt_f32_f16_e32 v6, v5
	v_cvt_f32_f16_sdwa v7, v5 dst_sel:DWORD dst_unused:UNUSED_PAD src0_sel:WORD_1
	v_cvt_f32_f16_sdwa v21, v4 dst_sel:DWORD dst_unused:UNUSED_PAD src0_sel:WORD_1
	v_sub_f32_e32 v4, v23, v2
	v_sub_f32_e32 v5, v22, v3
	v_pk_fma_f32 v[6:7], v[12:13], v[4:5], v[6:7]
	v_pk_fma_f32 v[4:5], v[10:11], v[18:19], v[20:21]
.LBB6_40:                               ;   in Loop: Header=BB6_34 Depth=1
	s_mov_b64 s[28:29], 0
.LBB6_41:                               ;   in Loop: Header=BB6_34 Depth=1
	s_andn2_b64 vcc, exec, s[28:29]
	s_cbranch_vccnz .LBB6_43
; %bb.42:                               ;   in Loop: Header=BB6_34 Depth=1
	v_lshl_add_u64 v[4:5], s[8:9], 0, v[8:9]
	global_load_dwordx2 v[4:5], v[4:5], off
	s_waitcnt vmcnt(1)
	v_cvt_f32_f16_e32 v6, v15
	v_cvt_f32_f16_sdwa v7, v15 dst_sel:DWORD dst_unused:UNUSED_PAD src0_sel:WORD_1
	v_cvt_f32_f16_e32 v18, v14
	v_cvt_f32_f16_sdwa v19, v14 dst_sel:DWORD dst_unused:UNUSED_PAD src0_sel:WORD_1
	v_sub_f32_e32 v6, v6, v2
	v_sub_f32_e32 v7, v7, v3
	;; [unrolled: 1-line block ×4, first 2 shown]
	v_pk_mul_f32 v[6:7], v[12:13], v[6:7]
	s_waitcnt vmcnt(0)
	v_cvt_f32_f16_e32 v20, v4
	v_cvt_f32_f16_e32 v22, v5
	v_cvt_f32_f16_sdwa v23, v5 dst_sel:DWORD dst_unused:UNUSED_PAD src0_sel:WORD_1
	v_cvt_f32_f16_sdwa v21, v4 dst_sel:DWORD dst_unused:UNUSED_PAD src0_sel:WORD_1
	v_pk_mul_f32 v[4:5], v[10:11], v[18:19]
	v_pk_mul_f32 v[6:7], v[6:7], v[22:23]
	;; [unrolled: 1-line block ×3, first 2 shown]
.LBB6_43:                               ;   in Loop: Header=BB6_34 Depth=1
	s_mov_b64 s[28:29], 0
.LBB6_44:                               ;   in Loop: Header=BB6_34 Depth=1
	s_andn2_b64 vcc, exec, s[28:29]
	s_cbranch_vccnz .LBB6_33
; %bb.45:                               ;   in Loop: Header=BB6_34 Depth=1
	v_lshl_add_u64 v[4:5], s[8:9], 0, v[8:9]
	v_lshl_add_u64 v[6:7], s[10:11], 0, v[8:9]
	global_load_dwordx2 v[4:5], v[4:5], off
	s_waitcnt vmcnt(1)
	v_cvt_f32_f16_e32 v18, v15
	global_load_dwordx2 v[6:7], v[6:7], off
	v_cvt_f32_f16_e32 v19, v14
	v_cvt_f32_f16_sdwa v20, v14 dst_sel:DWORD dst_unused:UNUSED_PAD src0_sel:WORD_1
	v_cvt_f32_f16_sdwa v15, v15 dst_sel:DWORD dst_unused:UNUSED_PAD src0_sel:WORD_1
	v_sub_f32_e32 v14, v18, v2
	v_sub_f32_e32 v18, v19, v0
	;; [unrolled: 1-line block ×4, first 2 shown]
	v_pk_mul_f32 v[18:19], v[10:11], v[18:19]
	s_waitcnt vmcnt(1)
	v_cvt_f32_f16_e32 v20, v4
	v_cvt_f32_f16_sdwa v21, v4 dst_sel:DWORD dst_unused:UNUSED_PAD src0_sel:WORD_1
	v_cvt_f32_f16_e32 v4, v5
	v_cvt_f32_f16_sdwa v5, v5 dst_sel:DWORD dst_unused:UNUSED_PAD src0_sel:WORD_1
	s_waitcnt vmcnt(0)
	v_cvt_f32_f16_e32 v22, v6
	v_cvt_f32_f16_e32 v24, v7
	v_cvt_f32_f16_sdwa v25, v7 dst_sel:DWORD dst_unused:UNUSED_PAD src0_sel:WORD_1
	v_cvt_f32_f16_sdwa v23, v6 dst_sel:DWORD dst_unused:UNUSED_PAD src0_sel:WORD_1
	v_pk_mul_f32 v[6:7], v[12:13], v[14:15]
	s_nop 0
	v_pk_fma_f32 v[6:7], v[6:7], v[4:5], v[24:25]
	v_pk_fma_f32 v[4:5], v[18:19], v[20:21], v[22:23]
	s_branch .LBB6_33
.LBB6_46:
	s_or_b64 exec, exec, s[6:7]
	v_cmp_eq_u32_e32 vcc, 0, v16
	s_waitcnt lgkmcnt(0)
	s_and_saveexec_b64 s[0:1], vcc
	s_cbranch_execz .LBB6_48
; %bb.47:
	s_lshl_b64 s[0:1], s[2:3], 2
	s_add_u32 s2, s12, s0
	s_addc_u32 s3, s13, s1
	v_mov_b32_e32 v1, 0
	s_add_u32 s0, s14, s0
	s_addc_u32 s1, s15, s1
	global_store_dword v1, v0, s[2:3]
	global_store_dword v1, v10, s[0:1]
.LBB6_48:
	s_endpgm
	.section	.rodata,"a",@progbits
	.p2align	6, 0x0
	.amdhsa_kernel _ZN2at6native12_GLOBAL__N_128vectorized_layer_norm_kernelIN3c104HalfEfLb0EEEviT0_PKT_S8_S8_PS5_S9_PS6_
		.amdhsa_group_segment_fixed_size 0
		.amdhsa_private_segment_fixed_size 0
		.amdhsa_kernarg_size 312
		.amdhsa_user_sgpr_count 2
		.amdhsa_user_sgpr_dispatch_ptr 0
		.amdhsa_user_sgpr_queue_ptr 0
		.amdhsa_user_sgpr_kernarg_segment_ptr 1
		.amdhsa_user_sgpr_dispatch_id 0
		.amdhsa_user_sgpr_kernarg_preload_length 0
		.amdhsa_user_sgpr_kernarg_preload_offset 0
		.amdhsa_user_sgpr_private_segment_size 0
		.amdhsa_uses_dynamic_stack 0
		.amdhsa_enable_private_segment 0
		.amdhsa_system_sgpr_workgroup_id_x 1
		.amdhsa_system_sgpr_workgroup_id_y 0
		.amdhsa_system_sgpr_workgroup_id_z 0
		.amdhsa_system_sgpr_workgroup_info 0
		.amdhsa_system_vgpr_workitem_id 1
		.amdhsa_next_free_vgpr 32
		.amdhsa_next_free_sgpr 31
		.amdhsa_accum_offset 32
		.amdhsa_reserve_vcc 1
		.amdhsa_float_round_mode_32 0
		.amdhsa_float_round_mode_16_64 0
		.amdhsa_float_denorm_mode_32 3
		.amdhsa_float_denorm_mode_16_64 3
		.amdhsa_dx10_clamp 1
		.amdhsa_ieee_mode 1
		.amdhsa_fp16_overflow 0
		.amdhsa_tg_split 0
		.amdhsa_exception_fp_ieee_invalid_op 0
		.amdhsa_exception_fp_denorm_src 0
		.amdhsa_exception_fp_ieee_div_zero 0
		.amdhsa_exception_fp_ieee_overflow 0
		.amdhsa_exception_fp_ieee_underflow 0
		.amdhsa_exception_fp_ieee_inexact 0
		.amdhsa_exception_int_div_zero 0
	.end_amdhsa_kernel
	.section	.text._ZN2at6native12_GLOBAL__N_128vectorized_layer_norm_kernelIN3c104HalfEfLb0EEEviT0_PKT_S8_S8_PS5_S9_PS6_,"axG",@progbits,_ZN2at6native12_GLOBAL__N_128vectorized_layer_norm_kernelIN3c104HalfEfLb0EEEviT0_PKT_S8_S8_PS5_S9_PS6_,comdat
.Lfunc_end6:
	.size	_ZN2at6native12_GLOBAL__N_128vectorized_layer_norm_kernelIN3c104HalfEfLb0EEEviT0_PKT_S8_S8_PS5_S9_PS6_, .Lfunc_end6-_ZN2at6native12_GLOBAL__N_128vectorized_layer_norm_kernelIN3c104HalfEfLb0EEEviT0_PKT_S8_S8_PS5_S9_PS6_
                                        ; -- End function
	.set _ZN2at6native12_GLOBAL__N_128vectorized_layer_norm_kernelIN3c104HalfEfLb0EEEviT0_PKT_S8_S8_PS5_S9_PS6_.num_vgpr, 32
	.set _ZN2at6native12_GLOBAL__N_128vectorized_layer_norm_kernelIN3c104HalfEfLb0EEEviT0_PKT_S8_S8_PS5_S9_PS6_.num_agpr, 0
	.set _ZN2at6native12_GLOBAL__N_128vectorized_layer_norm_kernelIN3c104HalfEfLb0EEEviT0_PKT_S8_S8_PS5_S9_PS6_.numbered_sgpr, 31
	.set _ZN2at6native12_GLOBAL__N_128vectorized_layer_norm_kernelIN3c104HalfEfLb0EEEviT0_PKT_S8_S8_PS5_S9_PS6_.num_named_barrier, 0
	.set _ZN2at6native12_GLOBAL__N_128vectorized_layer_norm_kernelIN3c104HalfEfLb0EEEviT0_PKT_S8_S8_PS5_S9_PS6_.private_seg_size, 0
	.set _ZN2at6native12_GLOBAL__N_128vectorized_layer_norm_kernelIN3c104HalfEfLb0EEEviT0_PKT_S8_S8_PS5_S9_PS6_.uses_vcc, 1
	.set _ZN2at6native12_GLOBAL__N_128vectorized_layer_norm_kernelIN3c104HalfEfLb0EEEviT0_PKT_S8_S8_PS5_S9_PS6_.uses_flat_scratch, 0
	.set _ZN2at6native12_GLOBAL__N_128vectorized_layer_norm_kernelIN3c104HalfEfLb0EEEviT0_PKT_S8_S8_PS5_S9_PS6_.has_dyn_sized_stack, 0
	.set _ZN2at6native12_GLOBAL__N_128vectorized_layer_norm_kernelIN3c104HalfEfLb0EEEviT0_PKT_S8_S8_PS5_S9_PS6_.has_recursion, 0
	.set _ZN2at6native12_GLOBAL__N_128vectorized_layer_norm_kernelIN3c104HalfEfLb0EEEviT0_PKT_S8_S8_PS5_S9_PS6_.has_indirect_call, 0
	.section	.AMDGPU.csdata,"",@progbits
; Kernel info:
; codeLenInByte = 3384
; TotalNumSgprs: 37
; NumVgprs: 32
; NumAgprs: 0
; TotalNumVgprs: 32
; ScratchSize: 0
; MemoryBound: 0
; FloatMode: 240
; IeeeMode: 1
; LDSByteSize: 0 bytes/workgroup (compile time only)
; SGPRBlocks: 4
; VGPRBlocks: 3
; NumSGPRsForWavesPerEU: 37
; NumVGPRsForWavesPerEU: 32
; AccumOffset: 32
; Occupancy: 8
; WaveLimiterHint : 0
; COMPUTE_PGM_RSRC2:SCRATCH_EN: 0
; COMPUTE_PGM_RSRC2:USER_SGPR: 2
; COMPUTE_PGM_RSRC2:TRAP_HANDLER: 0
; COMPUTE_PGM_RSRC2:TGID_X_EN: 1
; COMPUTE_PGM_RSRC2:TGID_Y_EN: 0
; COMPUTE_PGM_RSRC2:TGID_Z_EN: 0
; COMPUTE_PGM_RSRC2:TIDIG_COMP_CNT: 1
; COMPUTE_PGM_RSRC3_GFX90A:ACCUM_OFFSET: 7
; COMPUTE_PGM_RSRC3_GFX90A:TG_SPLIT: 0
	.section	.text._ZN2at6native12_GLOBAL__N_124RowwiseMomentsCUDAKernelIN3c104HalfEfLb0EEEvlT0_PKT_PS5_S9_,"axG",@progbits,_ZN2at6native12_GLOBAL__N_124RowwiseMomentsCUDAKernelIN3c104HalfEfLb0EEEvlT0_PKT_PS5_S9_,comdat
	.globl	_ZN2at6native12_GLOBAL__N_124RowwiseMomentsCUDAKernelIN3c104HalfEfLb0EEEvlT0_PKT_PS5_S9_ ; -- Begin function _ZN2at6native12_GLOBAL__N_124RowwiseMomentsCUDAKernelIN3c104HalfEfLb0EEEvlT0_PKT_PS5_S9_
	.p2align	8
	.type	_ZN2at6native12_GLOBAL__N_124RowwiseMomentsCUDAKernelIN3c104HalfEfLb0EEEvlT0_PKT_PS5_S9_,@function
_ZN2at6native12_GLOBAL__N_124RowwiseMomentsCUDAKernelIN3c104HalfEfLb0EEEvlT0_PKT_PS5_S9_: ; @_ZN2at6native12_GLOBAL__N_124RowwiseMomentsCUDAKernelIN3c104HalfEfLb0EEEvlT0_PKT_PS5_S9_
; %bb.0:
	s_load_dwordx2 s[10:11], s[0:1], 0x0
	s_load_dwordx4 s[4:7], s[0:1], 0x10
	s_load_dwordx2 s[8:9], s[0:1], 0x20
	v_mov_b32_e32 v1, 0
	s_mov_b32 s3, 0
	s_waitcnt lgkmcnt(0)
	v_cmp_gt_i64_e32 vcc, s[10:11], v[0:1]
	v_mov_b32_e32 v2, v1
	v_mov_b32_e32 v3, v1
	v_mov_b64_e32 v[6:7], 0
	s_and_saveexec_b64 s[12:13], vcc
	s_cbranch_execz .LBB7_4
; %bb.1:
	s_load_dword s14, s[0:1], 0x34
	s_mul_i32 s16, s11, s2
	s_mul_hi_u32 s17, s10, s2
	s_add_i32 s17, s17, s16
	s_mul_i32 s16, s10, s2
	s_waitcnt lgkmcnt(0)
	s_and_b32 s14, s14, 0xffff
	s_lshl_b64 s[16:17], s[16:17], 1
	s_add_u32 s4, s4, s16
	v_lshlrev_b32_e32 v2, 1, v0
	v_mov_b32_e32 v3, v1
	s_addc_u32 s5, s5, s17
	s_mov_b32 s15, s3
	v_lshl_add_u64 v[4:5], s[4:5], 0, v[2:3]
	s_lshl_b32 s4, s14, 1
	s_mov_b32 s5, s3
	s_mov_b64 s[16:17], 0
	v_mov_b64_e32 v[8:9], v[0:1]
	s_mov_b64 s[18:19], 0
.LBB7_2:                                ; =>This Inner Loop Header: Depth=1
	global_load_ushort v2, v[4:5], off
	s_add_u32 s18, s18, 1
	s_addc_u32 s19, s19, 0
	s_flbit_i32_b32 s20, s19
	s_min_u32 s22, s20, 32
	s_lshl_b64 s[20:21], s[18:19], s22
	s_min_u32 s20, s20, 1
	s_or_b32 s20, s21, s20
	v_cvt_f32_u32_e32 v10, s20
	s_sub_i32 s22, 32, s22
	v_lshl_add_u64 v[8:9], v[8:9], 0, s[14:15]
	v_cmp_le_i64_e32 vcc, s[10:11], v[8:9]
	v_ldexp_f32 v10, v10, s22
	s_or_b64 s[16:17], vcc, s[16:17]
	v_lshl_add_u64 v[4:5], v[4:5], 0, s[4:5]
	v_mov_b64_e32 v[6:7], s[18:19]
	s_waitcnt vmcnt(0)
	v_cvt_f32_f16_e32 v2, v2
	v_sub_f32_e32 v11, v2, v3
	v_div_scale_f32 v12, s[20:21], v10, v10, v11
	v_rcp_f32_e32 v13, v12
	v_div_scale_f32 v14, vcc, v11, v10, v11
	v_fma_f32 v15, -v12, v13, 1.0
	v_fmac_f32_e32 v13, v15, v13
	v_mul_f32_e32 v15, v14, v13
	v_fma_f32 v16, -v12, v15, v14
	v_fmac_f32_e32 v15, v16, v13
	v_fma_f32 v12, -v12, v15, v14
	v_div_fmas_f32 v12, v12, v13, v15
	v_div_fixup_f32 v12, v12, v10, v11
	v_add_f32_e32 v3, v3, v12
	v_sub_f32_e32 v2, v2, v3
	v_fmac_f32_e32 v1, v11, v2
	s_andn2_b64 exec, exec, s[16:17]
	s_cbranch_execnz .LBB7_2
; %bb.3:
	s_or_b64 exec, exec, s[16:17]
	v_mov_b32_e32 v2, v1
	v_mov_b32_e32 v1, v10
.LBB7_4:
	s_or_b64 exec, exec, s[12:13]
	v_mbcnt_lo_u32_b32 v4, -1, 0
	v_mbcnt_hi_u32_b32 v14, -1, v4
	v_mov_b32_e32 v4, 0x80
	v_lshl_or_b32 v10, v14, 2, v4
	ds_bpermute_b32 v5, v10, v3
	ds_bpermute_b32 v4, v10, v2
	;; [unrolled: 1-line block ×5, first 2 shown]
	v_cmp_neq_f32_e32 vcc, 0, v1
	s_and_saveexec_b64 s[4:5], vcc
	s_cbranch_execz .LBB7_8
; %bb.5:
	s_waitcnt lgkmcnt(0)
	v_cmp_neq_f32_e32 vcc, 0, v11
	s_and_saveexec_b64 s[10:11], vcc
	s_cbranch_execz .LBB7_7
; %bb.6:
	v_add_f32_e32 v9, v1, v11
	v_div_scale_f32 v8, s[12:13], v9, v9, v11
	v_rcp_f32_e32 v12, v8
	v_pk_add_f32 v[6:7], v[4:5], v[2:3] neg_lo:[0,1] neg_hi:[0,1]
	v_pk_add_f32 v[4:5], v[2:3], v[4:5]
	v_mul_f32_e32 v2, v7, v7
	v_fma_f32 v6, -v8, v12, 1.0
	v_fmac_f32_e32 v12, v6, v12
	v_div_scale_f32 v6, vcc, v11, v9, v11
	v_mul_f32_e32 v13, v6, v12
	v_fma_f32 v15, -v8, v13, v6
	v_fmac_f32_e32 v13, v15, v12
	v_fma_f32 v6, -v8, v13, v6
	v_div_fmas_f32 v6, v6, v12, v13
	v_div_fixup_f32 v8, v6, v9, v11
	v_mul_f32_e32 v6, v1, v2
	v_mov_b32_e32 v5, v3
	v_pk_fma_f32 v[2:3], v[6:7], v[8:9], v[4:5] op_sel_hi:[1,0,1]
	v_mov_b64_e32 v[6:7], -1
	v_mov_b32_e32 v1, v9
.LBB7_7:
	s_or_b64 exec, exec, s[10:11]
	v_mov_b32_e32 v11, v1
	v_mov_b64_e32 v[8:9], v[6:7]
	v_mov_b64_e32 v[4:5], v[2:3]
.LBB7_8:
	s_or_b64 exec, exec, s[4:5]
	v_and_b32_e32 v15, 63, v14
	v_cmp_gt_u32_e32 vcc, 48, v15
	s_nop 1
	v_cndmask_b32_e64 v1, 0, 16, vcc
	v_add_lshl_u32 v1, v1, v14, 2
	s_waitcnt lgkmcnt(4)
	ds_bpermute_b32 v3, v1, v5
	s_waitcnt lgkmcnt(4)
	ds_bpermute_b32 v2, v1, v4
	;; [unrolled: 2-line block ×5, first 2 shown]
	v_cmp_neq_f32_e32 vcc, 0, v11
	s_and_saveexec_b64 s[4:5], vcc
	s_cbranch_execz .LBB7_12
; %bb.9:
	s_waitcnt lgkmcnt(0)
	v_cmp_neq_f32_e32 vcc, 0, v12
	s_and_saveexec_b64 s[10:11], vcc
	s_cbranch_execz .LBB7_11
; %bb.10:
	v_add_f32_e32 v13, v11, v12
	v_div_scale_f32 v8, s[12:13], v13, v13, v12
	v_rcp_f32_e32 v9, v8
	v_pk_add_f32 v[6:7], v[2:3], v[4:5] neg_lo:[0,1] neg_hi:[0,1]
	v_pk_add_f32 v[2:3], v[4:5], v[2:3]
	v_fma_f32 v6, -v8, v9, 1.0
	v_fmac_f32_e32 v9, v6, v9
	v_div_scale_f32 v6, vcc, v12, v13, v12
	v_mul_f32_e32 v16, v6, v9
	v_fma_f32 v17, -v8, v16, v6
	v_fmac_f32_e32 v16, v17, v9
	v_fma_f32 v6, -v8, v16, v6
	v_div_fmas_f32 v6, v6, v9, v16
	v_mul_f32_e32 v3, v7, v7
	v_div_fixup_f32 v8, v6, v13, v12
	v_mul_f32_e32 v6, v11, v3
	v_mov_b32_e32 v3, v5
	v_pk_fma_f32 v[4:5], v[6:7], v[8:9], v[2:3] op_sel_hi:[1,0,1]
	v_mov_b64_e32 v[8:9], -1
	v_mov_b32_e32 v11, v13
.LBB7_11:
	s_or_b64 exec, exec, s[10:11]
	v_mov_b32_e32 v12, v11
	v_mov_b64_e32 v[6:7], v[8:9]
	v_mov_b64_e32 v[2:3], v[4:5]
.LBB7_12:
	s_or_b64 exec, exec, s[4:5]
	v_cmp_gt_u32_e32 vcc, 56, v15
	s_nop 1
	v_cndmask_b32_e64 v4, 0, 8, vcc
	v_add_lshl_u32 v11, v4, v14, 2
	s_waitcnt lgkmcnt(4)
	ds_bpermute_b32 v5, v11, v3
	s_waitcnt lgkmcnt(4)
	ds_bpermute_b32 v4, v11, v2
	;; [unrolled: 2-line block ×5, first 2 shown]
	v_cmp_neq_f32_e32 vcc, 0, v12
	s_and_saveexec_b64 s[4:5], vcc
	s_cbranch_execz .LBB7_16
; %bb.13:
	s_waitcnt lgkmcnt(0)
	v_cmp_neq_f32_e32 vcc, 0, v13
	s_and_saveexec_b64 s[10:11], vcc
	s_cbranch_execz .LBB7_15
; %bb.14:
	v_add_f32_e32 v9, v12, v13
	v_div_scale_f32 v8, s[12:13], v9, v9, v13
	v_rcp_f32_e32 v16, v8
	v_pk_add_f32 v[6:7], v[4:5], v[2:3] neg_lo:[0,1] neg_hi:[0,1]
	v_pk_add_f32 v[4:5], v[2:3], v[4:5]
	v_mul_f32_e32 v2, v7, v7
	v_fma_f32 v6, -v8, v16, 1.0
	v_fmac_f32_e32 v16, v6, v16
	v_div_scale_f32 v6, vcc, v13, v9, v13
	v_mul_f32_e32 v17, v6, v16
	v_fma_f32 v18, -v8, v17, v6
	v_fmac_f32_e32 v17, v18, v16
	v_fma_f32 v6, -v8, v17, v6
	v_div_fmas_f32 v6, v6, v16, v17
	v_div_fixup_f32 v8, v6, v9, v13
	v_mul_f32_e32 v6, v12, v2
	v_mov_b32_e32 v5, v3
	v_pk_fma_f32 v[2:3], v[6:7], v[8:9], v[4:5] op_sel_hi:[1,0,1]
	v_mov_b64_e32 v[6:7], -1
	v_mov_b32_e32 v12, v9
.LBB7_15:
	s_or_b64 exec, exec, s[10:11]
	v_mov_b32_e32 v13, v12
	v_mov_b64_e32 v[8:9], v[6:7]
	v_mov_b64_e32 v[4:5], v[2:3]
.LBB7_16:
	s_or_b64 exec, exec, s[4:5]
	v_cmp_gt_u32_e32 vcc, 60, v15
	s_nop 1
	v_cndmask_b32_e64 v2, 0, 4, vcc
	v_add_lshl_u32 v12, v2, v14, 2
	s_waitcnt lgkmcnt(4)
	ds_bpermute_b32 v3, v12, v5
	s_waitcnt lgkmcnt(4)
	ds_bpermute_b32 v2, v12, v4
	;; [unrolled: 2-line block ×5, first 2 shown]
	v_cmp_neq_f32_e32 vcc, 0, v13
	s_and_saveexec_b64 s[4:5], vcc
	s_cbranch_execz .LBB7_20
; %bb.17:
	s_waitcnt lgkmcnt(0)
	v_cmp_neq_f32_e32 vcc, 0, v16
	s_and_saveexec_b64 s[10:11], vcc
	s_cbranch_execz .LBB7_19
; %bb.18:
	v_add_f32_e32 v17, v13, v16
	v_div_scale_f32 v8, s[12:13], v17, v17, v16
	v_rcp_f32_e32 v9, v8
	v_pk_add_f32 v[6:7], v[2:3], v[4:5] neg_lo:[0,1] neg_hi:[0,1]
	v_pk_add_f32 v[2:3], v[4:5], v[2:3]
	v_fma_f32 v6, -v8, v9, 1.0
	v_fmac_f32_e32 v9, v6, v9
	v_div_scale_f32 v6, vcc, v16, v17, v16
	v_mul_f32_e32 v18, v6, v9
	v_fma_f32 v19, -v8, v18, v6
	v_fmac_f32_e32 v18, v19, v9
	v_fma_f32 v6, -v8, v18, v6
	v_div_fmas_f32 v6, v6, v9, v18
	v_mul_f32_e32 v3, v7, v7
	v_div_fixup_f32 v8, v6, v17, v16
	v_mul_f32_e32 v6, v13, v3
	v_mov_b32_e32 v3, v5
	v_pk_fma_f32 v[4:5], v[6:7], v[8:9], v[2:3] op_sel_hi:[1,0,1]
	v_mov_b64_e32 v[8:9], -1
	v_mov_b32_e32 v13, v17
.LBB7_19:
	s_or_b64 exec, exec, s[10:11]
	v_mov_b32_e32 v16, v13
	v_mov_b64_e32 v[6:7], v[8:9]
	v_mov_b64_e32 v[2:3], v[4:5]
.LBB7_20:
	s_or_b64 exec, exec, s[4:5]
	v_cmp_gt_u32_e32 vcc, 62, v15
	s_nop 1
	v_cndmask_b32_e64 v4, 0, 2, vcc
	v_add_lshl_u32 v13, v4, v14, 2
	s_waitcnt lgkmcnt(4)
	ds_bpermute_b32 v5, v13, v3
	s_waitcnt lgkmcnt(4)
	ds_bpermute_b32 v4, v13, v2
	;; [unrolled: 2-line block ×5, first 2 shown]
	v_cmp_neq_f32_e32 vcc, 0, v16
	s_and_saveexec_b64 s[4:5], vcc
	s_cbranch_execz .LBB7_24
; %bb.21:
	s_waitcnt lgkmcnt(0)
	v_cmp_neq_f32_e32 vcc, 0, v17
	s_and_saveexec_b64 s[10:11], vcc
	s_cbranch_execz .LBB7_23
; %bb.22:
	v_add_f32_e32 v9, v16, v17
	v_div_scale_f32 v8, s[12:13], v9, v9, v17
	v_rcp_f32_e32 v18, v8
	v_pk_add_f32 v[6:7], v[4:5], v[2:3] neg_lo:[0,1] neg_hi:[0,1]
	v_pk_add_f32 v[4:5], v[2:3], v[4:5]
	v_mul_f32_e32 v2, v7, v7
	v_fma_f32 v6, -v8, v18, 1.0
	v_fmac_f32_e32 v18, v6, v18
	v_div_scale_f32 v6, vcc, v17, v9, v17
	v_mul_f32_e32 v19, v6, v18
	v_fma_f32 v20, -v8, v19, v6
	v_fmac_f32_e32 v19, v20, v18
	v_fma_f32 v6, -v8, v19, v6
	v_div_fmas_f32 v6, v6, v18, v19
	v_div_fixup_f32 v8, v6, v9, v17
	v_mul_f32_e32 v6, v16, v2
	v_mov_b32_e32 v5, v3
	v_pk_fma_f32 v[2:3], v[6:7], v[8:9], v[4:5] op_sel_hi:[1,0,1]
	v_mov_b64_e32 v[6:7], -1
	v_mov_b32_e32 v16, v9
.LBB7_23:
	s_or_b64 exec, exec, s[10:11]
	v_mov_b32_e32 v17, v16
	v_mov_b64_e32 v[8:9], v[6:7]
	v_mov_b64_e32 v[4:5], v[2:3]
.LBB7_24:
	s_or_b64 exec, exec, s[4:5]
	v_cmp_ne_u32_e32 vcc, 63, v15
	s_nop 1
	v_addc_co_u32_e32 v2, vcc, 0, v14, vcc
	v_lshlrev_b32_e32 v14, 2, v2
	s_waitcnt lgkmcnt(4)
	ds_bpermute_b32 v3, v14, v5
	s_waitcnt lgkmcnt(4)
	ds_bpermute_b32 v2, v14, v4
	;; [unrolled: 2-line block ×5, first 2 shown]
	v_cmp_neq_f32_e32 vcc, 0, v17
	s_and_saveexec_b64 s[4:5], vcc
	s_cbranch_execz .LBB7_28
; %bb.25:
	s_waitcnt lgkmcnt(0)
	v_cmp_neq_f32_e32 vcc, 0, v15
	s_and_saveexec_b64 s[10:11], vcc
	s_cbranch_execz .LBB7_27
; %bb.26:
	v_add_f32_e32 v16, v17, v15
	v_div_scale_f32 v8, s[12:13], v16, v16, v15
	v_rcp_f32_e32 v9, v8
	v_pk_add_f32 v[6:7], v[2:3], v[4:5] neg_lo:[0,1] neg_hi:[0,1]
	v_pk_add_f32 v[2:3], v[4:5], v[2:3]
	v_fma_f32 v6, -v8, v9, 1.0
	v_fmac_f32_e32 v9, v6, v9
	v_div_scale_f32 v6, vcc, v15, v16, v15
	v_mul_f32_e32 v18, v6, v9
	v_fma_f32 v19, -v8, v18, v6
	v_fmac_f32_e32 v18, v19, v9
	v_fma_f32 v6, -v8, v18, v6
	v_div_fmas_f32 v6, v6, v9, v18
	v_mul_f32_e32 v3, v7, v7
	v_div_fixup_f32 v8, v6, v16, v15
	v_mul_f32_e32 v6, v17, v3
	v_mov_b32_e32 v3, v5
	v_pk_fma_f32 v[4:5], v[6:7], v[8:9], v[2:3] op_sel_hi:[1,0,1]
	v_mov_b64_e32 v[8:9], -1
	v_mov_b32_e32 v17, v16
.LBB7_27:
	s_or_b64 exec, exec, s[10:11]
	v_mov_b32_e32 v15, v17
	v_mov_b64_e32 v[6:7], v[8:9]
	v_mov_b64_e32 v[2:3], v[4:5]
.LBB7_28:
	s_or_b64 exec, exec, s[4:5]
	v_and_b32_e32 v4, 63, v0
	v_cmp_eq_u32_e32 vcc, 0, v4
	s_waitcnt lgkmcnt(0)
	s_barrier
	s_and_saveexec_b64 s[4:5], vcc
	s_cbranch_execz .LBB7_30
; %bb.29:
	v_lshrrev_b32_e32 v5, 6, v0
	v_mul_u32_u24_e32 v5, 24, v5
	v_pk_mov_b32 v[2:3], v[2:3], v[2:3] op_sel:[1,0]
	ds_write2_b64 v5, v[2:3], v[6:7] offset1:1
	ds_write_b32 v5, v15 offset:16
.LBB7_30:
	s_or_b64 exec, exec, s[4:5]
	s_waitcnt lgkmcnt(0)
	s_barrier
	s_load_dword s4, s[0:1], 0x34
	v_mul_u32_u24_e32 v4, 24, v4
	v_mov_b32_e32 v2, 0
	v_mov_b32_e32 v3, 0
	s_waitcnt lgkmcnt(0)
	s_bfe_u32 s4, s4, 0xa0006
	v_cmp_gt_u32_e32 vcc, s4, v0
	s_and_saveexec_b64 s[4:5], vcc
	s_cbranch_execnz .LBB7_36
; %bb.31:
	s_or_b64 exec, exec, s[4:5]
	s_and_saveexec_b64 s[4:5], vcc
	s_cbranch_execnz .LBB7_37
.LBB7_32:
	s_or_b64 exec, exec, s[4:5]
	v_mov_b32_e32 v6, 0
	s_and_saveexec_b64 s[4:5], vcc
	s_cbranch_execnz .LBB7_38
.LBB7_33:
	s_or_b64 exec, exec, s[4:5]
	v_cmp_gt_u32_e32 vcc, 64, v0
	s_and_saveexec_b64 s[4:5], vcc
	s_cbranch_execnz .LBB7_39
.LBB7_34:
	s_or_b64 exec, exec, s[4:5]
	v_cmp_eq_u32_e32 vcc, 0, v0
	s_and_saveexec_b64 s[4:5], vcc
	s_cbranch_execnz .LBB7_64
.LBB7_35:
	s_endpgm
.LBB7_36:
	ds_read_b32 v3, v4
	s_or_b64 exec, exec, s[4:5]
	s_and_saveexec_b64 s[4:5], vcc
	s_cbranch_execz .LBB7_32
.LBB7_37:
	ds_read_b32 v2, v4 offset:4
	s_or_b64 exec, exec, s[4:5]
	v_mov_b32_e32 v6, 0
	s_and_saveexec_b64 s[4:5], vcc
	s_cbranch_execz .LBB7_33
.LBB7_38:
	ds_read_b32 v6, v4 offset:16
	s_or_b64 exec, exec, s[4:5]
	v_cmp_gt_u32_e32 vcc, 64, v0
	s_and_saveexec_b64 s[4:5], vcc
	s_cbranch_execz .LBB7_34
.LBB7_39:
	s_waitcnt lgkmcnt(0)
	ds_bpermute_b32 v5, v10, v3
	ds_bpermute_b32 v4, v10, v2
	;; [unrolled: 1-line block ×3, first 2 shown]
	v_cmp_neq_f32_e32 vcc, 0, v6
	s_and_saveexec_b64 s[10:11], vcc
	s_cbranch_execz .LBB7_43
; %bb.40:
	s_waitcnt lgkmcnt(0)
	v_cmp_neq_f32_e32 vcc, 0, v7
	s_and_saveexec_b64 s[12:13], vcc
	s_cbranch_execz .LBB7_42
; %bb.41:
	v_add_f32_e32 v10, v6, v7
	v_div_scale_f32 v9, s[14:15], v10, v10, v7
	v_rcp_f32_e32 v15, v9
	v_add_f32_e32 v8, v2, v4
	v_pk_add_f32 v[4:5], v[4:5], v[2:3] neg_lo:[0,1] neg_hi:[0,1]
	v_fma_f32 v2, -v9, v15, 1.0
	v_fmac_f32_e32 v15, v2, v15
	v_div_scale_f32 v2, vcc, v7, v10, v7
	v_mul_f32_e32 v4, v2, v15
	v_fma_f32 v16, -v9, v4, v2
	v_fmac_f32_e32 v4, v16, v15
	v_fma_f32 v2, -v9, v4, v2
	v_div_fmas_f32 v2, v2, v15, v4
	v_div_fixup_f32 v4, v2, v10, v7
	v_mul_f32_e32 v2, v5, v5
	v_mul_f32_e32 v6, v6, v2
	v_mov_b32_e32 v7, v4
	v_mov_b32_e32 v9, v3
	v_pk_fma_f32 v[2:3], v[4:5], v[6:7], v[8:9]
	v_mov_b32_e32 v6, v10
.LBB7_42:
	s_or_b64 exec, exec, s[12:13]
	v_mov_b32_e32 v7, v6
	v_mov_b64_e32 v[4:5], v[2:3]
.LBB7_43:
	s_or_b64 exec, exec, s[10:11]
	s_waitcnt lgkmcnt(2)
	ds_bpermute_b32 v3, v1, v5
	s_waitcnt lgkmcnt(2)
	ds_bpermute_b32 v2, v1, v4
	;; [unrolled: 2-line block ×3, first 2 shown]
	v_cmp_neq_f32_e32 vcc, 0, v7
	s_and_saveexec_b64 s[10:11], vcc
	s_cbranch_execz .LBB7_47
; %bb.44:
	s_waitcnt lgkmcnt(0)
	v_cmp_neq_f32_e32 vcc, 0, v1
	s_and_saveexec_b64 s[12:13], vcc
	s_cbranch_execz .LBB7_46
; %bb.45:
	v_add_f32_e32 v10, v7, v1
	v_div_scale_f32 v6, s[14:15], v10, v10, v1
	v_rcp_f32_e32 v15, v6
	v_pk_add_f32 v[8:9], v[2:3], v[4:5] neg_lo:[0,1] neg_hi:[0,1]
	v_pk_add_f32 v[2:3], v[4:5], v[2:3]
	v_fma_f32 v8, -v6, v15, 1.0
	v_fmac_f32_e32 v15, v8, v15
	v_div_scale_f32 v8, vcc, v1, v10, v1
	v_mul_f32_e32 v16, v8, v15
	v_fma_f32 v17, -v6, v16, v8
	v_fmac_f32_e32 v16, v17, v15
	v_fma_f32 v6, -v6, v16, v8
	v_div_fmas_f32 v6, v6, v15, v16
	v_div_fixup_f32 v6, v6, v10, v1
	v_mul_f32_e32 v1, v9, v9
	v_mul_f32_e32 v8, v7, v1
	v_mov_b32_e32 v3, v5
	v_pk_fma_f32 v[4:5], v[8:9], v[6:7], v[2:3] op_sel_hi:[1,0,1]
	v_mov_b32_e32 v7, v10
.LBB7_46:
	s_or_b64 exec, exec, s[12:13]
	v_mov_b32_e32 v1, v7
	v_mov_b64_e32 v[2:3], v[4:5]
.LBB7_47:
	s_or_b64 exec, exec, s[10:11]
	s_waitcnt lgkmcnt(2)
	ds_bpermute_b32 v5, v11, v3
	s_waitcnt lgkmcnt(2)
	ds_bpermute_b32 v4, v11, v2
	;; [unrolled: 2-line block ×3, first 2 shown]
	v_cmp_neq_f32_e32 vcc, 0, v1
	s_and_saveexec_b64 s[10:11], vcc
	s_cbranch_execz .LBB7_51
; %bb.48:
	s_waitcnt lgkmcnt(0)
	v_cmp_neq_f32_e32 vcc, 0, v6
	s_and_saveexec_b64 s[12:13], vcc
	s_cbranch_execz .LBB7_50
; %bb.49:
	v_add_f32_e32 v7, v1, v6
	v_div_scale_f32 v10, s[14:15], v7, v7, v6
	v_rcp_f32_e32 v11, v10
	v_pk_add_f32 v[8:9], v[4:5], v[2:3] neg_lo:[0,1] neg_hi:[0,1]
	v_pk_add_f32 v[4:5], v[2:3], v[4:5]
	v_mul_f32_e32 v2, v9, v9
	v_fma_f32 v8, -v10, v11, 1.0
	v_fmac_f32_e32 v11, v8, v11
	v_div_scale_f32 v8, vcc, v6, v7, v6
	v_mul_f32_e32 v15, v8, v11
	v_fma_f32 v16, -v10, v15, v8
	v_fmac_f32_e32 v15, v16, v11
	v_fma_f32 v8, -v10, v15, v8
	v_div_fmas_f32 v8, v8, v11, v15
	v_div_fixup_f32 v6, v8, v7, v6
	v_mul_f32_e32 v8, v1, v2
	v_mov_b32_e32 v5, v3
	v_pk_fma_f32 v[2:3], v[8:9], v[6:7], v[4:5] op_sel_hi:[1,0,1]
	v_mov_b32_e32 v1, v7
.LBB7_50:
	s_or_b64 exec, exec, s[12:13]
	v_mov_b32_e32 v6, v1
	v_mov_b64_e32 v[4:5], v[2:3]
.LBB7_51:
	s_or_b64 exec, exec, s[10:11]
	s_waitcnt lgkmcnt(2)
	ds_bpermute_b32 v3, v12, v5
	s_waitcnt lgkmcnt(2)
	ds_bpermute_b32 v2, v12, v4
	s_waitcnt lgkmcnt(2)
	ds_bpermute_b32 v7, v12, v6
	v_cmp_neq_f32_e32 vcc, 0, v6
	s_and_saveexec_b64 s[10:11], vcc
	s_cbranch_execz .LBB7_55
; %bb.52:
	s_waitcnt lgkmcnt(0)
	v_cmp_neq_f32_e32 vcc, 0, v7
	s_and_saveexec_b64 s[12:13], vcc
	s_cbranch_execz .LBB7_54
; %bb.53:
	v_add_f32_e32 v1, v6, v7
	v_div_scale_f32 v10, s[14:15], v1, v1, v7
	v_rcp_f32_e32 v11, v10
	v_pk_add_f32 v[8:9], v[2:3], v[4:5] neg_lo:[0,1] neg_hi:[0,1]
	v_pk_add_f32 v[2:3], v[4:5], v[2:3]
	v_fma_f32 v8, -v10, v11, 1.0
	v_fmac_f32_e32 v11, v8, v11
	v_div_scale_f32 v8, vcc, v7, v1, v7
	v_mul_f32_e32 v12, v8, v11
	v_fma_f32 v15, -v10, v12, v8
	v_fmac_f32_e32 v12, v15, v11
	v_fma_f32 v8, -v10, v12, v8
	v_div_fmas_f32 v8, v8, v11, v12
	v_mul_f32_e32 v3, v9, v9
	v_div_fixup_f32 v10, v8, v1, v7
	v_mul_f32_e32 v8, v6, v3
	v_mov_b32_e32 v3, v5
	v_pk_fma_f32 v[4:5], v[8:9], v[10:11], v[2:3] op_sel_hi:[1,0,1]
	v_mov_b32_e32 v6, v1
.LBB7_54:
	s_or_b64 exec, exec, s[12:13]
	v_mov_b32_e32 v7, v6
	v_mov_b64_e32 v[2:3], v[4:5]
.LBB7_55:
	s_or_b64 exec, exec, s[10:11]
	s_waitcnt lgkmcnt(2)
	ds_bpermute_b32 v5, v13, v3
	s_waitcnt lgkmcnt(2)
	ds_bpermute_b32 v4, v13, v2
	;; [unrolled: 2-line block ×3, first 2 shown]
	v_cmp_neq_f32_e32 vcc, 0, v7
	s_and_saveexec_b64 s[10:11], vcc
	s_cbranch_execz .LBB7_59
; %bb.56:
	s_waitcnt lgkmcnt(0)
	v_cmp_neq_f32_e32 vcc, 0, v1
	s_and_saveexec_b64 s[12:13], vcc
	s_cbranch_execz .LBB7_58
; %bb.57:
	v_add_f32_e32 v10, v7, v1
	v_div_scale_f32 v6, s[14:15], v10, v10, v1
	v_rcp_f32_e32 v11, v6
	v_pk_add_f32 v[8:9], v[4:5], v[2:3] neg_lo:[0,1] neg_hi:[0,1]
	v_pk_add_f32 v[4:5], v[2:3], v[4:5]
	v_fma_f32 v8, -v6, v11, 1.0
	v_fmac_f32_e32 v11, v8, v11
	v_div_scale_f32 v8, vcc, v1, v10, v1
	v_mul_f32_e32 v12, v8, v11
	v_fma_f32 v13, -v6, v12, v8
	v_fmac_f32_e32 v12, v13, v11
	v_fma_f32 v6, -v6, v12, v8
	v_div_fmas_f32 v6, v6, v11, v12
	v_div_fixup_f32 v6, v6, v10, v1
	v_mul_f32_e32 v1, v9, v9
	v_mul_f32_e32 v8, v7, v1
	v_mov_b32_e32 v5, v3
	v_pk_fma_f32 v[2:3], v[8:9], v[6:7], v[4:5] op_sel_hi:[1,0,1]
	v_mov_b32_e32 v7, v10
.LBB7_58:
	s_or_b64 exec, exec, s[12:13]
	v_mov_b32_e32 v1, v7
	v_mov_b64_e32 v[4:5], v[2:3]
.LBB7_59:
	s_or_b64 exec, exec, s[10:11]
	s_waitcnt lgkmcnt(2)
	ds_bpermute_b32 v3, v14, v5
	s_waitcnt lgkmcnt(2)
	ds_bpermute_b32 v2, v14, v4
	s_waitcnt lgkmcnt(2)
	ds_bpermute_b32 v6, v14, v1
	v_cmp_neq_f32_e32 vcc, 0, v1
	s_and_saveexec_b64 s[10:11], vcc
	s_cbranch_execz .LBB7_63
; %bb.60:
	s_waitcnt lgkmcnt(0)
	v_cmp_neq_f32_e32 vcc, 0, v6
	s_and_saveexec_b64 s[12:13], vcc
	s_cbranch_execz .LBB7_62
; %bb.61:
	v_add_f32_e32 v7, v1, v6
	v_div_scale_f32 v10, s[14:15], v7, v7, v6
	v_rcp_f32_e32 v11, v10
	v_pk_add_f32 v[8:9], v[2:3], v[4:5] neg_lo:[0,1] neg_hi:[0,1]
	v_pk_add_f32 v[2:3], v[4:5], v[2:3]
	v_fma_f32 v8, -v10, v11, 1.0
	v_fmac_f32_e32 v11, v8, v11
	v_div_scale_f32 v8, vcc, v6, v7, v6
	v_mul_f32_e32 v12, v8, v11
	v_fma_f32 v13, -v10, v12, v8
	v_fmac_f32_e32 v12, v13, v11
	v_fma_f32 v8, -v10, v12, v8
	v_div_fmas_f32 v8, v8, v11, v12
	v_mul_f32_e32 v3, v9, v9
	v_div_fixup_f32 v6, v8, v7, v6
	v_mul_f32_e32 v8, v1, v3
	v_mov_b32_e32 v3, v5
	v_pk_fma_f32 v[4:5], v[8:9], v[6:7], v[2:3] op_sel_hi:[1,0,1]
	v_mov_b32_e32 v1, v7
.LBB7_62:
	s_or_b64 exec, exec, s[12:13]
	v_mov_b64_e32 v[2:3], v[4:5]
	v_mov_b32_e32 v6, v1
.LBB7_63:
	s_or_b64 exec, exec, s[10:11]
	s_or_b64 exec, exec, s[4:5]
	v_cmp_eq_u32_e32 vcc, 0, v0
	s_and_saveexec_b64 s[4:5], vcc
	s_cbranch_execz .LBB7_35
.LBB7_64:
	s_waitcnt lgkmcnt(0)
	v_max_f32_e32 v0, v6, v6
	v_max_f32_e32 v0, 0, v0
	v_div_scale_f32 v1, s[4:5], v0, v0, v2
	v_rcp_f32_e32 v4, v1
	s_load_dword s4, s[0:1], 0x8
	s_lshl_b64 s[0:1], s[2:3], 2
	s_mov_b32 s3, 0x800000
	v_fma_f32 v5, -v1, v4, 1.0
	v_fmac_f32_e32 v4, v5, v4
	v_div_scale_f32 v5, vcc, v2, v0, v2
	v_mul_f32_e32 v6, v5, v4
	v_fma_f32 v7, -v1, v6, v5
	v_fmac_f32_e32 v6, v7, v4
	v_fma_f32 v1, -v1, v6, v5
	v_div_fmas_f32 v1, v1, v4, v6
	v_div_fixup_f32 v0, v1, v0, v2
	s_waitcnt lgkmcnt(0)
	v_add_f32_e32 v0, s4, v0
	v_mul_f32_e32 v1, 0x4b800000, v0
	v_cmp_gt_f32_e32 vcc, s3, v0
	s_add_u32 s2, s6, s0
	s_addc_u32 s3, s7, s1
	v_cndmask_b32_e32 v0, v0, v1, vcc
	v_rsq_f32_e32 v0, v0
	s_add_u32 s0, s8, s0
	v_mov_b32_e32 v1, 0
	s_addc_u32 s1, s9, s1
	v_mul_f32_e32 v2, 0x45800000, v0
	v_cndmask_b32_e32 v0, v0, v2, vcc
	global_store_dword v1, v3, s[2:3]
	global_store_dword v1, v0, s[0:1]
	s_endpgm
	.section	.rodata,"a",@progbits
	.p2align	6, 0x0
	.amdhsa_kernel _ZN2at6native12_GLOBAL__N_124RowwiseMomentsCUDAKernelIN3c104HalfEfLb0EEEvlT0_PKT_PS5_S9_
		.amdhsa_group_segment_fixed_size 1536
		.amdhsa_private_segment_fixed_size 0
		.amdhsa_kernarg_size 296
		.amdhsa_user_sgpr_count 2
		.amdhsa_user_sgpr_dispatch_ptr 0
		.amdhsa_user_sgpr_queue_ptr 0
		.amdhsa_user_sgpr_kernarg_segment_ptr 1
		.amdhsa_user_sgpr_dispatch_id 0
		.amdhsa_user_sgpr_kernarg_preload_length 0
		.amdhsa_user_sgpr_kernarg_preload_offset 0
		.amdhsa_user_sgpr_private_segment_size 0
		.amdhsa_uses_dynamic_stack 0
		.amdhsa_enable_private_segment 0
		.amdhsa_system_sgpr_workgroup_id_x 1
		.amdhsa_system_sgpr_workgroup_id_y 0
		.amdhsa_system_sgpr_workgroup_id_z 0
		.amdhsa_system_sgpr_workgroup_info 0
		.amdhsa_system_vgpr_workitem_id 0
		.amdhsa_next_free_vgpr 21
		.amdhsa_next_free_sgpr 23
		.amdhsa_accum_offset 24
		.amdhsa_reserve_vcc 1
		.amdhsa_float_round_mode_32 0
		.amdhsa_float_round_mode_16_64 0
		.amdhsa_float_denorm_mode_32 3
		.amdhsa_float_denorm_mode_16_64 3
		.amdhsa_dx10_clamp 1
		.amdhsa_ieee_mode 1
		.amdhsa_fp16_overflow 0
		.amdhsa_tg_split 0
		.amdhsa_exception_fp_ieee_invalid_op 0
		.amdhsa_exception_fp_denorm_src 0
		.amdhsa_exception_fp_ieee_div_zero 0
		.amdhsa_exception_fp_ieee_overflow 0
		.amdhsa_exception_fp_ieee_underflow 0
		.amdhsa_exception_fp_ieee_inexact 0
		.amdhsa_exception_int_div_zero 0
	.end_amdhsa_kernel
	.section	.text._ZN2at6native12_GLOBAL__N_124RowwiseMomentsCUDAKernelIN3c104HalfEfLb0EEEvlT0_PKT_PS5_S9_,"axG",@progbits,_ZN2at6native12_GLOBAL__N_124RowwiseMomentsCUDAKernelIN3c104HalfEfLb0EEEvlT0_PKT_PS5_S9_,comdat
.Lfunc_end7:
	.size	_ZN2at6native12_GLOBAL__N_124RowwiseMomentsCUDAKernelIN3c104HalfEfLb0EEEvlT0_PKT_PS5_S9_, .Lfunc_end7-_ZN2at6native12_GLOBAL__N_124RowwiseMomentsCUDAKernelIN3c104HalfEfLb0EEEvlT0_PKT_PS5_S9_
                                        ; -- End function
	.set _ZN2at6native12_GLOBAL__N_124RowwiseMomentsCUDAKernelIN3c104HalfEfLb0EEEvlT0_PKT_PS5_S9_.num_vgpr, 21
	.set _ZN2at6native12_GLOBAL__N_124RowwiseMomentsCUDAKernelIN3c104HalfEfLb0EEEvlT0_PKT_PS5_S9_.num_agpr, 0
	.set _ZN2at6native12_GLOBAL__N_124RowwiseMomentsCUDAKernelIN3c104HalfEfLb0EEEvlT0_PKT_PS5_S9_.numbered_sgpr, 23
	.set _ZN2at6native12_GLOBAL__N_124RowwiseMomentsCUDAKernelIN3c104HalfEfLb0EEEvlT0_PKT_PS5_S9_.num_named_barrier, 0
	.set _ZN2at6native12_GLOBAL__N_124RowwiseMomentsCUDAKernelIN3c104HalfEfLb0EEEvlT0_PKT_PS5_S9_.private_seg_size, 0
	.set _ZN2at6native12_GLOBAL__N_124RowwiseMomentsCUDAKernelIN3c104HalfEfLb0EEEvlT0_PKT_PS5_S9_.uses_vcc, 1
	.set _ZN2at6native12_GLOBAL__N_124RowwiseMomentsCUDAKernelIN3c104HalfEfLb0EEEvlT0_PKT_PS5_S9_.uses_flat_scratch, 0
	.set _ZN2at6native12_GLOBAL__N_124RowwiseMomentsCUDAKernelIN3c104HalfEfLb0EEEvlT0_PKT_PS5_S9_.has_dyn_sized_stack, 0
	.set _ZN2at6native12_GLOBAL__N_124RowwiseMomentsCUDAKernelIN3c104HalfEfLb0EEEvlT0_PKT_PS5_S9_.has_recursion, 0
	.set _ZN2at6native12_GLOBAL__N_124RowwiseMomentsCUDAKernelIN3c104HalfEfLb0EEEvlT0_PKT_PS5_S9_.has_indirect_call, 0
	.section	.AMDGPU.csdata,"",@progbits
; Kernel info:
; codeLenInByte = 3456
; TotalNumSgprs: 29
; NumVgprs: 21
; NumAgprs: 0
; TotalNumVgprs: 21
; ScratchSize: 0
; MemoryBound: 0
; FloatMode: 240
; IeeeMode: 1
; LDSByteSize: 1536 bytes/workgroup (compile time only)
; SGPRBlocks: 3
; VGPRBlocks: 2
; NumSGPRsForWavesPerEU: 29
; NumVGPRsForWavesPerEU: 21
; AccumOffset: 24
; Occupancy: 8
; WaveLimiterHint : 0
; COMPUTE_PGM_RSRC2:SCRATCH_EN: 0
; COMPUTE_PGM_RSRC2:USER_SGPR: 2
; COMPUTE_PGM_RSRC2:TRAP_HANDLER: 0
; COMPUTE_PGM_RSRC2:TGID_X_EN: 1
; COMPUTE_PGM_RSRC2:TGID_Y_EN: 0
; COMPUTE_PGM_RSRC2:TGID_Z_EN: 0
; COMPUTE_PGM_RSRC2:TIDIG_COMP_CNT: 0
; COMPUTE_PGM_RSRC3_GFX90A:ACCUM_OFFSET: 5
; COMPUTE_PGM_RSRC3_GFX90A:TG_SPLIT: 0
	.section	.text._ZN2at6native12_GLOBAL__N_126LayerNormForwardCUDAKernelIN3c104HalfEfLb0EEEvlPKT_PKT0_SA_S7_S7_PS5_,"axG",@progbits,_ZN2at6native12_GLOBAL__N_126LayerNormForwardCUDAKernelIN3c104HalfEfLb0EEEvlPKT_PKT0_SA_S7_S7_PS5_,comdat
	.globl	_ZN2at6native12_GLOBAL__N_126LayerNormForwardCUDAKernelIN3c104HalfEfLb0EEEvlPKT_PKT0_SA_S7_S7_PS5_ ; -- Begin function _ZN2at6native12_GLOBAL__N_126LayerNormForwardCUDAKernelIN3c104HalfEfLb0EEEvlPKT_PKT0_SA_S7_S7_PS5_
	.p2align	8
	.type	_ZN2at6native12_GLOBAL__N_126LayerNormForwardCUDAKernelIN3c104HalfEfLb0EEEvlPKT_PKT0_SA_S7_S7_PS5_,@function
_ZN2at6native12_GLOBAL__N_126LayerNormForwardCUDAKernelIN3c104HalfEfLb0EEEvlPKT_PKT0_SA_S7_S7_PS5_: ; @_ZN2at6native12_GLOBAL__N_126LayerNormForwardCUDAKernelIN3c104HalfEfLb0EEEvlPKT_PKT0_SA_S7_S7_PS5_
; %bb.0:
	s_load_dwordx8 s[8:15], s[0:1], 0x0
	v_mov_b32_e32 v1, 0
	s_waitcnt lgkmcnt(0)
	v_cmp_gt_i64_e32 vcc, s[8:9], v[0:1]
	s_and_saveexec_b64 s[4:5], vcc
	s_cbranch_execz .LBB8_8
; %bb.1:
	s_load_dwordx8 s[16:23], s[0:1], 0x20
	s_mov_b32 s3, 0
	s_mov_b64 s[6:7], 0
	v_lshlrev_b32_e32 v2, 1, v0
	v_mov_b32_e32 v3, v1
	s_waitcnt lgkmcnt(0)
	s_cmp_lg_u64 s[16:17], 0
	s_cselect_b64 s[4:5], -1, 0
	s_cmp_lg_u64 s[18:19], 0
	s_cselect_b64 s[24:25], -1, 0
	s_lshl_b64 s[26:27], s[2:3], 2
	s_add_u32 s12, s12, s26
	s_addc_u32 s13, s13, s27
	s_load_dword s28, s[0:1], 0x44
	s_load_dword s22, s[12:13], 0x0
	s_add_u32 s0, s14, s26
	s_addc_u32 s1, s15, s27
	s_load_dword s23, s[0:1], 0x0
	s_mul_i32 s0, s9, s2
	s_mul_hi_u32 s1, s8, s2
	s_add_i32 s1, s1, s0
	s_mul_i32 s0, s8, s2
	s_waitcnt lgkmcnt(0)
	s_and_b32 s12, s28, 0xffff
	s_lshl_b64 s[0:1], s[0:1], 1
	s_add_u32 s10, s10, s0
	s_addc_u32 s11, s11, s1
	s_lshl_b32 s2, s12, 1
	s_add_u32 s14, s20, s0
	v_cndmask_b32_e64 v4, 0, 1, s[4:5]
	v_cndmask_b32_e64 v5, 0, 1, s[24:25]
	s_mov_b32 s13, s3
	s_addc_u32 s15, s21, s1
	v_cmp_ne_u32_e64 s[0:1], 1, v4
	v_cmp_ne_u32_e64 s[4:5], 1, v5
	s_branch .LBB8_4
.LBB8_2:                                ;   in Loop: Header=BB8_4 Depth=1
	v_lshl_add_u64 v[6:7], s[18:19], 0, v[2:3]
	global_load_ushort v5, v[6:7], off
	s_waitcnt vmcnt(0)
	v_cvt_f32_f16_e32 v5, v5
.LBB8_3:                                ;   in Loop: Header=BB8_4 Depth=1
	v_lshl_add_u64 v[6:7], s[10:11], 0, v[2:3]
	global_load_ushort v8, v[6:7], off
	v_lshl_add_u64 v[0:1], v[0:1], 0, s[12:13]
	v_cmp_le_i64_e32 vcc, s[8:9], v[0:1]
	v_lshl_add_u64 v[6:7], s[14:15], 0, v[2:3]
	s_or_b64 s[6:7], vcc, s[6:7]
	v_lshl_add_u64 v[2:3], v[2:3], 0, s[2:3]
	s_waitcnt vmcnt(0)
	v_cvt_f32_f16_e32 v8, v8
	v_subrev_f32_e32 v8, s22, v8
	v_mul_f32_e32 v8, s23, v8
	v_fma_mixlo_f16 v4, v4, v8, v5
	global_store_short v[6:7], v4, off
	s_andn2_b64 exec, exec, s[6:7]
	s_cbranch_execz .LBB8_8
.LBB8_4:                                ; =>This Inner Loop Header: Depth=1
	s_and_b64 vcc, exec, s[0:1]
	s_cbranch_vccnz .LBB8_6
; %bb.5:                                ;   in Loop: Header=BB8_4 Depth=1
	v_lshl_add_u64 v[4:5], s[16:17], 0, v[2:3]
	global_load_ushort v4, v[4:5], off
	s_waitcnt vmcnt(0)
	v_cvt_f32_f16_e32 v4, v4
	s_and_b64 vcc, exec, s[4:5]
	s_cbranch_vccz .LBB8_2
	s_branch .LBB8_7
.LBB8_6:                                ;   in Loop: Header=BB8_4 Depth=1
	v_mov_b32_e32 v4, 1.0
	s_and_b64 vcc, exec, s[4:5]
	s_cbranch_vccz .LBB8_2
.LBB8_7:                                ;   in Loop: Header=BB8_4 Depth=1
	v_mov_b32_e32 v5, 0
	s_branch .LBB8_3
.LBB8_8:
	s_endpgm
	.section	.rodata,"a",@progbits
	.p2align	6, 0x0
	.amdhsa_kernel _ZN2at6native12_GLOBAL__N_126LayerNormForwardCUDAKernelIN3c104HalfEfLb0EEEvlPKT_PKT0_SA_S7_S7_PS5_
		.amdhsa_group_segment_fixed_size 0
		.amdhsa_private_segment_fixed_size 0
		.amdhsa_kernarg_size 312
		.amdhsa_user_sgpr_count 2
		.amdhsa_user_sgpr_dispatch_ptr 0
		.amdhsa_user_sgpr_queue_ptr 0
		.amdhsa_user_sgpr_kernarg_segment_ptr 1
		.amdhsa_user_sgpr_dispatch_id 0
		.amdhsa_user_sgpr_kernarg_preload_length 0
		.amdhsa_user_sgpr_kernarg_preload_offset 0
		.amdhsa_user_sgpr_private_segment_size 0
		.amdhsa_uses_dynamic_stack 0
		.amdhsa_enable_private_segment 0
		.amdhsa_system_sgpr_workgroup_id_x 1
		.amdhsa_system_sgpr_workgroup_id_y 0
		.amdhsa_system_sgpr_workgroup_id_z 0
		.amdhsa_system_sgpr_workgroup_info 0
		.amdhsa_system_vgpr_workitem_id 0
		.amdhsa_next_free_vgpr 9
		.amdhsa_next_free_sgpr 29
		.amdhsa_accum_offset 12
		.amdhsa_reserve_vcc 1
		.amdhsa_float_round_mode_32 0
		.amdhsa_float_round_mode_16_64 0
		.amdhsa_float_denorm_mode_32 3
		.amdhsa_float_denorm_mode_16_64 3
		.amdhsa_dx10_clamp 1
		.amdhsa_ieee_mode 1
		.amdhsa_fp16_overflow 0
		.amdhsa_tg_split 0
		.amdhsa_exception_fp_ieee_invalid_op 0
		.amdhsa_exception_fp_denorm_src 0
		.amdhsa_exception_fp_ieee_div_zero 0
		.amdhsa_exception_fp_ieee_overflow 0
		.amdhsa_exception_fp_ieee_underflow 0
		.amdhsa_exception_fp_ieee_inexact 0
		.amdhsa_exception_int_div_zero 0
	.end_amdhsa_kernel
	.section	.text._ZN2at6native12_GLOBAL__N_126LayerNormForwardCUDAKernelIN3c104HalfEfLb0EEEvlPKT_PKT0_SA_S7_S7_PS5_,"axG",@progbits,_ZN2at6native12_GLOBAL__N_126LayerNormForwardCUDAKernelIN3c104HalfEfLb0EEEvlPKT_PKT0_SA_S7_S7_PS5_,comdat
.Lfunc_end8:
	.size	_ZN2at6native12_GLOBAL__N_126LayerNormForwardCUDAKernelIN3c104HalfEfLb0EEEvlPKT_PKT0_SA_S7_S7_PS5_, .Lfunc_end8-_ZN2at6native12_GLOBAL__N_126LayerNormForwardCUDAKernelIN3c104HalfEfLb0EEEvlPKT_PKT0_SA_S7_S7_PS5_
                                        ; -- End function
	.set _ZN2at6native12_GLOBAL__N_126LayerNormForwardCUDAKernelIN3c104HalfEfLb0EEEvlPKT_PKT0_SA_S7_S7_PS5_.num_vgpr, 9
	.set _ZN2at6native12_GLOBAL__N_126LayerNormForwardCUDAKernelIN3c104HalfEfLb0EEEvlPKT_PKT0_SA_S7_S7_PS5_.num_agpr, 0
	.set _ZN2at6native12_GLOBAL__N_126LayerNormForwardCUDAKernelIN3c104HalfEfLb0EEEvlPKT_PKT0_SA_S7_S7_PS5_.numbered_sgpr, 29
	.set _ZN2at6native12_GLOBAL__N_126LayerNormForwardCUDAKernelIN3c104HalfEfLb0EEEvlPKT_PKT0_SA_S7_S7_PS5_.num_named_barrier, 0
	.set _ZN2at6native12_GLOBAL__N_126LayerNormForwardCUDAKernelIN3c104HalfEfLb0EEEvlPKT_PKT0_SA_S7_S7_PS5_.private_seg_size, 0
	.set _ZN2at6native12_GLOBAL__N_126LayerNormForwardCUDAKernelIN3c104HalfEfLb0EEEvlPKT_PKT0_SA_S7_S7_PS5_.uses_vcc, 1
	.set _ZN2at6native12_GLOBAL__N_126LayerNormForwardCUDAKernelIN3c104HalfEfLb0EEEvlPKT_PKT0_SA_S7_S7_PS5_.uses_flat_scratch, 0
	.set _ZN2at6native12_GLOBAL__N_126LayerNormForwardCUDAKernelIN3c104HalfEfLb0EEEvlPKT_PKT0_SA_S7_S7_PS5_.has_dyn_sized_stack, 0
	.set _ZN2at6native12_GLOBAL__N_126LayerNormForwardCUDAKernelIN3c104HalfEfLb0EEEvlPKT_PKT0_SA_S7_S7_PS5_.has_recursion, 0
	.set _ZN2at6native12_GLOBAL__N_126LayerNormForwardCUDAKernelIN3c104HalfEfLb0EEEvlPKT_PKT0_SA_S7_S7_PS5_.has_indirect_call, 0
	.section	.AMDGPU.csdata,"",@progbits
; Kernel info:
; codeLenInByte = 388
; TotalNumSgprs: 35
; NumVgprs: 9
; NumAgprs: 0
; TotalNumVgprs: 9
; ScratchSize: 0
; MemoryBound: 0
; FloatMode: 240
; IeeeMode: 1
; LDSByteSize: 0 bytes/workgroup (compile time only)
; SGPRBlocks: 4
; VGPRBlocks: 1
; NumSGPRsForWavesPerEU: 35
; NumVGPRsForWavesPerEU: 9
; AccumOffset: 12
; Occupancy: 8
; WaveLimiterHint : 0
; COMPUTE_PGM_RSRC2:SCRATCH_EN: 0
; COMPUTE_PGM_RSRC2:USER_SGPR: 2
; COMPUTE_PGM_RSRC2:TRAP_HANDLER: 0
; COMPUTE_PGM_RSRC2:TGID_X_EN: 1
; COMPUTE_PGM_RSRC2:TGID_Y_EN: 0
; COMPUTE_PGM_RSRC2:TGID_Z_EN: 0
; COMPUTE_PGM_RSRC2:TIDIG_COMP_CNT: 0
; COMPUTE_PGM_RSRC3_GFX90A:ACCUM_OFFSET: 2
; COMPUTE_PGM_RSRC3_GFX90A:TG_SPLIT: 0
	.section	.text._ZN2at6native12_GLOBAL__N_128vectorized_layer_norm_kernelIN3c108BFloat16EfLb0EEEviT0_PKT_S8_S8_PS5_S9_PS6_,"axG",@progbits,_ZN2at6native12_GLOBAL__N_128vectorized_layer_norm_kernelIN3c108BFloat16EfLb0EEEviT0_PKT_S8_S8_PS5_S9_PS6_,comdat
	.globl	_ZN2at6native12_GLOBAL__N_128vectorized_layer_norm_kernelIN3c108BFloat16EfLb0EEEviT0_PKT_S8_S8_PS5_S9_PS6_ ; -- Begin function _ZN2at6native12_GLOBAL__N_128vectorized_layer_norm_kernelIN3c108BFloat16EfLb0EEEviT0_PKT_S8_S8_PS5_S9_PS6_
	.p2align	8
	.type	_ZN2at6native12_GLOBAL__N_128vectorized_layer_norm_kernelIN3c108BFloat16EfLb0EEEviT0_PKT_S8_S8_PS5_S9_PS6_,@function
_ZN2at6native12_GLOBAL__N_128vectorized_layer_norm_kernelIN3c108BFloat16EfLb0EEEviT0_PKT_S8_S8_PS5_S9_PS6_: ; @_ZN2at6native12_GLOBAL__N_128vectorized_layer_norm_kernelIN3c108BFloat16EfLb0EEEviT0_PKT_S8_S8_PS5_S9_PS6_
; %bb.0:
	s_load_dwordx4 s[16:19], s[0:1], 0x0
	s_load_dword s4, s[0:1], 0x44
	v_and_b32_e32 v9, 0x3ff, v0
	v_bfe_u32 v15, v0, 10, 10
	s_mov_b32 s3, 0
	s_waitcnt lgkmcnt(0)
	s_ashr_i32 s5, s16, 31
	s_lshr_b32 s26, s4, 16
	s_and_b32 s4, s4, 0xffff
	s_mul_i32 s20, s26, s4
	v_mul_u32_u24_e32 v0, s4, v15
	v_mad_u32_u24 v14, v15, s4, v9
	s_lshr_b32 s4, s5, 30
	s_add_i32 s4, s16, s4
	s_mul_hi_u32 s6, s16, s2
	s_mul_i32 s7, s5, s2
	s_ashr_i32 s30, s4, 2
	s_add_i32 s23, s6, s7
	s_mul_i32 s22, s16, s2
	v_cmp_gt_i32_e64 s[4:5], s30, v14
	v_mov_b32_e32 v1, 0
	v_add_lshl_u32 v0, v0, v9, 3
	v_mov_b32_e32 v10, 0
	v_mov_b32_e32 v11, 0
	s_and_saveexec_b64 s[12:13], s[4:5]
	s_cbranch_execz .LBB9_4
; %bb.1:
	s_lshl_b64 s[6:7], s[22:23], 1
	s_add_u32 s6, s18, s6
	v_mov_b32_e32 v1, 0
	s_addc_u32 s7, s19, s7
	s_ashr_i32 s21, s20, 31
	v_lshl_add_u64 v[2:3], s[6:7], 0, v[0:1]
	s_lshl_b64 s[24:25], s[20:21], 3
	s_mov_b64 s[14:15], 0
	v_mov_b32_e32 v6, v14
	v_mov_b32_e32 v10, v1
	;; [unrolled: 1-line block ×3, first 2 shown]
.LBB9_2:                                ; =>This Inner Loop Header: Depth=1
	global_load_dwordx2 v[4:5], v[2:3], off
	v_add_f32_e32 v7, 1.0, v1
	v_add_u32_e32 v6, s20, v6
	v_div_scale_f32 v8, s[6:7], v7, v7, 1.0
	v_add_f32_e32 v13, 1.0, v7
	v_cmp_le_i32_e64 s[6:7], s30, v6
	v_rcp_f32_e32 v16, v8
	v_div_scale_f32 v17, s[8:9], v13, v13, 1.0
	v_add_f32_e32 v19, 1.0, v13
	s_or_b64 s[14:15], s[6:7], s[14:15]
	v_rcp_f32_e32 v20, v17
	v_div_scale_f32 v21, s[6:7], v19, v19, 1.0
	v_add_f32_e32 v1, 1.0, v19
	v_rcp_f32_e32 v23, v21
	v_div_scale_f32 v24, s[10:11], v1, v1, 1.0
	v_rcp_f32_e32 v26, v24
	v_fma_f32 v27, -v8, v16, 1.0
	v_div_scale_f32 v12, vcc, 1.0, v7, 1.0
	v_fmac_f32_e32 v16, v27, v16
	v_fma_f32 v27, -v17, v20, 1.0
	v_div_scale_f32 v18, s[8:9], 1.0, v13, 1.0
	v_mul_f32_e32 v28, v12, v16
	v_fmac_f32_e32 v20, v27, v20
	v_fma_f32 v27, -v21, v23, 1.0
	v_div_scale_f32 v22, s[6:7], 1.0, v19, 1.0
	v_fma_f32 v29, -v8, v28, v12
	v_mul_f32_e32 v30, v18, v20
	v_fmac_f32_e32 v23, v27, v23
	v_fma_f32 v27, -v24, v26, 1.0
	v_fmac_f32_e32 v28, v29, v16
	v_fma_f32 v29, -v17, v30, v18
	v_mul_f32_e32 v31, v22, v23
	v_div_scale_f32 v25, s[10:11], 1.0, v1, 1.0
	v_fmac_f32_e32 v26, v27, v26
	v_fma_f32 v8, -v8, v28, v12
	v_fmac_f32_e32 v30, v29, v20
	v_fma_f32 v12, -v21, v31, v22
	v_mul_f32_e32 v27, v25, v26
	v_div_fmas_f32 v8, v8, v16, v28
	v_fma_f32 v16, -v17, v30, v18
	v_fmac_f32_e32 v31, v12, v23
	s_mov_b64 vcc, s[8:9]
	v_fma_f32 v12, -v24, v27, v25
	v_div_fixup_f32 v7, v8, v7, 1.0
	v_div_fmas_f32 v8, v16, v20, v30
	v_fma_f32 v16, -v21, v31, v22
	s_mov_b64 vcc, s[6:7]
	v_fmac_f32_e32 v27, v12, v26
	v_div_fmas_f32 v12, v16, v23, v31
	v_div_fixup_f32 v8, v8, v13, 1.0
	v_fma_f32 v13, -v24, v27, v25
	v_div_fixup_f32 v12, v12, v19, 1.0
	s_mov_b64 vcc, s[10:11]
	v_div_fmas_f32 v13, v13, v26, v27
	v_div_fixup_f32 v13, v13, v1, 1.0
	v_lshl_add_u64 v[2:3], v[2:3], 0, s[24:25]
	s_waitcnt vmcnt(0)
	v_lshlrev_b32_e32 v17, 16, v4
	v_sub_f32_e32 v18, v17, v11
	v_and_b32_e32 v16, 0xffff0000, v4
	v_fmac_f32_e32 v11, v7, v18
	v_alignbit_b32 v4, v5, v4, 16
	v_sub_f32_e32 v7, v17, v11
	v_sub_f32_e32 v17, v16, v11
	v_and_b32_e32 v4, 0xffff0000, v4
	v_fmac_f32_e32 v11, v8, v17
	v_sub_f32_e32 v8, v4, v11
	v_and_b32_e32 v5, 0xffff0000, v5
	v_fmac_f32_e32 v10, v18, v7
	v_sub_f32_e32 v7, v16, v11
	v_fmac_f32_e32 v11, v12, v8
	v_fmac_f32_e32 v10, v17, v7
	v_sub_f32_e32 v7, v5, v11
	v_sub_f32_e32 v4, v4, v11
	v_fmac_f32_e32 v11, v13, v7
	v_fmac_f32_e32 v10, v8, v4
	v_sub_f32_e32 v4, v5, v11
	v_fmac_f32_e32 v10, v7, v4
	s_andn2_b64 exec, exec, s[14:15]
	s_cbranch_execnz .LBB9_2
; %bb.3:
	s_or_b64 exec, exec, s[14:15]
.LBB9_4:
	s_or_b64 exec, exec, s[12:13]
	v_mbcnt_lo_u32_b32 v2, -1, 0
	v_mbcnt_hi_u32_b32 v17, -1, v2
	v_lshlrev_b32_e32 v16, 2, v17
	v_or_b32_e32 v2, 0x80, v16
	ds_bpermute_b32 v8, v2, v1
	ds_bpermute_b32 v6, v2, v11
	;; [unrolled: 1-line block ×3, first 2 shown]
	v_mov_b32_e32 v4, 0
	v_mov_b32_e32 v2, 0
	s_waitcnt lgkmcnt(2)
	v_add_f32_e32 v13, v1, v8
	v_cmp_lt_f32_e32 vcc, 0, v13
	v_mov_b32_e32 v3, 0
	s_and_saveexec_b64 s[6:7], vcc
	s_cbranch_execz .LBB9_6
; %bb.5:
	v_div_scale_f32 v2, s[8:9], v13, v13, 1.0
	v_rcp_f32_e32 v3, v2
	s_waitcnt lgkmcnt(1)
	v_sub_f32_e32 v12, v11, v6
	v_fma_f32 v7, -v2, v3, 1.0
	v_fmac_f32_e32 v3, v7, v3
	v_div_scale_f32 v7, vcc, 1.0, v13, 1.0
	v_mul_f32_e32 v18, v7, v3
	v_fma_f32 v19, -v2, v18, v7
	v_fmac_f32_e32 v18, v19, v3
	v_fma_f32 v2, -v2, v18, v7
	v_div_fmas_f32 v2, v2, v3, v18
	v_div_fixup_f32 v2, v2, v13, 1.0
	v_mul_f32_e32 v7, v1, v2
	v_mul_f32_e32 v3, v12, v12
	v_mul_f32_e32 v18, v11, v7
	s_waitcnt lgkmcnt(0)
	v_add_f32_e32 v19, v10, v5
	v_pk_mul_f32 v[2:3], v[2:3], v[8:9] op_sel_hi:[1,0]
	s_nop 0
	v_pk_fma_f32 v[2:3], v[2:3], v[6:7], v[18:19]
.LBB9_6:
	s_or_b64 exec, exec, s[6:7]
	v_and_b32_e32 v1, 63, v17
	v_cmp_gt_u32_e32 vcc, 48, v1
	s_waitcnt lgkmcnt(0)
	s_nop 0
	v_cndmask_b32_e64 v5, 0, 16, vcc
	v_add_lshl_u32 v5, v5, v17, 2
	ds_bpermute_b32 v8, v5, v13
	ds_bpermute_b32 v6, v5, v2
	;; [unrolled: 1-line block ×3, first 2 shown]
	v_mov_b32_e32 v5, 0
	s_waitcnt lgkmcnt(2)
	v_add_f32_e32 v12, v13, v8
	v_cmp_lt_f32_e32 vcc, 0, v12
	s_and_saveexec_b64 s[6:7], vcc
	s_cbranch_execz .LBB9_8
; %bb.7:
	v_div_scale_f32 v4, s[8:9], v12, v12, 1.0
	v_rcp_f32_e32 v5, v4
	s_waitcnt lgkmcnt(1)
	v_sub_f32_e32 v7, v2, v6
	v_fma_f32 v10, -v4, v5, 1.0
	v_fmac_f32_e32 v5, v10, v5
	v_div_scale_f32 v10, vcc, 1.0, v12, 1.0
	v_mul_f32_e32 v18, v10, v5
	v_fma_f32 v19, -v4, v18, v10
	v_fmac_f32_e32 v18, v19, v5
	v_fma_f32 v4, -v4, v18, v10
	v_div_fmas_f32 v4, v4, v5, v18
	v_div_fixup_f32 v4, v4, v12, 1.0
	v_mul_f32_e32 v10, v13, v4
	s_waitcnt lgkmcnt(0)
	v_pk_mul_f32 v[18:19], v[2:3], v[10:11]
	v_pk_add_f32 v[2:3], v[2:3], v[10:11]
	v_mul_f32_e32 v5, v7, v7
	v_mov_b32_e32 v19, v3
	v_pk_mul_f32 v[2:3], v[4:5], v[8:9] op_sel_hi:[1,0]
	v_mov_b32_e32 v7, v10
	v_pk_fma_f32 v[4:5], v[2:3], v[6:7], v[18:19]
.LBB9_8:
	s_or_b64 exec, exec, s[6:7]
	v_cmp_gt_u32_e32 vcc, 56, v1
	s_waitcnt lgkmcnt(1)
	v_mov_b32_e32 v6, 0
	v_mov_b32_e32 v7, 0
	v_cndmask_b32_e64 v2, 0, 8, vcc
	v_add_lshl_u32 v3, v2, v17, 2
	ds_bpermute_b32 v8, v3, v12
	ds_bpermute_b32 v10, v3, v4
	;; [unrolled: 1-line block ×3, first 2 shown]
	v_mov_b32_e32 v2, 0
	s_waitcnt lgkmcnt(2)
	v_add_f32_e32 v18, v12, v8
	v_cmp_lt_f32_e32 vcc, 0, v18
	s_and_saveexec_b64 s[6:7], vcc
	s_cbranch_execz .LBB9_10
; %bb.9:
	v_div_scale_f32 v3, s[8:9], v18, v18, 1.0
	v_rcp_f32_e32 v6, v3
	s_waitcnt lgkmcnt(1)
	v_sub_f32_e32 v7, v4, v10
	v_mul_f32_e32 v7, v7, v7
	v_fma_f32 v11, -v3, v6, 1.0
	v_fmac_f32_e32 v6, v11, v6
	v_div_scale_f32 v11, vcc, 1.0, v18, 1.0
	v_mul_f32_e32 v19, v11, v6
	v_fma_f32 v20, -v3, v19, v11
	v_fmac_f32_e32 v19, v20, v6
	v_fma_f32 v3, -v3, v19, v11
	v_div_fmas_f32 v3, v3, v6, v19
	v_div_fixup_f32 v6, v3, v18, 1.0
	v_mul_f32_e32 v12, v12, v6
	s_waitcnt lgkmcnt(0)
	v_pk_mul_f32 v[20:21], v[4:5], v[12:13]
	v_pk_add_f32 v[4:5], v[4:5], v[12:13]
	v_mov_b32_e32 v11, v12
	v_mov_b32_e32 v21, v5
	v_pk_mul_f32 v[4:5], v[6:7], v[8:9] op_sel_hi:[1,0]
	s_nop 0
	v_pk_fma_f32 v[6:7], v[4:5], v[10:11], v[20:21]
.LBB9_10:
	s_or_b64 exec, exec, s[6:7]
	v_cmp_gt_u32_e32 vcc, 60, v1
	s_nop 1
	v_cndmask_b32_e64 v3, 0, 4, vcc
	v_add_lshl_u32 v3, v3, v17, 2
	ds_bpermute_b32 v8, v3, v18
	ds_bpermute_b32 v4, v3, v6
	;; [unrolled: 1-line block ×3, first 2 shown]
	v_mov_b32_e32 v3, 0
	s_waitcnt lgkmcnt(2)
	v_add_f32_e32 v12, v18, v8
	v_cmp_lt_f32_e32 vcc, 0, v12
	s_and_saveexec_b64 s[6:7], vcc
	s_cbranch_execz .LBB9_12
; %bb.11:
	v_div_scale_f32 v2, s[8:9], v12, v12, 1.0
	v_rcp_f32_e32 v3, v2
	s_waitcnt lgkmcnt(1)
	v_sub_f32_e32 v5, v6, v4
	v_fma_f32 v10, -v2, v3, 1.0
	v_fmac_f32_e32 v3, v10, v3
	v_div_scale_f32 v10, vcc, 1.0, v12, 1.0
	v_mul_f32_e32 v13, v10, v3
	v_fma_f32 v19, -v2, v13, v10
	v_fmac_f32_e32 v13, v19, v3
	v_fma_f32 v2, -v2, v13, v10
	v_div_fmas_f32 v2, v2, v3, v13
	v_div_fixup_f32 v2, v2, v12, 1.0
	v_mul_f32_e32 v10, v18, v2
	s_waitcnt lgkmcnt(0)
	v_pk_mul_f32 v[18:19], v[6:7], v[10:11]
	v_pk_add_f32 v[6:7], v[6:7], v[10:11]
	v_mul_f32_e32 v3, v5, v5
	v_mov_b32_e32 v19, v7
	v_pk_mul_f32 v[2:3], v[2:3], v[8:9] op_sel_hi:[1,0]
	v_mov_b32_e32 v5, v10
	v_pk_fma_f32 v[2:3], v[2:3], v[4:5], v[18:19]
.LBB9_12:
	s_or_b64 exec, exec, s[6:7]
	v_cmp_gt_u32_e32 vcc, 62, v1
	v_mov_b32_e32 v6, 0
	v_mov_b32_e32 v7, 0
	s_waitcnt lgkmcnt(1)
	v_cndmask_b32_e64 v4, 0, 2, vcc
	v_add_lshl_u32 v5, v4, v17, 2
	ds_bpermute_b32 v8, v5, v12
	ds_bpermute_b32 v10, v5, v2
	ds_bpermute_b32 v13, v5, v3
	v_mov_b32_e32 v4, 0
	s_waitcnt lgkmcnt(2)
	v_add_f32_e32 v18, v12, v8
	v_cmp_lt_f32_e32 vcc, 0, v18
	s_and_saveexec_b64 s[6:7], vcc
	s_cbranch_execz .LBB9_14
; %bb.13:
	v_div_scale_f32 v5, s[8:9], v18, v18, 1.0
	v_rcp_f32_e32 v6, v5
	s_waitcnt lgkmcnt(1)
	v_sub_f32_e32 v7, v2, v10
	v_mul_f32_e32 v7, v7, v7
	v_fma_f32 v11, -v5, v6, 1.0
	v_fmac_f32_e32 v6, v11, v6
	v_div_scale_f32 v11, vcc, 1.0, v18, 1.0
	v_mul_f32_e32 v19, v11, v6
	v_fma_f32 v20, -v5, v19, v11
	v_fmac_f32_e32 v19, v20, v6
	v_fma_f32 v5, -v5, v19, v11
	v_div_fmas_f32 v5, v5, v6, v19
	v_div_fixup_f32 v6, v5, v18, 1.0
	v_mul_f32_e32 v12, v12, v6
	s_waitcnt lgkmcnt(0)
	v_pk_mul_f32 v[20:21], v[2:3], v[12:13]
	v_pk_add_f32 v[2:3], v[2:3], v[12:13]
	v_mov_b32_e32 v11, v12
	v_mov_b32_e32 v21, v3
	v_pk_mul_f32 v[2:3], v[6:7], v[8:9] op_sel_hi:[1,0]
	s_nop 0
	v_pk_fma_f32 v[6:7], v[2:3], v[10:11], v[20:21]
.LBB9_14:
	s_or_b64 exec, exec, s[6:7]
	v_cmp_ne_u32_e32 vcc, 63, v1
	v_mov_b32_e32 v5, 0
	s_nop 0
	v_addc_co_u32_e32 v1, vcc, 0, v17, vcc
	v_lshlrev_b32_e32 v1, 2, v1
	ds_bpermute_b32 v8, v1, v18
	ds_bpermute_b32 v2, v1, v6
	;; [unrolled: 1-line block ×3, first 2 shown]
	s_waitcnt lgkmcnt(2)
	v_add_f32_e32 v1, v18, v8
	v_cmp_lt_f32_e32 vcc, 0, v1
	s_and_saveexec_b64 s[6:7], vcc
	s_cbranch_execz .LBB9_16
; %bb.15:
	v_div_scale_f32 v3, s[8:9], v1, v1, 1.0
	v_rcp_f32_e32 v4, v3
	s_waitcnt lgkmcnt(1)
	v_sub_f32_e32 v5, v6, v2
	v_mul_f32_e32 v5, v5, v5
	v_fma_f32 v10, -v3, v4, 1.0
	v_fmac_f32_e32 v4, v10, v4
	v_div_scale_f32 v10, vcc, 1.0, v1, 1.0
	v_mul_f32_e32 v12, v10, v4
	v_fma_f32 v13, -v3, v12, v10
	v_fmac_f32_e32 v12, v13, v4
	v_fma_f32 v3, -v3, v12, v10
	v_div_fmas_f32 v3, v3, v4, v12
	v_div_fixup_f32 v4, v3, v1, 1.0
	v_mul_f32_e32 v10, v18, v4
	s_waitcnt lgkmcnt(0)
	v_pk_mul_f32 v[12:13], v[6:7], v[10:11]
	v_pk_add_f32 v[6:7], v[6:7], v[10:11]
	v_pk_mul_f32 v[4:5], v[4:5], v[8:9] op_sel_hi:[1,0]
	v_mov_b32_e32 v13, v7
	v_mov_b32_e32 v3, v10
	v_pk_fma_f32 v[4:5], v[4:5], v[2:3], v[12:13]
.LBB9_16:
	s_or_b64 exec, exec, s[6:7]
	s_cmp_lt_u32 s26, 2
	s_cbranch_scc0 .LBB9_18
; %bb.17:
	s_waitcnt lgkmcnt(1)
	v_and_b32_e32 v2, 0x100, v16
	ds_bpermute_b32 v3, v2, v5
	v_cvt_f32_i32_e32 v6, s16
	ds_bpermute_b32 v2, v2, v4
	s_waitcnt lgkmcnt(1)
	v_div_scale_f32 v7, s[6:7], v6, v6, v3
	v_rcp_f32_e32 v8, v7
	v_div_scale_f32 v10, vcc, v3, v6, v3
	v_fma_f32 v11, -v7, v8, 1.0
	v_fmac_f32_e32 v8, v11, v8
	v_mul_f32_e32 v11, v10, v8
	v_fma_f32 v12, -v7, v11, v10
	v_fmac_f32_e32 v11, v12, v8
	v_fma_f32 v7, -v7, v11, v10
	v_div_fmas_f32 v7, v7, v8, v11
	v_div_fixup_f32 v3, v7, v6, v3
	s_cbranch_execz .LBB9_19
	s_branch .LBB9_31
.LBB9_18:
                                        ; implicit-def: $vgpr2_vgpr3
.LBB9_19:
	s_lshl_b32 s6, s26, 2
	s_add_i32 s12, s6, 0
	s_waitcnt lgkmcnt(0)
	v_lshlrev_b32_e32 v2, 3, v15
	v_cmp_eq_u32_e64 s[6:7], 0, v9
	v_lshl_add_u32 v6, v15, 2, s12
	v_add_u32_e32 v7, 0, v2
.LBB9_20:                               ; =>This Inner Loop Header: Depth=1
	s_lshr_b32 s13, s26, 1
	v_cmp_le_u32_e32 vcc, s13, v15
	s_and_b32 s10, s26, 0xfffe
	s_and_b64 s[8:9], s[6:7], vcc
	v_cmp_gt_u32_e32 vcc, s10, v15
	s_and_b64 s[10:11], s[8:9], vcc
	s_and_saveexec_b64 s[8:9], s[10:11]
	s_cbranch_execz .LBB9_22
; %bb.21:                               ;   in Loop: Header=BB9_20 Depth=1
	v_subrev_u32_e32 v2, s13, v15
	v_lshl_add_u32 v3, v2, 2, s12
	v_lshl_add_u32 v2, v2, 3, 0
	ds_write2_b32 v2, v4, v5 offset1:1
	ds_write_b32 v3, v1
.LBB9_22:                               ;   in Loop: Header=BB9_20 Depth=1
	s_or_b64 exec, exec, s[8:9]
	v_cmp_gt_u32_e32 vcc, s13, v15
	s_and_b64 s[10:11], s[6:7], vcc
	s_waitcnt lgkmcnt(0)
	s_barrier
	s_and_saveexec_b64 s[8:9], s[10:11]
	s_cbranch_execz .LBB9_26
; %bb.23:                               ;   in Loop: Header=BB9_20 Depth=1
	ds_read_b32 v10, v6
	v_mov_b32_e32 v3, 0
	v_mov_b32_e32 v2, 0
	s_waitcnt lgkmcnt(0)
	v_add_f32_e32 v8, v1, v10
	v_cmp_lt_f32_e32 vcc, 0, v8
	s_and_saveexec_b64 s[10:11], vcc
	s_cbranch_execz .LBB9_25
; %bb.24:                               ;   in Loop: Header=BB9_20 Depth=1
	v_div_scale_f32 v11, s[14:15], v8, v8, 1.0
	v_rcp_f32_e32 v12, v11
	ds_read2_b32 v[2:3], v7 offset1:1
	v_fma_f32 v16, -v11, v12, 1.0
	v_fmac_f32_e32 v12, v16, v12
	v_div_scale_f32 v16, vcc, 1.0, v8, 1.0
	v_mul_f32_e32 v17, v16, v12
	v_fma_f32 v18, -v11, v17, v16
	v_fmac_f32_e32 v17, v18, v12
	v_fma_f32 v11, -v11, v17, v16
	v_div_fmas_f32 v11, v11, v12, v17
	s_waitcnt lgkmcnt(0)
	v_sub_f32_e32 v13, v4, v2
	v_div_fixup_f32 v11, v11, v8, 1.0
	v_mul_f32_e32 v16, v10, v11
	v_mul_f32_e32 v12, v1, v11
	;; [unrolled: 1-line block ×4, first 2 shown]
	v_add_f32_e32 v3, v5, v3
	v_mul_f32_e32 v5, v10, v1
	v_pk_fma_f32 v[2:3], v[4:5], v[12:13], v[2:3] op_sel_hi:[1,0,1]
.LBB9_25:                               ;   in Loop: Header=BB9_20 Depth=1
	s_or_b64 exec, exec, s[10:11]
	v_mov_b32_e32 v1, v8
	v_mov_b32_e32 v4, v2
	;; [unrolled: 1-line block ×3, first 2 shown]
.LBB9_26:                               ;   in Loop: Header=BB9_20 Depth=1
	s_or_b64 exec, exec, s[8:9]
	s_cmp_lt_u32 s26, 4
	s_barrier
	s_cbranch_scc1 .LBB9_28
; %bb.27:                               ;   in Loop: Header=BB9_20 Depth=1
	s_mov_b32 s26, s13
	s_branch .LBB9_20
.LBB9_28:
	v_or_b32_e32 v1, v9, v15
	v_cmp_eq_u32_e32 vcc, 0, v1
	s_and_saveexec_b64 s[6:7], vcc
	s_cbranch_execz .LBB9_30
; %bb.29:
	v_cvt_f32_i32_e32 v1, s16
	v_div_scale_f32 v2, s[8:9], v1, v1, v5
	v_rcp_f32_e32 v3, v2
	v_div_scale_f32 v6, vcc, v5, v1, v5
	v_fma_f32 v7, -v2, v3, 1.0
	v_fmac_f32_e32 v3, v7, v3
	v_mul_f32_e32 v7, v6, v3
	v_fma_f32 v8, -v2, v7, v6
	v_fmac_f32_e32 v7, v8, v3
	v_fma_f32 v2, -v2, v7, v6
	v_div_fmas_f32 v2, v2, v3, v7
	v_div_fixup_f32 v1, v2, v1, v5
	v_mov_b32_e32 v2, 0
	ds_write2_b32 v2, v4, v1 offset1:1
.LBB9_30:
	s_or_b64 exec, exec, s[6:7]
	v_mov_b32_e32 v1, 0
	s_waitcnt lgkmcnt(0)
	s_barrier
	ds_read2_b32 v[2:3], v1 offset1:1
.LBB9_31:
	s_waitcnt lgkmcnt(0)
	v_add_f32_e32 v1, s17, v3
	s_mov_b32 s6, 0x800000
	v_mul_f32_e32 v3, 0x4b800000, v1
	v_cmp_gt_f32_e32 vcc, s6, v1
	s_load_dwordx8 s[8:15], s[0:1], 0x10
	s_nop 0
	v_cndmask_b32_e32 v1, v1, v3, vcc
	v_rsq_f32_e32 v1, v1
	s_load_dwordx2 s[0:1], s[0:1], 0x30
	v_mul_f32_e32 v3, 0x45800000, v1
	v_cndmask_b32_e32 v4, v1, v3, vcc
	s_and_saveexec_b64 s[6:7], s[4:5]
	s_cbranch_execz .LBB9_46
; %bb.32:
	s_waitcnt lgkmcnt(0)
	s_cmp_eq_u64 s[8:9], 0
	s_cselect_b64 s[24:25], -1, 0
	s_cmp_eq_u64 s[10:11], 0
	s_cselect_b64 s[4:5], -1, 0
	s_lshl_b64 s[26:27], s[22:23], 1
	s_add_u32 s22, s0, s26
	s_addc_u32 s23, s1, s27
	s_add_u32 s18, s18, s26
	s_addc_u32 s19, s19, s27
	v_cndmask_b32_e64 v6, 0, 1, s[4:5]
	v_mov_b32_e32 v7, 0
	s_ashr_i32 s21, s20, 31
	s_mov_b64 s[16:17], 0
	s_or_b64 s[26:27], s[24:25], s[4:5]
	v_mov_b32_e32 v5, v4
	v_mov_b32_e32 v3, v2
	;; [unrolled: 1-line block ×3, first 2 shown]
	s_lshl_b64 s[28:29], s[20:21], 3
	s_movk_i32 s21, 0x7fff
	v_cmp_ne_u32_e64 s[0:1], 1, v6
	v_mov_b32_e32 v15, 0x7fc0
	v_mov_b32_e32 v16, 1
	;; [unrolled: 1-line block ×4, first 2 shown]
	s_branch .LBB9_34
.LBB9_33:                               ;   in Loop: Header=BB9_34 Depth=1
	s_add_u32 s18, s18, s28
	v_bfe_u32 v8, v19, 16, 1
	s_addc_u32 s19, s19, s29
	v_add3_u32 v10, v19, v8, s21
	v_lshl_add_u64 v[8:9], s[22:23], 0, v[0:1]
	s_add_u32 s22, s22, s28
	s_addc_u32 s23, s23, s29
	s_add_u32 s8, s8, s28
	s_addc_u32 s9, s9, s29
	v_and_b32_e32 v10, 0xffff0000, v10
	v_cmp_o_f32_e32 vcc, v19, v19
	v_add_u32_e32 v18, s20, v18
	s_add_u32 s10, s10, s28
	v_cndmask_b32_e32 v11, v17, v10, vcc
	v_or_b32_sdwa v13, v7, v13 dst_sel:DWORD dst_unused:UNUSED_PAD src0_sel:DWORD src1_sel:WORD_0
	s_addc_u32 s11, s11, s29
	v_cmp_le_i32_e32 vcc, s30, v18
	v_lshl_or_b32 v10, v12, 16, v6
	v_or_b32_e32 v11, v13, v11
	s_or_b64 s[16:17], vcc, s[16:17]
	global_store_dwordx2 v[8:9], v[10:11], off
	s_andn2_b64 exec, exec, s[16:17]
	s_cbranch_execz .LBB9_46
.LBB9_34:                               ; =>This Inner Loop Header: Depth=1
	v_lshl_add_u64 v[8:9], s[18:19], 0, v[0:1]
	global_load_dwordx2 v[8:9], v[8:9], off
	s_mov_b64 s[4:5], -1
	s_and_b64 vcc, exec, s[26:27]
                                        ; implicit-def: $vgpr12_vgpr13
                                        ; implicit-def: $vgpr19
                                        ; implicit-def: $vgpr6
	s_waitcnt vmcnt(0)
	v_lshrrev_b64 v[10:11], 16, v[8:9]
	s_cbranch_vccz .LBB9_44
; %bb.35:                               ;   in Loop: Header=BB9_34 Depth=1
	s_and_b64 vcc, exec, s[24:25]
                                        ; implicit-def: $vgpr12_vgpr13
                                        ; implicit-def: $vgpr19
                                        ; implicit-def: $vgpr6
	s_cbranch_vccz .LBB9_41
; %bb.36:                               ;   in Loop: Header=BB9_34 Depth=1
	s_and_b64 vcc, exec, s[0:1]
                                        ; implicit-def: $vgpr12_vgpr13
                                        ; implicit-def: $vgpr19
                                        ; implicit-def: $vgpr6
	s_cbranch_vccnz .LBB9_38
; %bb.37:                               ;   in Loop: Header=BB9_34 Depth=1
	v_lshlrev_b32_e32 v6, 16, v8
	v_sub_f32_e32 v6, v6, v2
	v_mul_f32_e32 v6, v4, v6
	v_lshlrev_b32_e32 v13, 16, v9
	v_lshlrev_b32_e32 v12, 16, v10
	v_bfe_u32 v11, v6, 16, 1
	v_pk_add_f32 v[12:13], v[12:13], v[2:3] neg_lo:[0,1] neg_hi:[0,1]
	v_add3_u32 v11, v6, v11, s21
	v_cmp_o_f32_e32 vcc, v6, v6
	v_pk_mul_f32 v[12:13], v[4:5], v[12:13]
	s_mov_b64 s[4:5], 0
	v_cndmask_b32_sdwa v6, v15, v11, vcc dst_sel:DWORD dst_unused:UNUSED_PAD src0_sel:DWORD src1_sel:WORD_1
	v_and_b32_sdwa v11, v13, v16 dst_sel:DWORD dst_unused:UNUSED_PAD src0_sel:WORD_1 src1_sel:DWORD
	v_add3_u32 v11, v13, v11, s21
	v_cmp_o_f32_e32 vcc, v13, v13
	v_and_b32_sdwa v19, v12, v16 dst_sel:DWORD dst_unused:UNUSED_PAD src0_sel:WORD_1 src1_sel:DWORD
	v_add3_u32 v19, v12, v19, s21
	v_cndmask_b32_sdwa v13, v15, v11, vcc dst_sel:DWORD dst_unused:UNUSED_PAD src0_sel:DWORD src1_sel:WORD_1
	v_and_b32_e32 v11, 0xffff0000, v9
	v_cmp_o_f32_e32 vcc, v12, v12
	v_sub_f32_e32 v11, v11, v2
	s_nop 0
	v_cndmask_b32_sdwa v12, v15, v19, vcc dst_sel:DWORD dst_unused:UNUSED_PAD src0_sel:DWORD src1_sel:WORD_1
	v_mul_f32_e32 v19, v4, v11
.LBB9_38:                               ;   in Loop: Header=BB9_34 Depth=1
	s_andn2_b64 vcc, exec, s[4:5]
	s_cbranch_vccnz .LBB9_40
; %bb.39:                               ;   in Loop: Header=BB9_34 Depth=1
	v_lshl_add_u64 v[12:13], s[10:11], 0, v[0:1]
	global_load_dwordx2 v[12:13], v[12:13], off
	v_lshlrev_b32_e32 v6, 16, v8
	v_lshlrev_b32_e32 v21, 16, v9
	;; [unrolled: 1-line block ×3, first 2 shown]
	v_sub_f32_e32 v6, v6, v2
	v_pk_add_f32 v[20:21], v[20:21], v[2:3] neg_lo:[0,1] neg_hi:[0,1]
	v_and_b32_e32 v11, 0xffff0000, v9
	v_sub_f32_e32 v11, v11, v2
	s_waitcnt vmcnt(0)
	v_lshlrev_b32_e32 v24, 16, v12
	v_lshlrev_b32_e32 v23, 16, v13
	v_and_b32_e32 v22, 0xffff0000, v12
	v_and_b32_e32 v19, 0xffff0000, v13
	v_fmac_f32_e32 v24, v4, v6
	v_pk_fma_f32 v[12:13], v[4:5], v[20:21], v[22:23]
	v_bfe_u32 v6, v24, 16, 1
	v_and_b32_sdwa v20, v13, v16 dst_sel:DWORD dst_unused:UNUSED_PAD src0_sel:WORD_1 src1_sel:DWORD
	v_cmp_o_f32_e32 vcc, v13, v13
	v_add3_u32 v6, v24, v6, s21
	v_add3_u32 v13, v13, v20, s21
	v_and_b32_sdwa v21, v12, v16 dst_sel:DWORD dst_unused:UNUSED_PAD src0_sel:WORD_1 src1_sel:DWORD
	v_cmp_o_f32_e64 s[4:5], v12, v12
	v_lshrrev_b32_e32 v6, 16, v6
	v_cndmask_b32_sdwa v13, v15, v13, vcc dst_sel:DWORD dst_unused:UNUSED_PAD src0_sel:DWORD src1_sel:WORD_1
	v_cmp_o_f32_e32 vcc, v24, v24
	v_add3_u32 v12, v12, v21, s21
	v_fmac_f32_e32 v19, v4, v11
	v_cndmask_b32_e32 v6, v15, v6, vcc
	s_mov_b64 vcc, s[4:5]
	v_cndmask_b32_sdwa v12, v15, v12, vcc dst_sel:DWORD dst_unused:UNUSED_PAD src0_sel:DWORD src1_sel:WORD_1
.LBB9_40:                               ;   in Loop: Header=BB9_34 Depth=1
	s_mov_b64 s[4:5], 0
.LBB9_41:                               ;   in Loop: Header=BB9_34 Depth=1
	s_andn2_b64 vcc, exec, s[4:5]
	s_cbranch_vccnz .LBB9_43
; %bb.42:                               ;   in Loop: Header=BB9_34 Depth=1
	v_lshl_add_u64 v[12:13], s[8:9], 0, v[0:1]
	global_load_dwordx2 v[12:13], v[12:13], off
	v_lshlrev_b32_e32 v6, 16, v8
	v_lshlrev_b32_e32 v21, 16, v9
	;; [unrolled: 1-line block ×3, first 2 shown]
	v_sub_f32_e32 v6, v6, v2
	v_pk_add_f32 v[20:21], v[20:21], v[2:3] neg_lo:[0,1] neg_hi:[0,1]
	v_mul_f32_e32 v6, v4, v6
	v_pk_mul_f32 v[20:21], v[4:5], v[20:21]
	v_and_b32_e32 v11, 0xffff0000, v9
	v_sub_f32_e32 v11, v11, v2
	v_mul_f32_e32 v11, v4, v11
	s_waitcnt vmcnt(0)
	v_lshlrev_b32_e32 v19, 16, v12
	v_lshlrev_b32_e32 v23, 16, v13
	v_and_b32_e32 v22, 0xffff0000, v12
	v_and_b32_e32 v24, 0xffff0000, v13
	v_mul_f32_e32 v6, v6, v19
	v_pk_mul_f32 v[12:13], v[20:21], v[22:23]
	v_bfe_u32 v19, v6, 16, 1
	v_and_b32_sdwa v20, v13, v16 dst_sel:DWORD dst_unused:UNUSED_PAD src0_sel:WORD_1 src1_sel:DWORD
	v_cmp_o_f32_e32 vcc, v13, v13
	v_add3_u32 v19, v6, v19, s21
	v_add3_u32 v13, v13, v20, s21
	v_and_b32_sdwa v21, v12, v16 dst_sel:DWORD dst_unused:UNUSED_PAD src0_sel:WORD_1 src1_sel:DWORD
	v_cmp_o_f32_e64 s[4:5], v12, v12
	v_lshrrev_b32_e32 v19, 16, v19
	v_cndmask_b32_sdwa v13, v15, v13, vcc dst_sel:DWORD dst_unused:UNUSED_PAD src0_sel:DWORD src1_sel:WORD_1
	v_cmp_o_f32_e32 vcc, v6, v6
	v_add3_u32 v12, v12, v21, s21
	s_nop 0
	v_cndmask_b32_e32 v6, v15, v19, vcc
	s_mov_b64 vcc, s[4:5]
	v_cndmask_b32_sdwa v12, v15, v12, vcc dst_sel:DWORD dst_unused:UNUSED_PAD src0_sel:DWORD src1_sel:WORD_1
	v_mul_f32_e32 v19, v11, v24
.LBB9_43:                               ;   in Loop: Header=BB9_34 Depth=1
	s_mov_b64 s[4:5], 0
.LBB9_44:                               ;   in Loop: Header=BB9_34 Depth=1
	s_andn2_b64 vcc, exec, s[4:5]
	s_cbranch_vccnz .LBB9_33
; %bb.45:                               ;   in Loop: Header=BB9_34 Depth=1
	v_lshl_add_u64 v[12:13], s[8:9], 0, v[0:1]
	v_lshl_add_u64 v[20:21], s[10:11], 0, v[0:1]
	global_load_dwordx2 v[22:23], v[12:13], off
	global_load_dwordx2 v[24:25], v[20:21], off
	v_lshlrev_b32_e32 v6, 16, v8
	v_lshlrev_b32_e32 v11, 16, v9
	;; [unrolled: 1-line block ×3, first 2 shown]
	v_and_b32_e32 v12, 0xffff0000, v9
	v_sub_f32_e32 v6, v6, v2
	v_pk_add_f32 v[8:9], v[10:11], v[2:3] neg_lo:[0,1] neg_hi:[0,1]
	v_sub_f32_e32 v10, v12, v2
	v_mul_f32_e32 v6, v4, v6
	v_pk_mul_f32 v[8:9], v[4:5], v[8:9]
	v_mul_f32_e32 v20, v4, v10
	s_waitcnt vmcnt(1)
	v_lshlrev_b32_e32 v21, 16, v22
	s_waitcnt vmcnt(0)
	v_lshlrev_b32_e32 v26, 16, v24
	v_lshlrev_b32_e32 v11, 16, v23
	v_and_b32_e32 v10, 0xffff0000, v22
	v_lshlrev_b32_e32 v13, 16, v25
	v_and_b32_e32 v12, 0xffff0000, v24
	v_fmac_f32_e32 v26, v6, v21
	v_pk_fma_f32 v[8:9], v[8:9], v[10:11], v[12:13]
	v_bfe_u32 v6, v26, 16, 1
	v_and_b32_sdwa v10, v9, v16 dst_sel:DWORD dst_unused:UNUSED_PAD src0_sel:WORD_1 src1_sel:DWORD
	v_cmp_o_f32_e32 vcc, v9, v9
	v_add3_u32 v6, v26, v6, s21
	v_add3_u32 v9, v9, v10, s21
	v_and_b32_sdwa v11, v8, v16 dst_sel:DWORD dst_unused:UNUSED_PAD src0_sel:WORD_1 src1_sel:DWORD
	v_cmp_o_f32_e64 s[4:5], v8, v8
	v_lshrrev_b32_e32 v6, 16, v6
	v_cndmask_b32_sdwa v13, v15, v9, vcc dst_sel:DWORD dst_unused:UNUSED_PAD src0_sel:DWORD src1_sel:WORD_1
	v_cmp_o_f32_e32 vcc, v26, v26
	v_and_b32_e32 v22, 0xffff0000, v23
	v_and_b32_e32 v19, 0xffff0000, v25
	v_add3_u32 v8, v8, v11, s21
	v_cndmask_b32_e32 v6, v15, v6, vcc
	s_mov_b64 vcc, s[4:5]
	v_cndmask_b32_sdwa v12, v15, v8, vcc dst_sel:DWORD dst_unused:UNUSED_PAD src0_sel:DWORD src1_sel:WORD_1
	v_fmac_f32_e32 v19, v20, v22
	s_branch .LBB9_33
.LBB9_46:
	s_or_b64 exec, exec, s[6:7]
	v_cmp_eq_u32_e32 vcc, 0, v14
	s_waitcnt lgkmcnt(0)
	s_and_saveexec_b64 s[0:1], vcc
	s_cbranch_execz .LBB9_48
; %bb.47:
	s_lshl_b64 s[0:1], s[2:3], 2
	s_add_u32 s2, s12, s0
	s_addc_u32 s3, s13, s1
	v_mov_b32_e32 v0, 0
	s_add_u32 s0, s14, s0
	s_addc_u32 s1, s15, s1
	global_store_dword v0, v2, s[2:3]
	global_store_dword v0, v4, s[0:1]
.LBB9_48:
	s_endpgm
	.section	.rodata,"a",@progbits
	.p2align	6, 0x0
	.amdhsa_kernel _ZN2at6native12_GLOBAL__N_128vectorized_layer_norm_kernelIN3c108BFloat16EfLb0EEEviT0_PKT_S8_S8_PS5_S9_PS6_
		.amdhsa_group_segment_fixed_size 0
		.amdhsa_private_segment_fixed_size 0
		.amdhsa_kernarg_size 312
		.amdhsa_user_sgpr_count 2
		.amdhsa_user_sgpr_dispatch_ptr 0
		.amdhsa_user_sgpr_queue_ptr 0
		.amdhsa_user_sgpr_kernarg_segment_ptr 1
		.amdhsa_user_sgpr_dispatch_id 0
		.amdhsa_user_sgpr_kernarg_preload_length 0
		.amdhsa_user_sgpr_kernarg_preload_offset 0
		.amdhsa_user_sgpr_private_segment_size 0
		.amdhsa_uses_dynamic_stack 0
		.amdhsa_enable_private_segment 0
		.amdhsa_system_sgpr_workgroup_id_x 1
		.amdhsa_system_sgpr_workgroup_id_y 0
		.amdhsa_system_sgpr_workgroup_id_z 0
		.amdhsa_system_sgpr_workgroup_info 0
		.amdhsa_system_vgpr_workitem_id 1
		.amdhsa_next_free_vgpr 32
		.amdhsa_next_free_sgpr 31
		.amdhsa_accum_offset 32
		.amdhsa_reserve_vcc 1
		.amdhsa_float_round_mode_32 0
		.amdhsa_float_round_mode_16_64 0
		.amdhsa_float_denorm_mode_32 3
		.amdhsa_float_denorm_mode_16_64 3
		.amdhsa_dx10_clamp 1
		.amdhsa_ieee_mode 1
		.amdhsa_fp16_overflow 0
		.amdhsa_tg_split 0
		.amdhsa_exception_fp_ieee_invalid_op 0
		.amdhsa_exception_fp_denorm_src 0
		.amdhsa_exception_fp_ieee_div_zero 0
		.amdhsa_exception_fp_ieee_overflow 0
		.amdhsa_exception_fp_ieee_underflow 0
		.amdhsa_exception_fp_ieee_inexact 0
		.amdhsa_exception_int_div_zero 0
	.end_amdhsa_kernel
	.section	.text._ZN2at6native12_GLOBAL__N_128vectorized_layer_norm_kernelIN3c108BFloat16EfLb0EEEviT0_PKT_S8_S8_PS5_S9_PS6_,"axG",@progbits,_ZN2at6native12_GLOBAL__N_128vectorized_layer_norm_kernelIN3c108BFloat16EfLb0EEEviT0_PKT_S8_S8_PS5_S9_PS6_,comdat
.Lfunc_end9:
	.size	_ZN2at6native12_GLOBAL__N_128vectorized_layer_norm_kernelIN3c108BFloat16EfLb0EEEviT0_PKT_S8_S8_PS5_S9_PS6_, .Lfunc_end9-_ZN2at6native12_GLOBAL__N_128vectorized_layer_norm_kernelIN3c108BFloat16EfLb0EEEviT0_PKT_S8_S8_PS5_S9_PS6_
                                        ; -- End function
	.set _ZN2at6native12_GLOBAL__N_128vectorized_layer_norm_kernelIN3c108BFloat16EfLb0EEEviT0_PKT_S8_S8_PS5_S9_PS6_.num_vgpr, 32
	.set _ZN2at6native12_GLOBAL__N_128vectorized_layer_norm_kernelIN3c108BFloat16EfLb0EEEviT0_PKT_S8_S8_PS5_S9_PS6_.num_agpr, 0
	.set _ZN2at6native12_GLOBAL__N_128vectorized_layer_norm_kernelIN3c108BFloat16EfLb0EEEviT0_PKT_S8_S8_PS5_S9_PS6_.numbered_sgpr, 31
	.set _ZN2at6native12_GLOBAL__N_128vectorized_layer_norm_kernelIN3c108BFloat16EfLb0EEEviT0_PKT_S8_S8_PS5_S9_PS6_.num_named_barrier, 0
	.set _ZN2at6native12_GLOBAL__N_128vectorized_layer_norm_kernelIN3c108BFloat16EfLb0EEEviT0_PKT_S8_S8_PS5_S9_PS6_.private_seg_size, 0
	.set _ZN2at6native12_GLOBAL__N_128vectorized_layer_norm_kernelIN3c108BFloat16EfLb0EEEviT0_PKT_S8_S8_PS5_S9_PS6_.uses_vcc, 1
	.set _ZN2at6native12_GLOBAL__N_128vectorized_layer_norm_kernelIN3c108BFloat16EfLb0EEEviT0_PKT_S8_S8_PS5_S9_PS6_.uses_flat_scratch, 0
	.set _ZN2at6native12_GLOBAL__N_128vectorized_layer_norm_kernelIN3c108BFloat16EfLb0EEEviT0_PKT_S8_S8_PS5_S9_PS6_.has_dyn_sized_stack, 0
	.set _ZN2at6native12_GLOBAL__N_128vectorized_layer_norm_kernelIN3c108BFloat16EfLb0EEEviT0_PKT_S8_S8_PS5_S9_PS6_.has_recursion, 0
	.set _ZN2at6native12_GLOBAL__N_128vectorized_layer_norm_kernelIN3c108BFloat16EfLb0EEEviT0_PKT_S8_S8_PS5_S9_PS6_.has_indirect_call, 0
	.section	.AMDGPU.csdata,"",@progbits
; Kernel info:
; codeLenInByte = 3768
; TotalNumSgprs: 37
; NumVgprs: 32
; NumAgprs: 0
; TotalNumVgprs: 32
; ScratchSize: 0
; MemoryBound: 0
; FloatMode: 240
; IeeeMode: 1
; LDSByteSize: 0 bytes/workgroup (compile time only)
; SGPRBlocks: 4
; VGPRBlocks: 3
; NumSGPRsForWavesPerEU: 37
; NumVGPRsForWavesPerEU: 32
; AccumOffset: 32
; Occupancy: 8
; WaveLimiterHint : 0
; COMPUTE_PGM_RSRC2:SCRATCH_EN: 0
; COMPUTE_PGM_RSRC2:USER_SGPR: 2
; COMPUTE_PGM_RSRC2:TRAP_HANDLER: 0
; COMPUTE_PGM_RSRC2:TGID_X_EN: 1
; COMPUTE_PGM_RSRC2:TGID_Y_EN: 0
; COMPUTE_PGM_RSRC2:TGID_Z_EN: 0
; COMPUTE_PGM_RSRC2:TIDIG_COMP_CNT: 1
; COMPUTE_PGM_RSRC3_GFX90A:ACCUM_OFFSET: 7
; COMPUTE_PGM_RSRC3_GFX90A:TG_SPLIT: 0
	.section	.text._ZN2at6native12_GLOBAL__N_124RowwiseMomentsCUDAKernelIN3c108BFloat16EfLb0EEEvlT0_PKT_PS5_S9_,"axG",@progbits,_ZN2at6native12_GLOBAL__N_124RowwiseMomentsCUDAKernelIN3c108BFloat16EfLb0EEEvlT0_PKT_PS5_S9_,comdat
	.globl	_ZN2at6native12_GLOBAL__N_124RowwiseMomentsCUDAKernelIN3c108BFloat16EfLb0EEEvlT0_PKT_PS5_S9_ ; -- Begin function _ZN2at6native12_GLOBAL__N_124RowwiseMomentsCUDAKernelIN3c108BFloat16EfLb0EEEvlT0_PKT_PS5_S9_
	.p2align	8
	.type	_ZN2at6native12_GLOBAL__N_124RowwiseMomentsCUDAKernelIN3c108BFloat16EfLb0EEEvlT0_PKT_PS5_S9_,@function
_ZN2at6native12_GLOBAL__N_124RowwiseMomentsCUDAKernelIN3c108BFloat16EfLb0EEEvlT0_PKT_PS5_S9_: ; @_ZN2at6native12_GLOBAL__N_124RowwiseMomentsCUDAKernelIN3c108BFloat16EfLb0EEEvlT0_PKT_PS5_S9_
; %bb.0:
	s_load_dwordx2 s[10:11], s[0:1], 0x0
	s_load_dwordx4 s[4:7], s[0:1], 0x10
	s_load_dwordx2 s[8:9], s[0:1], 0x20
	v_mov_b32_e32 v1, 0
	s_mov_b32 s3, 0
	s_waitcnt lgkmcnt(0)
	v_cmp_gt_i64_e32 vcc, s[10:11], v[0:1]
	v_mov_b32_e32 v2, v1
	v_mov_b32_e32 v3, v1
	v_mov_b64_e32 v[6:7], 0
	s_and_saveexec_b64 s[12:13], vcc
	s_cbranch_execz .LBB10_4
; %bb.1:
	s_load_dword s14, s[0:1], 0x34
	s_mul_i32 s16, s11, s2
	s_mul_hi_u32 s17, s10, s2
	s_add_i32 s17, s17, s16
	s_mul_i32 s16, s10, s2
	s_waitcnt lgkmcnt(0)
	s_and_b32 s14, s14, 0xffff
	s_lshl_b64 s[16:17], s[16:17], 1
	s_add_u32 s4, s4, s16
	v_lshlrev_b32_e32 v2, 1, v0
	v_mov_b32_e32 v3, v1
	s_addc_u32 s5, s5, s17
	s_mov_b32 s15, s3
	v_lshl_add_u64 v[4:5], s[4:5], 0, v[2:3]
	s_lshl_b32 s4, s14, 1
	s_mov_b32 s5, s3
	s_mov_b64 s[16:17], 0
	v_mov_b64_e32 v[8:9], v[0:1]
	s_mov_b64 s[18:19], 0
.LBB10_2:                               ; =>This Inner Loop Header: Depth=1
	global_load_ushort v2, v[4:5], off
	s_add_u32 s18, s18, 1
	s_addc_u32 s19, s19, 0
	s_flbit_i32_b32 s20, s19
	s_min_u32 s22, s20, 32
	s_lshl_b64 s[20:21], s[18:19], s22
	s_min_u32 s20, s20, 1
	s_or_b32 s20, s21, s20
	v_cvt_f32_u32_e32 v10, s20
	s_sub_i32 s22, 32, s22
	v_lshl_add_u64 v[8:9], v[8:9], 0, s[14:15]
	v_cmp_le_i64_e32 vcc, s[10:11], v[8:9]
	v_ldexp_f32 v10, v10, s22
	s_or_b64 s[16:17], vcc, s[16:17]
	v_lshl_add_u64 v[4:5], v[4:5], 0, s[4:5]
	v_mov_b64_e32 v[6:7], s[18:19]
	s_waitcnt vmcnt(0)
	v_lshlrev_b32_e32 v2, 16, v2
	v_sub_f32_e32 v11, v2, v3
	v_div_scale_f32 v12, s[20:21], v10, v10, v11
	v_rcp_f32_e32 v13, v12
	v_div_scale_f32 v14, vcc, v11, v10, v11
	v_fma_f32 v15, -v12, v13, 1.0
	v_fmac_f32_e32 v13, v15, v13
	v_mul_f32_e32 v15, v14, v13
	v_fma_f32 v16, -v12, v15, v14
	v_fmac_f32_e32 v15, v16, v13
	v_fma_f32 v12, -v12, v15, v14
	v_div_fmas_f32 v12, v12, v13, v15
	v_div_fixup_f32 v12, v12, v10, v11
	v_add_f32_e32 v3, v3, v12
	v_sub_f32_e32 v2, v2, v3
	v_fmac_f32_e32 v1, v11, v2
	s_andn2_b64 exec, exec, s[16:17]
	s_cbranch_execnz .LBB10_2
; %bb.3:
	s_or_b64 exec, exec, s[16:17]
	v_mov_b32_e32 v2, v1
	v_mov_b32_e32 v1, v10
.LBB10_4:
	s_or_b64 exec, exec, s[12:13]
	v_mbcnt_lo_u32_b32 v4, -1, 0
	v_mbcnt_hi_u32_b32 v14, -1, v4
	v_mov_b32_e32 v4, 0x80
	v_lshl_or_b32 v10, v14, 2, v4
	ds_bpermute_b32 v5, v10, v3
	ds_bpermute_b32 v4, v10, v2
	;; [unrolled: 1-line block ×5, first 2 shown]
	v_cmp_neq_f32_e32 vcc, 0, v1
	s_and_saveexec_b64 s[4:5], vcc
	s_cbranch_execz .LBB10_8
; %bb.5:
	s_waitcnt lgkmcnt(0)
	v_cmp_neq_f32_e32 vcc, 0, v11
	s_and_saveexec_b64 s[10:11], vcc
	s_cbranch_execz .LBB10_7
; %bb.6:
	v_add_f32_e32 v9, v1, v11
	v_div_scale_f32 v8, s[12:13], v9, v9, v11
	v_rcp_f32_e32 v12, v8
	v_pk_add_f32 v[6:7], v[4:5], v[2:3] neg_lo:[0,1] neg_hi:[0,1]
	v_pk_add_f32 v[4:5], v[2:3], v[4:5]
	v_mul_f32_e32 v2, v7, v7
	v_fma_f32 v6, -v8, v12, 1.0
	v_fmac_f32_e32 v12, v6, v12
	v_div_scale_f32 v6, vcc, v11, v9, v11
	v_mul_f32_e32 v13, v6, v12
	v_fma_f32 v15, -v8, v13, v6
	v_fmac_f32_e32 v13, v15, v12
	v_fma_f32 v6, -v8, v13, v6
	v_div_fmas_f32 v6, v6, v12, v13
	v_div_fixup_f32 v8, v6, v9, v11
	v_mul_f32_e32 v6, v1, v2
	v_mov_b32_e32 v5, v3
	v_pk_fma_f32 v[2:3], v[6:7], v[8:9], v[4:5] op_sel_hi:[1,0,1]
	v_mov_b64_e32 v[6:7], -1
	v_mov_b32_e32 v1, v9
.LBB10_7:
	s_or_b64 exec, exec, s[10:11]
	v_mov_b32_e32 v11, v1
	v_mov_b64_e32 v[8:9], v[6:7]
	v_mov_b64_e32 v[4:5], v[2:3]
.LBB10_8:
	s_or_b64 exec, exec, s[4:5]
	v_and_b32_e32 v15, 63, v14
	v_cmp_gt_u32_e32 vcc, 48, v15
	s_nop 1
	v_cndmask_b32_e64 v1, 0, 16, vcc
	v_add_lshl_u32 v1, v1, v14, 2
	s_waitcnt lgkmcnt(4)
	ds_bpermute_b32 v3, v1, v5
	s_waitcnt lgkmcnt(4)
	ds_bpermute_b32 v2, v1, v4
	;; [unrolled: 2-line block ×5, first 2 shown]
	v_cmp_neq_f32_e32 vcc, 0, v11
	s_and_saveexec_b64 s[4:5], vcc
	s_cbranch_execz .LBB10_12
; %bb.9:
	s_waitcnt lgkmcnt(0)
	v_cmp_neq_f32_e32 vcc, 0, v12
	s_and_saveexec_b64 s[10:11], vcc
	s_cbranch_execz .LBB10_11
; %bb.10:
	v_add_f32_e32 v13, v11, v12
	v_div_scale_f32 v8, s[12:13], v13, v13, v12
	v_rcp_f32_e32 v9, v8
	v_pk_add_f32 v[6:7], v[2:3], v[4:5] neg_lo:[0,1] neg_hi:[0,1]
	v_pk_add_f32 v[2:3], v[4:5], v[2:3]
	v_fma_f32 v6, -v8, v9, 1.0
	v_fmac_f32_e32 v9, v6, v9
	v_div_scale_f32 v6, vcc, v12, v13, v12
	v_mul_f32_e32 v16, v6, v9
	v_fma_f32 v17, -v8, v16, v6
	v_fmac_f32_e32 v16, v17, v9
	v_fma_f32 v6, -v8, v16, v6
	v_div_fmas_f32 v6, v6, v9, v16
	v_mul_f32_e32 v3, v7, v7
	v_div_fixup_f32 v8, v6, v13, v12
	v_mul_f32_e32 v6, v11, v3
	v_mov_b32_e32 v3, v5
	v_pk_fma_f32 v[4:5], v[6:7], v[8:9], v[2:3] op_sel_hi:[1,0,1]
	v_mov_b64_e32 v[8:9], -1
	v_mov_b32_e32 v11, v13
.LBB10_11:
	s_or_b64 exec, exec, s[10:11]
	v_mov_b32_e32 v12, v11
	v_mov_b64_e32 v[6:7], v[8:9]
	v_mov_b64_e32 v[2:3], v[4:5]
.LBB10_12:
	s_or_b64 exec, exec, s[4:5]
	v_cmp_gt_u32_e32 vcc, 56, v15
	s_nop 1
	v_cndmask_b32_e64 v4, 0, 8, vcc
	v_add_lshl_u32 v11, v4, v14, 2
	s_waitcnt lgkmcnt(4)
	ds_bpermute_b32 v5, v11, v3
	s_waitcnt lgkmcnt(4)
	ds_bpermute_b32 v4, v11, v2
	;; [unrolled: 2-line block ×5, first 2 shown]
	v_cmp_neq_f32_e32 vcc, 0, v12
	s_and_saveexec_b64 s[4:5], vcc
	s_cbranch_execz .LBB10_16
; %bb.13:
	s_waitcnt lgkmcnt(0)
	v_cmp_neq_f32_e32 vcc, 0, v13
	s_and_saveexec_b64 s[10:11], vcc
	s_cbranch_execz .LBB10_15
; %bb.14:
	v_add_f32_e32 v9, v12, v13
	v_div_scale_f32 v8, s[12:13], v9, v9, v13
	v_rcp_f32_e32 v16, v8
	v_pk_add_f32 v[6:7], v[4:5], v[2:3] neg_lo:[0,1] neg_hi:[0,1]
	v_pk_add_f32 v[4:5], v[2:3], v[4:5]
	v_mul_f32_e32 v2, v7, v7
	v_fma_f32 v6, -v8, v16, 1.0
	v_fmac_f32_e32 v16, v6, v16
	v_div_scale_f32 v6, vcc, v13, v9, v13
	v_mul_f32_e32 v17, v6, v16
	v_fma_f32 v18, -v8, v17, v6
	v_fmac_f32_e32 v17, v18, v16
	v_fma_f32 v6, -v8, v17, v6
	v_div_fmas_f32 v6, v6, v16, v17
	v_div_fixup_f32 v8, v6, v9, v13
	v_mul_f32_e32 v6, v12, v2
	v_mov_b32_e32 v5, v3
	v_pk_fma_f32 v[2:3], v[6:7], v[8:9], v[4:5] op_sel_hi:[1,0,1]
	v_mov_b64_e32 v[6:7], -1
	v_mov_b32_e32 v12, v9
.LBB10_15:
	s_or_b64 exec, exec, s[10:11]
	v_mov_b32_e32 v13, v12
	v_mov_b64_e32 v[8:9], v[6:7]
	v_mov_b64_e32 v[4:5], v[2:3]
.LBB10_16:
	s_or_b64 exec, exec, s[4:5]
	v_cmp_gt_u32_e32 vcc, 60, v15
	s_nop 1
	v_cndmask_b32_e64 v2, 0, 4, vcc
	v_add_lshl_u32 v12, v2, v14, 2
	s_waitcnt lgkmcnt(4)
	ds_bpermute_b32 v3, v12, v5
	s_waitcnt lgkmcnt(4)
	ds_bpermute_b32 v2, v12, v4
	;; [unrolled: 2-line block ×5, first 2 shown]
	v_cmp_neq_f32_e32 vcc, 0, v13
	s_and_saveexec_b64 s[4:5], vcc
	s_cbranch_execz .LBB10_20
; %bb.17:
	s_waitcnt lgkmcnt(0)
	v_cmp_neq_f32_e32 vcc, 0, v16
	s_and_saveexec_b64 s[10:11], vcc
	s_cbranch_execz .LBB10_19
; %bb.18:
	v_add_f32_e32 v17, v13, v16
	v_div_scale_f32 v8, s[12:13], v17, v17, v16
	v_rcp_f32_e32 v9, v8
	v_pk_add_f32 v[6:7], v[2:3], v[4:5] neg_lo:[0,1] neg_hi:[0,1]
	v_pk_add_f32 v[2:3], v[4:5], v[2:3]
	v_fma_f32 v6, -v8, v9, 1.0
	v_fmac_f32_e32 v9, v6, v9
	v_div_scale_f32 v6, vcc, v16, v17, v16
	v_mul_f32_e32 v18, v6, v9
	v_fma_f32 v19, -v8, v18, v6
	v_fmac_f32_e32 v18, v19, v9
	v_fma_f32 v6, -v8, v18, v6
	v_div_fmas_f32 v6, v6, v9, v18
	v_mul_f32_e32 v3, v7, v7
	v_div_fixup_f32 v8, v6, v17, v16
	v_mul_f32_e32 v6, v13, v3
	v_mov_b32_e32 v3, v5
	v_pk_fma_f32 v[4:5], v[6:7], v[8:9], v[2:3] op_sel_hi:[1,0,1]
	v_mov_b64_e32 v[8:9], -1
	v_mov_b32_e32 v13, v17
.LBB10_19:
	s_or_b64 exec, exec, s[10:11]
	v_mov_b32_e32 v16, v13
	v_mov_b64_e32 v[6:7], v[8:9]
	v_mov_b64_e32 v[2:3], v[4:5]
.LBB10_20:
	s_or_b64 exec, exec, s[4:5]
	v_cmp_gt_u32_e32 vcc, 62, v15
	s_nop 1
	v_cndmask_b32_e64 v4, 0, 2, vcc
	v_add_lshl_u32 v13, v4, v14, 2
	s_waitcnt lgkmcnt(4)
	ds_bpermute_b32 v5, v13, v3
	s_waitcnt lgkmcnt(4)
	ds_bpermute_b32 v4, v13, v2
	s_waitcnt lgkmcnt(4)
	ds_bpermute_b32 v8, v13, v6
	s_waitcnt lgkmcnt(4)
	ds_bpermute_b32 v9, v13, v7
	s_waitcnt lgkmcnt(4)
	ds_bpermute_b32 v17, v13, v16
	v_cmp_neq_f32_e32 vcc, 0, v16
	s_and_saveexec_b64 s[4:5], vcc
	s_cbranch_execz .LBB10_24
; %bb.21:
	s_waitcnt lgkmcnt(0)
	v_cmp_neq_f32_e32 vcc, 0, v17
	s_and_saveexec_b64 s[10:11], vcc
	s_cbranch_execz .LBB10_23
; %bb.22:
	v_add_f32_e32 v9, v16, v17
	v_div_scale_f32 v8, s[12:13], v9, v9, v17
	v_rcp_f32_e32 v18, v8
	v_pk_add_f32 v[6:7], v[4:5], v[2:3] neg_lo:[0,1] neg_hi:[0,1]
	v_pk_add_f32 v[4:5], v[2:3], v[4:5]
	v_mul_f32_e32 v2, v7, v7
	v_fma_f32 v6, -v8, v18, 1.0
	v_fmac_f32_e32 v18, v6, v18
	v_div_scale_f32 v6, vcc, v17, v9, v17
	v_mul_f32_e32 v19, v6, v18
	v_fma_f32 v20, -v8, v19, v6
	v_fmac_f32_e32 v19, v20, v18
	v_fma_f32 v6, -v8, v19, v6
	v_div_fmas_f32 v6, v6, v18, v19
	v_div_fixup_f32 v8, v6, v9, v17
	v_mul_f32_e32 v6, v16, v2
	v_mov_b32_e32 v5, v3
	v_pk_fma_f32 v[2:3], v[6:7], v[8:9], v[4:5] op_sel_hi:[1,0,1]
	v_mov_b64_e32 v[6:7], -1
	v_mov_b32_e32 v16, v9
.LBB10_23:
	s_or_b64 exec, exec, s[10:11]
	v_mov_b32_e32 v17, v16
	v_mov_b64_e32 v[8:9], v[6:7]
	v_mov_b64_e32 v[4:5], v[2:3]
.LBB10_24:
	s_or_b64 exec, exec, s[4:5]
	v_cmp_ne_u32_e32 vcc, 63, v15
	s_nop 1
	v_addc_co_u32_e32 v2, vcc, 0, v14, vcc
	v_lshlrev_b32_e32 v14, 2, v2
	s_waitcnt lgkmcnt(4)
	ds_bpermute_b32 v3, v14, v5
	s_waitcnt lgkmcnt(4)
	ds_bpermute_b32 v2, v14, v4
	;; [unrolled: 2-line block ×5, first 2 shown]
	v_cmp_neq_f32_e32 vcc, 0, v17
	s_and_saveexec_b64 s[4:5], vcc
	s_cbranch_execz .LBB10_28
; %bb.25:
	s_waitcnt lgkmcnt(0)
	v_cmp_neq_f32_e32 vcc, 0, v15
	s_and_saveexec_b64 s[10:11], vcc
	s_cbranch_execz .LBB10_27
; %bb.26:
	v_add_f32_e32 v16, v17, v15
	v_div_scale_f32 v8, s[12:13], v16, v16, v15
	v_rcp_f32_e32 v9, v8
	v_pk_add_f32 v[6:7], v[2:3], v[4:5] neg_lo:[0,1] neg_hi:[0,1]
	v_pk_add_f32 v[2:3], v[4:5], v[2:3]
	v_fma_f32 v6, -v8, v9, 1.0
	v_fmac_f32_e32 v9, v6, v9
	v_div_scale_f32 v6, vcc, v15, v16, v15
	v_mul_f32_e32 v18, v6, v9
	v_fma_f32 v19, -v8, v18, v6
	v_fmac_f32_e32 v18, v19, v9
	v_fma_f32 v6, -v8, v18, v6
	v_div_fmas_f32 v6, v6, v9, v18
	v_mul_f32_e32 v3, v7, v7
	v_div_fixup_f32 v8, v6, v16, v15
	v_mul_f32_e32 v6, v17, v3
	v_mov_b32_e32 v3, v5
	v_pk_fma_f32 v[4:5], v[6:7], v[8:9], v[2:3] op_sel_hi:[1,0,1]
	v_mov_b64_e32 v[8:9], -1
	v_mov_b32_e32 v17, v16
.LBB10_27:
	s_or_b64 exec, exec, s[10:11]
	v_mov_b32_e32 v15, v17
	v_mov_b64_e32 v[6:7], v[8:9]
	v_mov_b64_e32 v[2:3], v[4:5]
.LBB10_28:
	s_or_b64 exec, exec, s[4:5]
	v_and_b32_e32 v4, 63, v0
	v_cmp_eq_u32_e32 vcc, 0, v4
	s_waitcnt lgkmcnt(0)
	s_barrier
	s_and_saveexec_b64 s[4:5], vcc
	s_cbranch_execz .LBB10_30
; %bb.29:
	v_lshrrev_b32_e32 v5, 6, v0
	v_mul_u32_u24_e32 v5, 24, v5
	v_pk_mov_b32 v[2:3], v[2:3], v[2:3] op_sel:[1,0]
	ds_write2_b64 v5, v[2:3], v[6:7] offset1:1
	ds_write_b32 v5, v15 offset:16
.LBB10_30:
	s_or_b64 exec, exec, s[4:5]
	s_waitcnt lgkmcnt(0)
	s_barrier
	s_load_dword s4, s[0:1], 0x34
	v_mul_u32_u24_e32 v4, 24, v4
	v_mov_b32_e32 v2, 0
	v_mov_b32_e32 v3, 0
	s_waitcnt lgkmcnt(0)
	s_bfe_u32 s4, s4, 0xa0006
	v_cmp_gt_u32_e32 vcc, s4, v0
	s_and_saveexec_b64 s[4:5], vcc
	s_cbranch_execnz .LBB10_36
; %bb.31:
	s_or_b64 exec, exec, s[4:5]
	s_and_saveexec_b64 s[4:5], vcc
	s_cbranch_execnz .LBB10_37
.LBB10_32:
	s_or_b64 exec, exec, s[4:5]
	v_mov_b32_e32 v6, 0
	s_and_saveexec_b64 s[4:5], vcc
	s_cbranch_execnz .LBB10_38
.LBB10_33:
	s_or_b64 exec, exec, s[4:5]
	v_cmp_gt_u32_e32 vcc, 64, v0
	s_and_saveexec_b64 s[4:5], vcc
	s_cbranch_execnz .LBB10_39
.LBB10_34:
	s_or_b64 exec, exec, s[4:5]
	v_cmp_eq_u32_e32 vcc, 0, v0
	s_and_saveexec_b64 s[4:5], vcc
	s_cbranch_execnz .LBB10_64
.LBB10_35:
	s_endpgm
.LBB10_36:
	ds_read_b32 v3, v4
	s_or_b64 exec, exec, s[4:5]
	s_and_saveexec_b64 s[4:5], vcc
	s_cbranch_execz .LBB10_32
.LBB10_37:
	ds_read_b32 v2, v4 offset:4
	s_or_b64 exec, exec, s[4:5]
	v_mov_b32_e32 v6, 0
	s_and_saveexec_b64 s[4:5], vcc
	s_cbranch_execz .LBB10_33
.LBB10_38:
	ds_read_b32 v6, v4 offset:16
	s_or_b64 exec, exec, s[4:5]
	v_cmp_gt_u32_e32 vcc, 64, v0
	s_and_saveexec_b64 s[4:5], vcc
	s_cbranch_execz .LBB10_34
.LBB10_39:
	s_waitcnt lgkmcnt(0)
	ds_bpermute_b32 v5, v10, v3
	ds_bpermute_b32 v4, v10, v2
	;; [unrolled: 1-line block ×3, first 2 shown]
	v_cmp_neq_f32_e32 vcc, 0, v6
	s_and_saveexec_b64 s[10:11], vcc
	s_cbranch_execz .LBB10_43
; %bb.40:
	s_waitcnt lgkmcnt(0)
	v_cmp_neq_f32_e32 vcc, 0, v7
	s_and_saveexec_b64 s[12:13], vcc
	s_cbranch_execz .LBB10_42
; %bb.41:
	v_add_f32_e32 v10, v6, v7
	v_div_scale_f32 v9, s[14:15], v10, v10, v7
	v_rcp_f32_e32 v15, v9
	v_add_f32_e32 v8, v2, v4
	v_pk_add_f32 v[4:5], v[4:5], v[2:3] neg_lo:[0,1] neg_hi:[0,1]
	v_fma_f32 v2, -v9, v15, 1.0
	v_fmac_f32_e32 v15, v2, v15
	v_div_scale_f32 v2, vcc, v7, v10, v7
	v_mul_f32_e32 v4, v2, v15
	v_fma_f32 v16, -v9, v4, v2
	v_fmac_f32_e32 v4, v16, v15
	v_fma_f32 v2, -v9, v4, v2
	v_div_fmas_f32 v2, v2, v15, v4
	v_div_fixup_f32 v4, v2, v10, v7
	v_mul_f32_e32 v2, v5, v5
	v_mul_f32_e32 v6, v6, v2
	v_mov_b32_e32 v7, v4
	v_mov_b32_e32 v9, v3
	v_pk_fma_f32 v[2:3], v[4:5], v[6:7], v[8:9]
	v_mov_b32_e32 v6, v10
.LBB10_42:
	s_or_b64 exec, exec, s[12:13]
	v_mov_b32_e32 v7, v6
	v_mov_b64_e32 v[4:5], v[2:3]
.LBB10_43:
	s_or_b64 exec, exec, s[10:11]
	s_waitcnt lgkmcnt(2)
	ds_bpermute_b32 v3, v1, v5
	s_waitcnt lgkmcnt(2)
	ds_bpermute_b32 v2, v1, v4
	;; [unrolled: 2-line block ×3, first 2 shown]
	v_cmp_neq_f32_e32 vcc, 0, v7
	s_and_saveexec_b64 s[10:11], vcc
	s_cbranch_execz .LBB10_47
; %bb.44:
	s_waitcnt lgkmcnt(0)
	v_cmp_neq_f32_e32 vcc, 0, v1
	s_and_saveexec_b64 s[12:13], vcc
	s_cbranch_execz .LBB10_46
; %bb.45:
	v_add_f32_e32 v10, v7, v1
	v_div_scale_f32 v6, s[14:15], v10, v10, v1
	v_rcp_f32_e32 v15, v6
	v_pk_add_f32 v[8:9], v[2:3], v[4:5] neg_lo:[0,1] neg_hi:[0,1]
	v_pk_add_f32 v[2:3], v[4:5], v[2:3]
	v_fma_f32 v8, -v6, v15, 1.0
	v_fmac_f32_e32 v15, v8, v15
	v_div_scale_f32 v8, vcc, v1, v10, v1
	v_mul_f32_e32 v16, v8, v15
	v_fma_f32 v17, -v6, v16, v8
	v_fmac_f32_e32 v16, v17, v15
	v_fma_f32 v6, -v6, v16, v8
	v_div_fmas_f32 v6, v6, v15, v16
	v_div_fixup_f32 v6, v6, v10, v1
	v_mul_f32_e32 v1, v9, v9
	v_mul_f32_e32 v8, v7, v1
	v_mov_b32_e32 v3, v5
	v_pk_fma_f32 v[4:5], v[8:9], v[6:7], v[2:3] op_sel_hi:[1,0,1]
	v_mov_b32_e32 v7, v10
.LBB10_46:
	s_or_b64 exec, exec, s[12:13]
	v_mov_b32_e32 v1, v7
	v_mov_b64_e32 v[2:3], v[4:5]
.LBB10_47:
	s_or_b64 exec, exec, s[10:11]
	s_waitcnt lgkmcnt(2)
	ds_bpermute_b32 v5, v11, v3
	s_waitcnt lgkmcnt(2)
	ds_bpermute_b32 v4, v11, v2
	;; [unrolled: 2-line block ×3, first 2 shown]
	v_cmp_neq_f32_e32 vcc, 0, v1
	s_and_saveexec_b64 s[10:11], vcc
	s_cbranch_execz .LBB10_51
; %bb.48:
	s_waitcnt lgkmcnt(0)
	v_cmp_neq_f32_e32 vcc, 0, v6
	s_and_saveexec_b64 s[12:13], vcc
	s_cbranch_execz .LBB10_50
; %bb.49:
	v_add_f32_e32 v7, v1, v6
	v_div_scale_f32 v10, s[14:15], v7, v7, v6
	v_rcp_f32_e32 v11, v10
	v_pk_add_f32 v[8:9], v[4:5], v[2:3] neg_lo:[0,1] neg_hi:[0,1]
	v_pk_add_f32 v[4:5], v[2:3], v[4:5]
	v_mul_f32_e32 v2, v9, v9
	v_fma_f32 v8, -v10, v11, 1.0
	v_fmac_f32_e32 v11, v8, v11
	v_div_scale_f32 v8, vcc, v6, v7, v6
	v_mul_f32_e32 v15, v8, v11
	v_fma_f32 v16, -v10, v15, v8
	v_fmac_f32_e32 v15, v16, v11
	v_fma_f32 v8, -v10, v15, v8
	v_div_fmas_f32 v8, v8, v11, v15
	v_div_fixup_f32 v6, v8, v7, v6
	v_mul_f32_e32 v8, v1, v2
	v_mov_b32_e32 v5, v3
	v_pk_fma_f32 v[2:3], v[8:9], v[6:7], v[4:5] op_sel_hi:[1,0,1]
	v_mov_b32_e32 v1, v7
.LBB10_50:
	s_or_b64 exec, exec, s[12:13]
	v_mov_b32_e32 v6, v1
	v_mov_b64_e32 v[4:5], v[2:3]
.LBB10_51:
	s_or_b64 exec, exec, s[10:11]
	s_waitcnt lgkmcnt(2)
	ds_bpermute_b32 v3, v12, v5
	s_waitcnt lgkmcnt(2)
	ds_bpermute_b32 v2, v12, v4
	;; [unrolled: 2-line block ×3, first 2 shown]
	v_cmp_neq_f32_e32 vcc, 0, v6
	s_and_saveexec_b64 s[10:11], vcc
	s_cbranch_execz .LBB10_55
; %bb.52:
	s_waitcnt lgkmcnt(0)
	v_cmp_neq_f32_e32 vcc, 0, v7
	s_and_saveexec_b64 s[12:13], vcc
	s_cbranch_execz .LBB10_54
; %bb.53:
	v_add_f32_e32 v1, v6, v7
	v_div_scale_f32 v10, s[14:15], v1, v1, v7
	v_rcp_f32_e32 v11, v10
	v_pk_add_f32 v[8:9], v[2:3], v[4:5] neg_lo:[0,1] neg_hi:[0,1]
	v_pk_add_f32 v[2:3], v[4:5], v[2:3]
	v_fma_f32 v8, -v10, v11, 1.0
	v_fmac_f32_e32 v11, v8, v11
	v_div_scale_f32 v8, vcc, v7, v1, v7
	v_mul_f32_e32 v12, v8, v11
	v_fma_f32 v15, -v10, v12, v8
	v_fmac_f32_e32 v12, v15, v11
	v_fma_f32 v8, -v10, v12, v8
	v_div_fmas_f32 v8, v8, v11, v12
	v_mul_f32_e32 v3, v9, v9
	v_div_fixup_f32 v10, v8, v1, v7
	v_mul_f32_e32 v8, v6, v3
	v_mov_b32_e32 v3, v5
	v_pk_fma_f32 v[4:5], v[8:9], v[10:11], v[2:3] op_sel_hi:[1,0,1]
	v_mov_b32_e32 v6, v1
.LBB10_54:
	s_or_b64 exec, exec, s[12:13]
	v_mov_b32_e32 v7, v6
	v_mov_b64_e32 v[2:3], v[4:5]
.LBB10_55:
	s_or_b64 exec, exec, s[10:11]
	s_waitcnt lgkmcnt(2)
	ds_bpermute_b32 v5, v13, v3
	s_waitcnt lgkmcnt(2)
	ds_bpermute_b32 v4, v13, v2
	;; [unrolled: 2-line block ×3, first 2 shown]
	v_cmp_neq_f32_e32 vcc, 0, v7
	s_and_saveexec_b64 s[10:11], vcc
	s_cbranch_execz .LBB10_59
; %bb.56:
	s_waitcnt lgkmcnt(0)
	v_cmp_neq_f32_e32 vcc, 0, v1
	s_and_saveexec_b64 s[12:13], vcc
	s_cbranch_execz .LBB10_58
; %bb.57:
	v_add_f32_e32 v10, v7, v1
	v_div_scale_f32 v6, s[14:15], v10, v10, v1
	v_rcp_f32_e32 v11, v6
	v_pk_add_f32 v[8:9], v[4:5], v[2:3] neg_lo:[0,1] neg_hi:[0,1]
	v_pk_add_f32 v[4:5], v[2:3], v[4:5]
	v_fma_f32 v8, -v6, v11, 1.0
	v_fmac_f32_e32 v11, v8, v11
	v_div_scale_f32 v8, vcc, v1, v10, v1
	v_mul_f32_e32 v12, v8, v11
	v_fma_f32 v13, -v6, v12, v8
	v_fmac_f32_e32 v12, v13, v11
	v_fma_f32 v6, -v6, v12, v8
	v_div_fmas_f32 v6, v6, v11, v12
	v_div_fixup_f32 v6, v6, v10, v1
	v_mul_f32_e32 v1, v9, v9
	v_mul_f32_e32 v8, v7, v1
	v_mov_b32_e32 v5, v3
	v_pk_fma_f32 v[2:3], v[8:9], v[6:7], v[4:5] op_sel_hi:[1,0,1]
	v_mov_b32_e32 v7, v10
.LBB10_58:
	s_or_b64 exec, exec, s[12:13]
	v_mov_b32_e32 v1, v7
	v_mov_b64_e32 v[4:5], v[2:3]
.LBB10_59:
	s_or_b64 exec, exec, s[10:11]
	s_waitcnt lgkmcnt(2)
	ds_bpermute_b32 v3, v14, v5
	s_waitcnt lgkmcnt(2)
	ds_bpermute_b32 v2, v14, v4
	;; [unrolled: 2-line block ×3, first 2 shown]
	v_cmp_neq_f32_e32 vcc, 0, v1
	s_and_saveexec_b64 s[10:11], vcc
	s_cbranch_execz .LBB10_63
; %bb.60:
	s_waitcnt lgkmcnt(0)
	v_cmp_neq_f32_e32 vcc, 0, v6
	s_and_saveexec_b64 s[12:13], vcc
	s_cbranch_execz .LBB10_62
; %bb.61:
	v_add_f32_e32 v7, v1, v6
	v_div_scale_f32 v10, s[14:15], v7, v7, v6
	v_rcp_f32_e32 v11, v10
	v_pk_add_f32 v[8:9], v[2:3], v[4:5] neg_lo:[0,1] neg_hi:[0,1]
	v_pk_add_f32 v[2:3], v[4:5], v[2:3]
	v_fma_f32 v8, -v10, v11, 1.0
	v_fmac_f32_e32 v11, v8, v11
	v_div_scale_f32 v8, vcc, v6, v7, v6
	v_mul_f32_e32 v12, v8, v11
	v_fma_f32 v13, -v10, v12, v8
	v_fmac_f32_e32 v12, v13, v11
	v_fma_f32 v8, -v10, v12, v8
	v_div_fmas_f32 v8, v8, v11, v12
	v_mul_f32_e32 v3, v9, v9
	v_div_fixup_f32 v6, v8, v7, v6
	v_mul_f32_e32 v8, v1, v3
	v_mov_b32_e32 v3, v5
	v_pk_fma_f32 v[4:5], v[8:9], v[6:7], v[2:3] op_sel_hi:[1,0,1]
	v_mov_b32_e32 v1, v7
.LBB10_62:
	s_or_b64 exec, exec, s[12:13]
	v_mov_b64_e32 v[2:3], v[4:5]
	v_mov_b32_e32 v6, v1
.LBB10_63:
	s_or_b64 exec, exec, s[10:11]
	s_or_b64 exec, exec, s[4:5]
	v_cmp_eq_u32_e32 vcc, 0, v0
	s_and_saveexec_b64 s[4:5], vcc
	s_cbranch_execz .LBB10_35
.LBB10_64:
	s_waitcnt lgkmcnt(0)
	v_max_f32_e32 v0, v6, v6
	v_max_f32_e32 v0, 0, v0
	v_div_scale_f32 v1, s[4:5], v0, v0, v2
	v_rcp_f32_e32 v4, v1
	s_load_dword s4, s[0:1], 0x8
	s_lshl_b64 s[0:1], s[2:3], 2
	s_mov_b32 s3, 0x800000
	v_fma_f32 v5, -v1, v4, 1.0
	v_fmac_f32_e32 v4, v5, v4
	v_div_scale_f32 v5, vcc, v2, v0, v2
	v_mul_f32_e32 v6, v5, v4
	v_fma_f32 v7, -v1, v6, v5
	v_fmac_f32_e32 v6, v7, v4
	v_fma_f32 v1, -v1, v6, v5
	v_div_fmas_f32 v1, v1, v4, v6
	v_div_fixup_f32 v0, v1, v0, v2
	s_waitcnt lgkmcnt(0)
	v_add_f32_e32 v0, s4, v0
	v_mul_f32_e32 v1, 0x4b800000, v0
	v_cmp_gt_f32_e32 vcc, s3, v0
	s_add_u32 s2, s6, s0
	s_addc_u32 s3, s7, s1
	v_cndmask_b32_e32 v0, v0, v1, vcc
	v_rsq_f32_e32 v0, v0
	s_add_u32 s0, s8, s0
	v_mov_b32_e32 v1, 0
	s_addc_u32 s1, s9, s1
	v_mul_f32_e32 v2, 0x45800000, v0
	v_cndmask_b32_e32 v0, v0, v2, vcc
	global_store_dword v1, v3, s[2:3]
	global_store_dword v1, v0, s[0:1]
	s_endpgm
	.section	.rodata,"a",@progbits
	.p2align	6, 0x0
	.amdhsa_kernel _ZN2at6native12_GLOBAL__N_124RowwiseMomentsCUDAKernelIN3c108BFloat16EfLb0EEEvlT0_PKT_PS5_S9_
		.amdhsa_group_segment_fixed_size 1536
		.amdhsa_private_segment_fixed_size 0
		.amdhsa_kernarg_size 296
		.amdhsa_user_sgpr_count 2
		.amdhsa_user_sgpr_dispatch_ptr 0
		.amdhsa_user_sgpr_queue_ptr 0
		.amdhsa_user_sgpr_kernarg_segment_ptr 1
		.amdhsa_user_sgpr_dispatch_id 0
		.amdhsa_user_sgpr_kernarg_preload_length 0
		.amdhsa_user_sgpr_kernarg_preload_offset 0
		.amdhsa_user_sgpr_private_segment_size 0
		.amdhsa_uses_dynamic_stack 0
		.amdhsa_enable_private_segment 0
		.amdhsa_system_sgpr_workgroup_id_x 1
		.amdhsa_system_sgpr_workgroup_id_y 0
		.amdhsa_system_sgpr_workgroup_id_z 0
		.amdhsa_system_sgpr_workgroup_info 0
		.amdhsa_system_vgpr_workitem_id 0
		.amdhsa_next_free_vgpr 21
		.amdhsa_next_free_sgpr 23
		.amdhsa_accum_offset 24
		.amdhsa_reserve_vcc 1
		.amdhsa_float_round_mode_32 0
		.amdhsa_float_round_mode_16_64 0
		.amdhsa_float_denorm_mode_32 3
		.amdhsa_float_denorm_mode_16_64 3
		.amdhsa_dx10_clamp 1
		.amdhsa_ieee_mode 1
		.amdhsa_fp16_overflow 0
		.amdhsa_tg_split 0
		.amdhsa_exception_fp_ieee_invalid_op 0
		.amdhsa_exception_fp_denorm_src 0
		.amdhsa_exception_fp_ieee_div_zero 0
		.amdhsa_exception_fp_ieee_overflow 0
		.amdhsa_exception_fp_ieee_underflow 0
		.amdhsa_exception_fp_ieee_inexact 0
		.amdhsa_exception_int_div_zero 0
	.end_amdhsa_kernel
	.section	.text._ZN2at6native12_GLOBAL__N_124RowwiseMomentsCUDAKernelIN3c108BFloat16EfLb0EEEvlT0_PKT_PS5_S9_,"axG",@progbits,_ZN2at6native12_GLOBAL__N_124RowwiseMomentsCUDAKernelIN3c108BFloat16EfLb0EEEvlT0_PKT_PS5_S9_,comdat
.Lfunc_end10:
	.size	_ZN2at6native12_GLOBAL__N_124RowwiseMomentsCUDAKernelIN3c108BFloat16EfLb0EEEvlT0_PKT_PS5_S9_, .Lfunc_end10-_ZN2at6native12_GLOBAL__N_124RowwiseMomentsCUDAKernelIN3c108BFloat16EfLb0EEEvlT0_PKT_PS5_S9_
                                        ; -- End function
	.set _ZN2at6native12_GLOBAL__N_124RowwiseMomentsCUDAKernelIN3c108BFloat16EfLb0EEEvlT0_PKT_PS5_S9_.num_vgpr, 21
	.set _ZN2at6native12_GLOBAL__N_124RowwiseMomentsCUDAKernelIN3c108BFloat16EfLb0EEEvlT0_PKT_PS5_S9_.num_agpr, 0
	.set _ZN2at6native12_GLOBAL__N_124RowwiseMomentsCUDAKernelIN3c108BFloat16EfLb0EEEvlT0_PKT_PS5_S9_.numbered_sgpr, 23
	.set _ZN2at6native12_GLOBAL__N_124RowwiseMomentsCUDAKernelIN3c108BFloat16EfLb0EEEvlT0_PKT_PS5_S9_.num_named_barrier, 0
	.set _ZN2at6native12_GLOBAL__N_124RowwiseMomentsCUDAKernelIN3c108BFloat16EfLb0EEEvlT0_PKT_PS5_S9_.private_seg_size, 0
	.set _ZN2at6native12_GLOBAL__N_124RowwiseMomentsCUDAKernelIN3c108BFloat16EfLb0EEEvlT0_PKT_PS5_S9_.uses_vcc, 1
	.set _ZN2at6native12_GLOBAL__N_124RowwiseMomentsCUDAKernelIN3c108BFloat16EfLb0EEEvlT0_PKT_PS5_S9_.uses_flat_scratch, 0
	.set _ZN2at6native12_GLOBAL__N_124RowwiseMomentsCUDAKernelIN3c108BFloat16EfLb0EEEvlT0_PKT_PS5_S9_.has_dyn_sized_stack, 0
	.set _ZN2at6native12_GLOBAL__N_124RowwiseMomentsCUDAKernelIN3c108BFloat16EfLb0EEEvlT0_PKT_PS5_S9_.has_recursion, 0
	.set _ZN2at6native12_GLOBAL__N_124RowwiseMomentsCUDAKernelIN3c108BFloat16EfLb0EEEvlT0_PKT_PS5_S9_.has_indirect_call, 0
	.section	.AMDGPU.csdata,"",@progbits
; Kernel info:
; codeLenInByte = 3456
; TotalNumSgprs: 29
; NumVgprs: 21
; NumAgprs: 0
; TotalNumVgprs: 21
; ScratchSize: 0
; MemoryBound: 0
; FloatMode: 240
; IeeeMode: 1
; LDSByteSize: 1536 bytes/workgroup (compile time only)
; SGPRBlocks: 3
; VGPRBlocks: 2
; NumSGPRsForWavesPerEU: 29
; NumVGPRsForWavesPerEU: 21
; AccumOffset: 24
; Occupancy: 8
; WaveLimiterHint : 0
; COMPUTE_PGM_RSRC2:SCRATCH_EN: 0
; COMPUTE_PGM_RSRC2:USER_SGPR: 2
; COMPUTE_PGM_RSRC2:TRAP_HANDLER: 0
; COMPUTE_PGM_RSRC2:TGID_X_EN: 1
; COMPUTE_PGM_RSRC2:TGID_Y_EN: 0
; COMPUTE_PGM_RSRC2:TGID_Z_EN: 0
; COMPUTE_PGM_RSRC2:TIDIG_COMP_CNT: 0
; COMPUTE_PGM_RSRC3_GFX90A:ACCUM_OFFSET: 5
; COMPUTE_PGM_RSRC3_GFX90A:TG_SPLIT: 0
	.section	.text._ZN2at6native12_GLOBAL__N_126LayerNormForwardCUDAKernelIN3c108BFloat16EfLb0EEEvlPKT_PKT0_SA_S7_S7_PS5_,"axG",@progbits,_ZN2at6native12_GLOBAL__N_126LayerNormForwardCUDAKernelIN3c108BFloat16EfLb0EEEvlPKT_PKT0_SA_S7_S7_PS5_,comdat
	.globl	_ZN2at6native12_GLOBAL__N_126LayerNormForwardCUDAKernelIN3c108BFloat16EfLb0EEEvlPKT_PKT0_SA_S7_S7_PS5_ ; -- Begin function _ZN2at6native12_GLOBAL__N_126LayerNormForwardCUDAKernelIN3c108BFloat16EfLb0EEEvlPKT_PKT0_SA_S7_S7_PS5_
	.p2align	8
	.type	_ZN2at6native12_GLOBAL__N_126LayerNormForwardCUDAKernelIN3c108BFloat16EfLb0EEEvlPKT_PKT0_SA_S7_S7_PS5_,@function
_ZN2at6native12_GLOBAL__N_126LayerNormForwardCUDAKernelIN3c108BFloat16EfLb0EEEvlPKT_PKT0_SA_S7_S7_PS5_: ; @_ZN2at6native12_GLOBAL__N_126LayerNormForwardCUDAKernelIN3c108BFloat16EfLb0EEEvlPKT_PKT0_SA_S7_S7_PS5_
; %bb.0:
	s_load_dwordx8 s[8:15], s[0:1], 0x0
	v_mov_b32_e32 v1, 0
	s_waitcnt lgkmcnt(0)
	v_cmp_gt_i64_e32 vcc, s[8:9], v[0:1]
	s_and_saveexec_b64 s[4:5], vcc
	s_cbranch_execz .LBB11_8
; %bb.1:
	s_load_dwordx8 s[16:23], s[0:1], 0x20
	s_mov_b32 s3, 0
	s_mov_b64 s[6:7], 0
	v_lshlrev_b32_e32 v2, 1, v0
	v_mov_b32_e32 v3, v1
	s_waitcnt lgkmcnt(0)
	s_cmp_lg_u64 s[16:17], 0
	s_cselect_b64 s[4:5], -1, 0
	s_cmp_lg_u64 s[18:19], 0
	s_cselect_b64 s[24:25], -1, 0
	s_lshl_b64 s[26:27], s[2:3], 2
	s_add_u32 s12, s12, s26
	s_addc_u32 s13, s13, s27
	s_load_dword s28, s[0:1], 0x44
	s_load_dword s22, s[12:13], 0x0
	s_add_u32 s0, s14, s26
	s_addc_u32 s1, s15, s27
	s_load_dword s23, s[0:1], 0x0
	s_mul_i32 s0, s9, s2
	s_mul_hi_u32 s1, s8, s2
	s_add_i32 s1, s1, s0
	s_mul_i32 s0, s8, s2
	s_waitcnt lgkmcnt(0)
	s_and_b32 s12, s28, 0xffff
	s_lshl_b64 s[0:1], s[0:1], 1
	s_add_u32 s10, s10, s0
	s_addc_u32 s11, s11, s1
	s_lshl_b32 s2, s12, 1
	s_add_u32 s14, s20, s0
	v_cndmask_b32_e64 v5, 0, 1, s[4:5]
	v_cndmask_b32_e64 v6, 0, 1, s[24:25]
	s_mov_b32 s13, s3
	s_addc_u32 s15, s21, s1
	s_movk_i32 s20, 0x7fff
	v_mov_b32_e32 v4, 0x7fc0
	v_cmp_ne_u32_e64 s[0:1], 1, v5
	v_cmp_ne_u32_e64 s[4:5], 1, v6
	s_branch .LBB11_4
.LBB11_2:                               ;   in Loop: Header=BB11_4 Depth=1
	v_lshl_add_u64 v[6:7], s[18:19], 0, v[2:3]
	global_load_ushort v6, v[6:7], off
	s_waitcnt vmcnt(0)
	v_lshlrev_b32_e32 v6, 16, v6
.LBB11_3:                               ;   in Loop: Header=BB11_4 Depth=1
	v_lshl_add_u64 v[8:9], s[10:11], 0, v[2:3]
	global_load_ushort v7, v[8:9], off
	v_lshl_add_u64 v[0:1], v[0:1], 0, s[12:13]
	v_cmp_le_i64_e32 vcc, s[8:9], v[0:1]
	s_or_b64 s[6:7], vcc, s[6:7]
	v_lshl_add_u64 v[8:9], s[14:15], 0, v[2:3]
	v_lshl_add_u64 v[2:3], v[2:3], 0, s[2:3]
	s_waitcnt vmcnt(0)
	v_lshlrev_b32_e32 v7, 16, v7
	v_subrev_f32_e32 v7, s22, v7
	v_mul_f32_e32 v7, s23, v7
	v_fmac_f32_e32 v6, v5, v7
	v_bfe_u32 v5, v6, 16, 1
	v_cmp_o_f32_e32 vcc, v6, v6
	v_add3_u32 v5, v6, v5, s20
	s_nop 0
	v_cndmask_b32_sdwa v5, v4, v5, vcc dst_sel:DWORD dst_unused:UNUSED_PAD src0_sel:DWORD src1_sel:WORD_1
	global_store_short v[8:9], v5, off
	s_andn2_b64 exec, exec, s[6:7]
	s_cbranch_execz .LBB11_8
.LBB11_4:                               ; =>This Inner Loop Header: Depth=1
	s_and_b64 vcc, exec, s[0:1]
	s_cbranch_vccnz .LBB11_6
; %bb.5:                                ;   in Loop: Header=BB11_4 Depth=1
	v_lshl_add_u64 v[6:7], s[16:17], 0, v[2:3]
	global_load_ushort v5, v[6:7], off
	s_waitcnt vmcnt(0)
	v_lshlrev_b32_e32 v5, 16, v5
	s_and_b64 vcc, exec, s[4:5]
	s_cbranch_vccz .LBB11_2
	s_branch .LBB11_7
.LBB11_6:                               ;   in Loop: Header=BB11_4 Depth=1
	v_mov_b32_e32 v5, 1.0
	s_and_b64 vcc, exec, s[4:5]
	s_cbranch_vccz .LBB11_2
.LBB11_7:                               ;   in Loop: Header=BB11_4 Depth=1
	v_mov_b32_e32 v6, 0
	s_branch .LBB11_3
.LBB11_8:
	s_endpgm
	.section	.rodata,"a",@progbits
	.p2align	6, 0x0
	.amdhsa_kernel _ZN2at6native12_GLOBAL__N_126LayerNormForwardCUDAKernelIN3c108BFloat16EfLb0EEEvlPKT_PKT0_SA_S7_S7_PS5_
		.amdhsa_group_segment_fixed_size 0
		.amdhsa_private_segment_fixed_size 0
		.amdhsa_kernarg_size 312
		.amdhsa_user_sgpr_count 2
		.amdhsa_user_sgpr_dispatch_ptr 0
		.amdhsa_user_sgpr_queue_ptr 0
		.amdhsa_user_sgpr_kernarg_segment_ptr 1
		.amdhsa_user_sgpr_dispatch_id 0
		.amdhsa_user_sgpr_kernarg_preload_length 0
		.amdhsa_user_sgpr_kernarg_preload_offset 0
		.amdhsa_user_sgpr_private_segment_size 0
		.amdhsa_uses_dynamic_stack 0
		.amdhsa_enable_private_segment 0
		.amdhsa_system_sgpr_workgroup_id_x 1
		.amdhsa_system_sgpr_workgroup_id_y 0
		.amdhsa_system_sgpr_workgroup_id_z 0
		.amdhsa_system_sgpr_workgroup_info 0
		.amdhsa_system_vgpr_workitem_id 0
		.amdhsa_next_free_vgpr 10
		.amdhsa_next_free_sgpr 29
		.amdhsa_accum_offset 12
		.amdhsa_reserve_vcc 1
		.amdhsa_float_round_mode_32 0
		.amdhsa_float_round_mode_16_64 0
		.amdhsa_float_denorm_mode_32 3
		.amdhsa_float_denorm_mode_16_64 3
		.amdhsa_dx10_clamp 1
		.amdhsa_ieee_mode 1
		.amdhsa_fp16_overflow 0
		.amdhsa_tg_split 0
		.amdhsa_exception_fp_ieee_invalid_op 0
		.amdhsa_exception_fp_denorm_src 0
		.amdhsa_exception_fp_ieee_div_zero 0
		.amdhsa_exception_fp_ieee_overflow 0
		.amdhsa_exception_fp_ieee_underflow 0
		.amdhsa_exception_fp_ieee_inexact 0
		.amdhsa_exception_int_div_zero 0
	.end_amdhsa_kernel
	.section	.text._ZN2at6native12_GLOBAL__N_126LayerNormForwardCUDAKernelIN3c108BFloat16EfLb0EEEvlPKT_PKT0_SA_S7_S7_PS5_,"axG",@progbits,_ZN2at6native12_GLOBAL__N_126LayerNormForwardCUDAKernelIN3c108BFloat16EfLb0EEEvlPKT_PKT0_SA_S7_S7_PS5_,comdat
.Lfunc_end11:
	.size	_ZN2at6native12_GLOBAL__N_126LayerNormForwardCUDAKernelIN3c108BFloat16EfLb0EEEvlPKT_PKT0_SA_S7_S7_PS5_, .Lfunc_end11-_ZN2at6native12_GLOBAL__N_126LayerNormForwardCUDAKernelIN3c108BFloat16EfLb0EEEvlPKT_PKT0_SA_S7_S7_PS5_
                                        ; -- End function
	.set _ZN2at6native12_GLOBAL__N_126LayerNormForwardCUDAKernelIN3c108BFloat16EfLb0EEEvlPKT_PKT0_SA_S7_S7_PS5_.num_vgpr, 10
	.set _ZN2at6native12_GLOBAL__N_126LayerNormForwardCUDAKernelIN3c108BFloat16EfLb0EEEvlPKT_PKT0_SA_S7_S7_PS5_.num_agpr, 0
	.set _ZN2at6native12_GLOBAL__N_126LayerNormForwardCUDAKernelIN3c108BFloat16EfLb0EEEvlPKT_PKT0_SA_S7_S7_PS5_.numbered_sgpr, 29
	.set _ZN2at6native12_GLOBAL__N_126LayerNormForwardCUDAKernelIN3c108BFloat16EfLb0EEEvlPKT_PKT0_SA_S7_S7_PS5_.num_named_barrier, 0
	.set _ZN2at6native12_GLOBAL__N_126LayerNormForwardCUDAKernelIN3c108BFloat16EfLb0EEEvlPKT_PKT0_SA_S7_S7_PS5_.private_seg_size, 0
	.set _ZN2at6native12_GLOBAL__N_126LayerNormForwardCUDAKernelIN3c108BFloat16EfLb0EEEvlPKT_PKT0_SA_S7_S7_PS5_.uses_vcc, 1
	.set _ZN2at6native12_GLOBAL__N_126LayerNormForwardCUDAKernelIN3c108BFloat16EfLb0EEEvlPKT_PKT0_SA_S7_S7_PS5_.uses_flat_scratch, 0
	.set _ZN2at6native12_GLOBAL__N_126LayerNormForwardCUDAKernelIN3c108BFloat16EfLb0EEEvlPKT_PKT0_SA_S7_S7_PS5_.has_dyn_sized_stack, 0
	.set _ZN2at6native12_GLOBAL__N_126LayerNormForwardCUDAKernelIN3c108BFloat16EfLb0EEEvlPKT_PKT0_SA_S7_S7_PS5_.has_recursion, 0
	.set _ZN2at6native12_GLOBAL__N_126LayerNormForwardCUDAKernelIN3c108BFloat16EfLb0EEEvlPKT_PKT0_SA_S7_S7_PS5_.has_indirect_call, 0
	.section	.AMDGPU.csdata,"",@progbits
; Kernel info:
; codeLenInByte = 428
; TotalNumSgprs: 35
; NumVgprs: 10
; NumAgprs: 0
; TotalNumVgprs: 10
; ScratchSize: 0
; MemoryBound: 0
; FloatMode: 240
; IeeeMode: 1
; LDSByteSize: 0 bytes/workgroup (compile time only)
; SGPRBlocks: 4
; VGPRBlocks: 1
; NumSGPRsForWavesPerEU: 35
; NumVGPRsForWavesPerEU: 10
; AccumOffset: 12
; Occupancy: 8
; WaveLimiterHint : 0
; COMPUTE_PGM_RSRC2:SCRATCH_EN: 0
; COMPUTE_PGM_RSRC2:USER_SGPR: 2
; COMPUTE_PGM_RSRC2:TRAP_HANDLER: 0
; COMPUTE_PGM_RSRC2:TGID_X_EN: 1
; COMPUTE_PGM_RSRC2:TGID_Y_EN: 0
; COMPUTE_PGM_RSRC2:TGID_Z_EN: 0
; COMPUTE_PGM_RSRC2:TIDIG_COMP_CNT: 0
; COMPUTE_PGM_RSRC3_GFX90A:ACCUM_OFFSET: 2
; COMPUTE_PGM_RSRC3_GFX90A:TG_SPLIT: 0
	.section	.text.unlikely._ZN2at6native12_GLOBAL__N_128vectorized_layer_norm_kernelIddLb1EEEviT0_PKT_S6_S6_PS3_S7_PS4_,"axG",@progbits,_ZN2at6native12_GLOBAL__N_128vectorized_layer_norm_kernelIddLb1EEEviT0_PKT_S6_S6_PS3_S7_PS4_,comdat
	.globl	_ZN2at6native12_GLOBAL__N_128vectorized_layer_norm_kernelIddLb1EEEviT0_PKT_S6_S6_PS3_S7_PS4_ ; -- Begin function _ZN2at6native12_GLOBAL__N_128vectorized_layer_norm_kernelIddLb1EEEviT0_PKT_S6_S6_PS3_S7_PS4_
	.p2align	8
	.type	_ZN2at6native12_GLOBAL__N_128vectorized_layer_norm_kernelIddLb1EEEviT0_PKT_S6_S6_PS3_S7_PS4_,@function
_ZN2at6native12_GLOBAL__N_128vectorized_layer_norm_kernelIddLb1EEEviT0_PKT_S6_S6_PS3_S7_PS4_: ; @_ZN2at6native12_GLOBAL__N_128vectorized_layer_norm_kernelIddLb1EEEviT0_PKT_S6_S6_PS3_S7_PS4_
; %bb.0:
	s_trap 2
	.section	.rodata,"a",@progbits
	.p2align	6, 0x0
	.amdhsa_kernel _ZN2at6native12_GLOBAL__N_128vectorized_layer_norm_kernelIddLb1EEEviT0_PKT_S6_S6_PS3_S7_PS4_
		.amdhsa_group_segment_fixed_size 0
		.amdhsa_private_segment_fixed_size 0
		.amdhsa_kernarg_size 64
		.amdhsa_user_sgpr_count 2
		.amdhsa_user_sgpr_dispatch_ptr 0
		.amdhsa_user_sgpr_queue_ptr 0
		.amdhsa_user_sgpr_kernarg_segment_ptr 1
		.amdhsa_user_sgpr_dispatch_id 0
		.amdhsa_user_sgpr_kernarg_preload_length 0
		.amdhsa_user_sgpr_kernarg_preload_offset 0
		.amdhsa_user_sgpr_private_segment_size 0
		.amdhsa_uses_dynamic_stack 0
		.amdhsa_enable_private_segment 0
		.amdhsa_system_sgpr_workgroup_id_x 1
		.amdhsa_system_sgpr_workgroup_id_y 0
		.amdhsa_system_sgpr_workgroup_id_z 0
		.amdhsa_system_sgpr_workgroup_info 0
		.amdhsa_system_vgpr_workitem_id 0
		.amdhsa_next_free_vgpr 1
		.amdhsa_next_free_sgpr 0
		.amdhsa_accum_offset 4
		.amdhsa_reserve_vcc 0
		.amdhsa_float_round_mode_32 0
		.amdhsa_float_round_mode_16_64 0
		.amdhsa_float_denorm_mode_32 3
		.amdhsa_float_denorm_mode_16_64 3
		.amdhsa_dx10_clamp 1
		.amdhsa_ieee_mode 1
		.amdhsa_fp16_overflow 0
		.amdhsa_tg_split 0
		.amdhsa_exception_fp_ieee_invalid_op 0
		.amdhsa_exception_fp_denorm_src 0
		.amdhsa_exception_fp_ieee_div_zero 0
		.amdhsa_exception_fp_ieee_overflow 0
		.amdhsa_exception_fp_ieee_underflow 0
		.amdhsa_exception_fp_ieee_inexact 0
		.amdhsa_exception_int_div_zero 0
	.end_amdhsa_kernel
	.section	.text.unlikely._ZN2at6native12_GLOBAL__N_128vectorized_layer_norm_kernelIddLb1EEEviT0_PKT_S6_S6_PS3_S7_PS4_,"axG",@progbits,_ZN2at6native12_GLOBAL__N_128vectorized_layer_norm_kernelIddLb1EEEviT0_PKT_S6_S6_PS3_S7_PS4_,comdat
.Lfunc_end12:
	.size	_ZN2at6native12_GLOBAL__N_128vectorized_layer_norm_kernelIddLb1EEEviT0_PKT_S6_S6_PS3_S7_PS4_, .Lfunc_end12-_ZN2at6native12_GLOBAL__N_128vectorized_layer_norm_kernelIddLb1EEEviT0_PKT_S6_S6_PS3_S7_PS4_
                                        ; -- End function
	.set _ZN2at6native12_GLOBAL__N_128vectorized_layer_norm_kernelIddLb1EEEviT0_PKT_S6_S6_PS3_S7_PS4_.num_vgpr, 0
	.set _ZN2at6native12_GLOBAL__N_128vectorized_layer_norm_kernelIddLb1EEEviT0_PKT_S6_S6_PS3_S7_PS4_.num_agpr, 0
	.set _ZN2at6native12_GLOBAL__N_128vectorized_layer_norm_kernelIddLb1EEEviT0_PKT_S6_S6_PS3_S7_PS4_.numbered_sgpr, 0
	.set _ZN2at6native12_GLOBAL__N_128vectorized_layer_norm_kernelIddLb1EEEviT0_PKT_S6_S6_PS3_S7_PS4_.num_named_barrier, 0
	.set _ZN2at6native12_GLOBAL__N_128vectorized_layer_norm_kernelIddLb1EEEviT0_PKT_S6_S6_PS3_S7_PS4_.private_seg_size, 0
	.set _ZN2at6native12_GLOBAL__N_128vectorized_layer_norm_kernelIddLb1EEEviT0_PKT_S6_S6_PS3_S7_PS4_.uses_vcc, 0
	.set _ZN2at6native12_GLOBAL__N_128vectorized_layer_norm_kernelIddLb1EEEviT0_PKT_S6_S6_PS3_S7_PS4_.uses_flat_scratch, 0
	.set _ZN2at6native12_GLOBAL__N_128vectorized_layer_norm_kernelIddLb1EEEviT0_PKT_S6_S6_PS3_S7_PS4_.has_dyn_sized_stack, 0
	.set _ZN2at6native12_GLOBAL__N_128vectorized_layer_norm_kernelIddLb1EEEviT0_PKT_S6_S6_PS3_S7_PS4_.has_recursion, 0
	.set _ZN2at6native12_GLOBAL__N_128vectorized_layer_norm_kernelIddLb1EEEviT0_PKT_S6_S6_PS3_S7_PS4_.has_indirect_call, 0
	.section	.AMDGPU.csdata,"",@progbits
; Kernel info:
; codeLenInByte = 4
; TotalNumSgprs: 6
; NumVgprs: 0
; NumAgprs: 0
; TotalNumVgprs: 0
; ScratchSize: 0
; MemoryBound: 0
; FloatMode: 240
; IeeeMode: 1
; LDSByteSize: 0 bytes/workgroup (compile time only)
; SGPRBlocks: 0
; VGPRBlocks: 0
; NumSGPRsForWavesPerEU: 6
; NumVGPRsForWavesPerEU: 1
; AccumOffset: 4
; Occupancy: 8
; WaveLimiterHint : 0
; COMPUTE_PGM_RSRC2:SCRATCH_EN: 0
; COMPUTE_PGM_RSRC2:USER_SGPR: 2
; COMPUTE_PGM_RSRC2:TRAP_HANDLER: 0
; COMPUTE_PGM_RSRC2:TGID_X_EN: 1
; COMPUTE_PGM_RSRC2:TGID_Y_EN: 0
; COMPUTE_PGM_RSRC2:TGID_Z_EN: 0
; COMPUTE_PGM_RSRC2:TIDIG_COMP_CNT: 0
; COMPUTE_PGM_RSRC3_GFX90A:ACCUM_OFFSET: 0
; COMPUTE_PGM_RSRC3_GFX90A:TG_SPLIT: 0
	.section	.text._ZN2at6native12_GLOBAL__N_124RowwiseMomentsCUDAKernelIddLb1EEEvlT0_PKT_PS3_S7_,"axG",@progbits,_ZN2at6native12_GLOBAL__N_124RowwiseMomentsCUDAKernelIddLb1EEEvlT0_PKT_PS3_S7_,comdat
	.globl	_ZN2at6native12_GLOBAL__N_124RowwiseMomentsCUDAKernelIddLb1EEEvlT0_PKT_PS3_S7_ ; -- Begin function _ZN2at6native12_GLOBAL__N_124RowwiseMomentsCUDAKernelIddLb1EEEvlT0_PKT_PS3_S7_
	.p2align	8
	.type	_ZN2at6native12_GLOBAL__N_124RowwiseMomentsCUDAKernelIddLb1EEEvlT0_PKT_PS3_S7_,@function
_ZN2at6native12_GLOBAL__N_124RowwiseMomentsCUDAKernelIddLb1EEEvlT0_PKT_PS3_S7_: ; @_ZN2at6native12_GLOBAL__N_124RowwiseMomentsCUDAKernelIddLb1EEEvlT0_PKT_PS3_S7_
; %bb.0:
	s_load_dwordx4 s[4:7], s[0:1], 0x0
	s_load_dwordx2 s[12:13], s[0:1], 0x10
	v_mov_b32_e32 v1, 0
	s_mov_b32 s3, 0
	v_mov_b64_e32 v[14:15], 0
	s_waitcnt lgkmcnt(0)
	v_cmp_gt_i64_e32 vcc, s[4:5], v[0:1]
	v_mov_b64_e32 v[10:11], 0
	v_mov_b64_e32 v[2:3], 0
	;; [unrolled: 1-line block ×3, first 2 shown]
	s_and_saveexec_b64 s[8:9], vcc
	s_cbranch_execz .LBB13_4
; %bb.1:
	s_load_dword s10, s[0:1], 0x34
	s_mul_i32 s14, s5, s2
	s_mul_hi_u32 s15, s4, s2
	s_add_i32 s15, s15, s14
	s_mul_i32 s14, s4, s2
	s_waitcnt lgkmcnt(0)
	s_and_b32 s10, s10, 0xffff
	s_lshl_b64 s[14:15], s[14:15], 3
	s_add_u32 s12, s12, s14
	v_lshlrev_b32_e32 v2, 3, v0
	v_mov_b32_e32 v3, v1
	s_addc_u32 s13, s13, s15
	s_mov_b32 s11, s3
	v_lshl_add_u64 v[6:7], s[12:13], 0, v[2:3]
	s_lshl_b32 s12, s10, 3
	s_mov_b32 s13, s3
	v_mov_b64_e32 v[2:3], 0
	s_mov_b64 s[14:15], 0
	v_mov_b64_e32 v[8:9], v[0:1]
	s_mov_b64 s[16:17], 0
	v_mov_b64_e32 v[4:5], 0
.LBB13_2:                               ; =>This Inner Loop Header: Depth=1
	global_load_dwordx2 v[12:13], v[6:7], off
	s_add_u32 s16, s16, 1
	s_addc_u32 s17, s17, 0
	v_cvt_f64_u32_e32 v[16:17], s17
	v_cvt_f64_u32_e32 v[10:11], s16
	v_ldexp_f64 v[16:17], v[16:17], 32
	v_add_f64 v[10:11], v[16:17], v[10:11]
	v_lshl_add_u64 v[8:9], v[8:9], 0, s[10:11]
	v_cmp_le_i64_e32 vcc, s[4:5], v[8:9]
	s_or_b64 s[14:15], vcc, s[14:15]
	v_lshl_add_u64 v[6:7], v[6:7], 0, s[12:13]
	v_mov_b64_e32 v[14:15], s[16:17]
	s_waitcnt vmcnt(0)
	v_add_f64 v[16:17], v[12:13], -v[4:5]
	v_div_scale_f64 v[18:19], s[18:19], v[10:11], v[10:11], v[16:17]
	v_rcp_f64_e32 v[20:21], v[18:19]
	v_div_scale_f64 v[22:23], vcc, v[16:17], v[10:11], v[16:17]
	v_fma_f64 v[24:25], -v[18:19], v[20:21], 1.0
	v_fmac_f64_e32 v[20:21], v[20:21], v[24:25]
	v_fma_f64 v[24:25], -v[18:19], v[20:21], 1.0
	v_fmac_f64_e32 v[20:21], v[20:21], v[24:25]
	v_mul_f64 v[24:25], v[22:23], v[20:21]
	v_fma_f64 v[18:19], -v[18:19], v[24:25], v[22:23]
	v_div_fmas_f64 v[18:19], v[18:19], v[20:21], v[24:25]
	v_div_fixup_f64 v[18:19], v[18:19], v[10:11], v[16:17]
	v_add_f64 v[4:5], v[4:5], v[18:19]
	v_add_f64 v[12:13], v[12:13], -v[4:5]
	v_fmac_f64_e32 v[2:3], v[16:17], v[12:13]
	s_andn2_b64 exec, exec, s[14:15]
	s_cbranch_execnz .LBB13_2
; %bb.3:
	s_or_b64 exec, exec, s[14:15]
.LBB13_4:
	s_or_b64 exec, exec, s[8:9]
	v_mbcnt_lo_u32_b32 v1, -1, 0
	v_mbcnt_hi_u32_b32 v22, -1, v1
	v_mov_b32_e32 v1, 0x80
	v_lshl_or_b32 v1, v22, 2, v1
	ds_bpermute_b32 v8, v1, v4
	ds_bpermute_b32 v9, v1, v5
	;; [unrolled: 1-line block ×8, first 2 shown]
	v_cmp_neq_f64_e32 vcc, 0, v[10:11]
	s_and_saveexec_b64 s[4:5], vcc
	s_cbranch_execz .LBB13_8
; %bb.5:
	s_waitcnt lgkmcnt(0)
	v_cmp_neq_f64_e32 vcc, 0, v[12:13]
	s_and_saveexec_b64 s[8:9], vcc
	s_cbranch_execz .LBB13_7
; %bb.6:
	v_add_f64 v[16:17], v[10:11], v[12:13]
	v_div_scale_f64 v[14:15], s[10:11], v[16:17], v[16:17], v[12:13]
	v_rcp_f64_e32 v[18:19], v[14:15]
	v_add_f64 v[8:9], v[8:9], -v[4:5]
	v_add_f64 v[2:3], v[2:3], v[6:7]
	v_mul_f64 v[6:7], v[8:9], v[8:9]
	v_fma_f64 v[20:21], -v[14:15], v[18:19], 1.0
	v_fmac_f64_e32 v[18:19], v[18:19], v[20:21]
	v_fma_f64 v[20:21], -v[14:15], v[18:19], 1.0
	v_fmac_f64_e32 v[18:19], v[18:19], v[20:21]
	v_div_scale_f64 v[20:21], vcc, v[12:13], v[16:17], v[12:13]
	v_mul_f64 v[24:25], v[20:21], v[18:19]
	v_fma_f64 v[14:15], -v[14:15], v[24:25], v[20:21]
	v_mul_f64 v[6:7], v[10:11], v[6:7]
	s_nop 0
	v_div_fmas_f64 v[14:15], v[14:15], v[18:19], v[24:25]
	v_div_fixup_f64 v[12:13], v[14:15], v[16:17], v[12:13]
	v_fmac_f64_e32 v[4:5], v[8:9], v[12:13]
	v_fmac_f64_e32 v[2:3], v[6:7], v[12:13]
	v_mov_b64_e32 v[14:15], -1
	v_mov_b64_e32 v[10:11], v[16:17]
.LBB13_7:
	s_or_b64 exec, exec, s[8:9]
	v_mov_b64_e32 v[12:13], v[10:11]
	v_mov_b64_e32 v[16:17], v[14:15]
	;; [unrolled: 1-line block ×4, first 2 shown]
.LBB13_8:
	s_or_b64 exec, exec, s[4:5]
	v_and_b32_e32 v23, 63, v22
	v_cmp_gt_u32_e32 vcc, 48, v23
	s_nop 1
	v_cndmask_b32_e64 v2, 0, 16, vcc
	v_add_lshl_u32 v20, v2, v22, 2
	s_waitcnt lgkmcnt(7)
	ds_bpermute_b32 v10, v20, v8
	s_waitcnt lgkmcnt(7)
	ds_bpermute_b32 v11, v20, v9
	s_waitcnt lgkmcnt(7)
	ds_bpermute_b32 v2, v20, v6
	s_waitcnt lgkmcnt(7)
	ds_bpermute_b32 v3, v20, v7
	s_waitcnt lgkmcnt(7)
	ds_bpermute_b32 v18, v20, v16
	s_waitcnt lgkmcnt(7)
	ds_bpermute_b32 v19, v20, v17
	s_waitcnt lgkmcnt(7)
	ds_bpermute_b32 v14, v20, v12
	s_waitcnt lgkmcnt(7)
	ds_bpermute_b32 v15, v20, v13
	v_cmp_neq_f64_e32 vcc, 0, v[12:13]
	s_and_saveexec_b64 s[4:5], vcc
	s_cbranch_execz .LBB13_12
; %bb.9:
	s_waitcnt lgkmcnt(0)
	v_cmp_neq_f64_e32 vcc, 0, v[14:15]
	s_and_saveexec_b64 s[8:9], vcc
	s_cbranch_execz .LBB13_11
; %bb.10:
	v_add_f64 v[4:5], v[12:13], v[14:15]
	v_div_scale_f64 v[16:17], s[10:11], v[4:5], v[4:5], v[14:15]
	v_rcp_f64_e32 v[18:19], v[16:17]
	v_add_f64 v[10:11], v[10:11], -v[8:9]
	v_add_f64 v[6:7], v[6:7], v[2:3]
	v_mul_f64 v[2:3], v[10:11], v[10:11]
	v_fma_f64 v[24:25], -v[16:17], v[18:19], 1.0
	v_fmac_f64_e32 v[18:19], v[18:19], v[24:25]
	v_fma_f64 v[24:25], -v[16:17], v[18:19], 1.0
	v_fmac_f64_e32 v[18:19], v[18:19], v[24:25]
	v_div_scale_f64 v[24:25], vcc, v[14:15], v[4:5], v[14:15]
	v_mul_f64 v[26:27], v[24:25], v[18:19]
	v_fma_f64 v[16:17], -v[16:17], v[26:27], v[24:25]
	v_mul_f64 v[2:3], v[12:13], v[2:3]
	s_nop 0
	v_div_fmas_f64 v[16:17], v[16:17], v[18:19], v[26:27]
	v_div_fixup_f64 v[14:15], v[16:17], v[4:5], v[14:15]
	v_fmac_f64_e32 v[8:9], v[10:11], v[14:15]
	v_fmac_f64_e32 v[6:7], v[2:3], v[14:15]
	v_mov_b64_e32 v[16:17], -1
	v_mov_b64_e32 v[12:13], v[4:5]
.LBB13_11:
	s_or_b64 exec, exec, s[8:9]
	v_mov_b64_e32 v[14:15], v[12:13]
	v_mov_b64_e32 v[18:19], v[16:17]
	v_mov_b64_e32 v[2:3], v[6:7]
	v_mov_b64_e32 v[10:11], v[8:9]
.LBB13_12:
	s_or_b64 exec, exec, s[4:5]
	v_cmp_gt_u32_e32 vcc, 56, v23
	s_nop 1
	v_cndmask_b32_e64 v4, 0, 8, vcc
	v_add_lshl_u32 v21, v4, v22, 2
	s_waitcnt lgkmcnt(7)
	ds_bpermute_b32 v6, v21, v10
	s_waitcnt lgkmcnt(7)
	ds_bpermute_b32 v7, v21, v11
	s_waitcnt lgkmcnt(7)
	ds_bpermute_b32 v4, v21, v2
	s_waitcnt lgkmcnt(7)
	ds_bpermute_b32 v5, v21, v3
	s_waitcnt lgkmcnt(7)
	ds_bpermute_b32 v16, v21, v18
	s_waitcnt lgkmcnt(7)
	ds_bpermute_b32 v17, v21, v19
	s_waitcnt lgkmcnt(7)
	ds_bpermute_b32 v12, v21, v14
	s_waitcnt lgkmcnt(7)
	ds_bpermute_b32 v13, v21, v15
	v_cmp_neq_f64_e32 vcc, 0, v[14:15]
	s_and_saveexec_b64 s[4:5], vcc
	s_cbranch_execz .LBB13_16
; %bb.13:
	s_waitcnt lgkmcnt(0)
	v_cmp_neq_f64_e32 vcc, 0, v[12:13]
	s_and_saveexec_b64 s[8:9], vcc
	s_cbranch_execz .LBB13_15
; %bb.14:
	v_add_f64 v[8:9], v[14:15], v[12:13]
	v_div_scale_f64 v[16:17], s[10:11], v[8:9], v[8:9], v[12:13]
	v_rcp_f64_e32 v[18:19], v[16:17]
	v_add_f64 v[6:7], v[6:7], -v[10:11]
	v_add_f64 v[2:3], v[2:3], v[4:5]
	v_mul_f64 v[4:5], v[6:7], v[6:7]
	v_fma_f64 v[24:25], -v[16:17], v[18:19], 1.0
	v_fmac_f64_e32 v[18:19], v[18:19], v[24:25]
	v_fma_f64 v[24:25], -v[16:17], v[18:19], 1.0
	v_fmac_f64_e32 v[18:19], v[18:19], v[24:25]
	v_div_scale_f64 v[24:25], vcc, v[12:13], v[8:9], v[12:13]
	v_mul_f64 v[26:27], v[24:25], v[18:19]
	v_fma_f64 v[16:17], -v[16:17], v[26:27], v[24:25]
	v_mul_f64 v[4:5], v[14:15], v[4:5]
	s_nop 0
	v_div_fmas_f64 v[16:17], v[16:17], v[18:19], v[26:27]
	v_div_fixup_f64 v[12:13], v[16:17], v[8:9], v[12:13]
	v_fmac_f64_e32 v[10:11], v[6:7], v[12:13]
	v_fmac_f64_e32 v[2:3], v[4:5], v[12:13]
	v_mov_b64_e32 v[18:19], -1
	v_mov_b64_e32 v[14:15], v[8:9]
.LBB13_15:
	s_or_b64 exec, exec, s[8:9]
	v_mov_b64_e32 v[12:13], v[14:15]
	v_mov_b64_e32 v[16:17], v[18:19]
	v_mov_b64_e32 v[4:5], v[2:3]
	v_mov_b64_e32 v[6:7], v[10:11]
.LBB13_16:
	s_or_b64 exec, exec, s[4:5]
	v_cmp_gt_u32_e32 vcc, 60, v23
	s_nop 1
	v_cndmask_b32_e64 v2, 0, 4, vcc
	v_add_lshl_u32 v18, v2, v22, 2
	s_waitcnt lgkmcnt(7)
	ds_bpermute_b32 v8, v18, v6
	s_waitcnt lgkmcnt(7)
	ds_bpermute_b32 v9, v18, v7
	s_waitcnt lgkmcnt(7)
	ds_bpermute_b32 v2, v18, v4
	s_waitcnt lgkmcnt(7)
	ds_bpermute_b32 v3, v18, v5
	s_waitcnt lgkmcnt(7)
	ds_bpermute_b32 v14, v18, v16
	s_waitcnt lgkmcnt(7)
	ds_bpermute_b32 v15, v18, v17
	s_waitcnt lgkmcnt(7)
	ds_bpermute_b32 v10, v18, v12
	s_waitcnt lgkmcnt(7)
	ds_bpermute_b32 v11, v18, v13
	v_cmp_neq_f64_e32 vcc, 0, v[12:13]
	s_and_saveexec_b64 s[4:5], vcc
	s_cbranch_execz .LBB13_20
; %bb.17:
	s_waitcnt lgkmcnt(0)
	v_cmp_neq_f64_e32 vcc, 0, v[10:11]
	s_and_saveexec_b64 s[8:9], vcc
	s_cbranch_execz .LBB13_19
; %bb.18:
	v_add_f64 v[14:15], v[12:13], v[10:11]
	v_div_scale_f64 v[16:17], s[10:11], v[14:15], v[14:15], v[10:11]
	v_rcp_f64_e32 v[24:25], v[16:17]
	v_add_f64 v[8:9], v[8:9], -v[6:7]
	v_add_f64 v[4:5], v[4:5], v[2:3]
	v_mul_f64 v[2:3], v[8:9], v[8:9]
	v_fma_f64 v[26:27], -v[16:17], v[24:25], 1.0
	v_fmac_f64_e32 v[24:25], v[24:25], v[26:27]
	v_fma_f64 v[26:27], -v[16:17], v[24:25], 1.0
	v_fmac_f64_e32 v[24:25], v[24:25], v[26:27]
	v_div_scale_f64 v[26:27], vcc, v[10:11], v[14:15], v[10:11]
	v_mul_f64 v[28:29], v[26:27], v[24:25]
	v_fma_f64 v[16:17], -v[16:17], v[28:29], v[26:27]
	v_mul_f64 v[2:3], v[12:13], v[2:3]
	s_nop 0
	v_div_fmas_f64 v[16:17], v[16:17], v[24:25], v[28:29]
	v_div_fixup_f64 v[10:11], v[16:17], v[14:15], v[10:11]
	v_fmac_f64_e32 v[6:7], v[8:9], v[10:11]
	v_fmac_f64_e32 v[4:5], v[2:3], v[10:11]
	v_mov_b64_e32 v[16:17], -1
	v_mov_b64_e32 v[12:13], v[14:15]
.LBB13_19:
	s_or_b64 exec, exec, s[8:9]
	v_mov_b64_e32 v[10:11], v[12:13]
	v_mov_b64_e32 v[14:15], v[16:17]
	v_mov_b64_e32 v[2:3], v[4:5]
	v_mov_b64_e32 v[8:9], v[6:7]
.LBB13_20:
	s_or_b64 exec, exec, s[4:5]
	v_cmp_gt_u32_e32 vcc, 62, v23
	s_nop 1
	v_cndmask_b32_e64 v4, 0, 2, vcc
	v_add_lshl_u32 v19, v4, v22, 2
	s_waitcnt lgkmcnt(7)
	ds_bpermute_b32 v6, v19, v8
	s_waitcnt lgkmcnt(7)
	ds_bpermute_b32 v7, v19, v9
	s_waitcnt lgkmcnt(7)
	ds_bpermute_b32 v4, v19, v2
	s_waitcnt lgkmcnt(7)
	ds_bpermute_b32 v5, v19, v3
	s_waitcnt lgkmcnt(7)
	ds_bpermute_b32 v16, v19, v14
	s_waitcnt lgkmcnt(7)
	ds_bpermute_b32 v17, v19, v15
	s_waitcnt lgkmcnt(7)
	ds_bpermute_b32 v12, v19, v10
	s_waitcnt lgkmcnt(7)
	ds_bpermute_b32 v13, v19, v11
	v_cmp_neq_f64_e32 vcc, 0, v[10:11]
	s_and_saveexec_b64 s[4:5], vcc
	s_cbranch_execz .LBB13_24
; %bb.21:
	s_waitcnt lgkmcnt(0)
	v_cmp_neq_f64_e32 vcc, 0, v[12:13]
	s_and_saveexec_b64 s[8:9], vcc
	s_cbranch_execz .LBB13_23
; %bb.22:
	v_add_f64 v[16:17], v[10:11], v[12:13]
	v_div_scale_f64 v[14:15], s[10:11], v[16:17], v[16:17], v[12:13]
	v_rcp_f64_e32 v[24:25], v[14:15]
	v_add_f64 v[6:7], v[6:7], -v[8:9]
	v_add_f64 v[2:3], v[2:3], v[4:5]
	v_mul_f64 v[4:5], v[6:7], v[6:7]
	v_fma_f64 v[26:27], -v[14:15], v[24:25], 1.0
	v_fmac_f64_e32 v[24:25], v[24:25], v[26:27]
	v_fma_f64 v[26:27], -v[14:15], v[24:25], 1.0
	v_fmac_f64_e32 v[24:25], v[24:25], v[26:27]
	v_div_scale_f64 v[26:27], vcc, v[12:13], v[16:17], v[12:13]
	v_mul_f64 v[28:29], v[26:27], v[24:25]
	v_fma_f64 v[14:15], -v[14:15], v[28:29], v[26:27]
	v_mul_f64 v[4:5], v[10:11], v[4:5]
	s_nop 0
	v_div_fmas_f64 v[14:15], v[14:15], v[24:25], v[28:29]
	v_div_fixup_f64 v[12:13], v[14:15], v[16:17], v[12:13]
	v_fmac_f64_e32 v[8:9], v[6:7], v[12:13]
	v_fmac_f64_e32 v[2:3], v[4:5], v[12:13]
	v_mov_b64_e32 v[14:15], -1
	v_mov_b64_e32 v[10:11], v[16:17]
.LBB13_23:
	s_or_b64 exec, exec, s[8:9]
	v_mov_b64_e32 v[12:13], v[10:11]
	v_mov_b64_e32 v[16:17], v[14:15]
	v_mov_b64_e32 v[4:5], v[2:3]
	v_mov_b64_e32 v[6:7], v[8:9]
.LBB13_24:
	s_or_b64 exec, exec, s[4:5]
	v_cmp_ne_u32_e32 vcc, 63, v23
	s_nop 1
	v_addc_co_u32_e32 v2, vcc, 0, v22, vcc
	v_lshlrev_b32_e32 v22, 2, v2
	s_waitcnt lgkmcnt(7)
	ds_bpermute_b32 v10, v22, v6
	s_waitcnt lgkmcnt(7)
	ds_bpermute_b32 v11, v22, v7
	;; [unrolled: 2-line block ×8, first 2 shown]
	v_cmp_neq_f64_e32 vcc, 0, v[12:13]
	s_and_saveexec_b64 s[4:5], vcc
	s_cbranch_execz .LBB13_28
; %bb.25:
	s_waitcnt lgkmcnt(0)
	v_cmp_neq_f64_e32 vcc, 0, v[8:9]
	s_and_saveexec_b64 s[8:9], vcc
	s_cbranch_execz .LBB13_27
; %bb.26:
	v_add_f64 v[14:15], v[12:13], v[8:9]
	v_div_scale_f64 v[16:17], s[10:11], v[14:15], v[14:15], v[8:9]
	v_rcp_f64_e32 v[24:25], v[16:17]
	v_add_f64 v[10:11], v[10:11], -v[6:7]
	v_add_f64 v[4:5], v[4:5], v[2:3]
	v_mul_f64 v[2:3], v[10:11], v[10:11]
	v_fma_f64 v[26:27], -v[16:17], v[24:25], 1.0
	v_fmac_f64_e32 v[24:25], v[24:25], v[26:27]
	v_fma_f64 v[26:27], -v[16:17], v[24:25], 1.0
	v_fmac_f64_e32 v[24:25], v[24:25], v[26:27]
	v_div_scale_f64 v[26:27], vcc, v[8:9], v[14:15], v[8:9]
	v_mul_f64 v[28:29], v[26:27], v[24:25]
	v_fma_f64 v[16:17], -v[16:17], v[28:29], v[26:27]
	v_mul_f64 v[2:3], v[12:13], v[2:3]
	s_nop 0
	v_div_fmas_f64 v[16:17], v[16:17], v[24:25], v[28:29]
	v_div_fixup_f64 v[8:9], v[16:17], v[14:15], v[8:9]
	v_fmac_f64_e32 v[6:7], v[10:11], v[8:9]
	v_fmac_f64_e32 v[4:5], v[2:3], v[8:9]
	v_mov_b64_e32 v[16:17], -1
	v_mov_b64_e32 v[12:13], v[14:15]
.LBB13_27:
	s_or_b64 exec, exec, s[8:9]
	v_mov_b64_e32 v[8:9], v[12:13]
	v_mov_b64_e32 v[14:15], v[16:17]
	v_mov_b64_e32 v[2:3], v[4:5]
	v_mov_b64_e32 v[10:11], v[6:7]
.LBB13_28:
	s_or_b64 exec, exec, s[4:5]
	v_and_b32_e32 v4, 63, v0
	v_cmp_eq_u32_e32 vcc, 0, v4
	s_waitcnt lgkmcnt(0)
	s_barrier
	s_and_saveexec_b64 s[4:5], vcc
	s_cbranch_execz .LBB13_30
; %bb.29:
	v_lshrrev_b32_e32 v5, 1, v0
	ds_write2_b64 v5, v[10:11], v[2:3] offset1:1
	ds_write2_b64 v5, v[14:15], v[8:9] offset0:2 offset1:3
.LBB13_30:
	s_or_b64 exec, exec, s[4:5]
	s_waitcnt lgkmcnt(0)
	s_barrier
	s_load_dword s4, s[0:1], 0x34
	v_lshlrev_b32_e32 v8, 5, v4
	v_mov_b64_e32 v[2:3], 0
	v_mov_b64_e32 v[4:5], 0
	s_waitcnt lgkmcnt(0)
	s_bfe_u32 s4, s4, 0xa0006
	v_cmp_gt_u32_e32 vcc, s4, v0
	s_and_saveexec_b64 s[4:5], vcc
	s_cbranch_execnz .LBB13_36
; %bb.31:
	s_or_b64 exec, exec, s[4:5]
	s_and_saveexec_b64 s[4:5], vcc
	s_cbranch_execnz .LBB13_37
.LBB13_32:
	s_or_b64 exec, exec, s[4:5]
	v_mov_b64_e32 v[6:7], 0
	s_and_saveexec_b64 s[4:5], vcc
	s_cbranch_execnz .LBB13_38
.LBB13_33:
	s_or_b64 exec, exec, s[4:5]
	v_cmp_gt_u32_e32 vcc, 64, v0
	s_and_saveexec_b64 s[4:5], vcc
	s_cbranch_execnz .LBB13_39
.LBB13_34:
	s_or_b64 exec, exec, s[4:5]
	v_cmp_eq_u32_e32 vcc, 0, v0
	s_and_saveexec_b64 s[4:5], vcc
	s_cbranch_execnz .LBB13_64
.LBB13_35:
	s_endpgm
.LBB13_36:
	ds_read_b64 v[4:5], v8
	s_or_b64 exec, exec, s[4:5]
	s_and_saveexec_b64 s[4:5], vcc
	s_cbranch_execz .LBB13_32
.LBB13_37:
	ds_read_b64 v[2:3], v8 offset:8
	s_or_b64 exec, exec, s[4:5]
	v_mov_b64_e32 v[6:7], 0
	s_and_saveexec_b64 s[4:5], vcc
	s_cbranch_execz .LBB13_33
.LBB13_38:
	ds_read_b64 v[6:7], v8 offset:24
	s_or_b64 exec, exec, s[4:5]
	v_cmp_gt_u32_e32 vcc, 64, v0
	s_and_saveexec_b64 s[4:5], vcc
	s_cbranch_execz .LBB13_34
.LBB13_39:
	s_waitcnt lgkmcnt(0)
	ds_bpermute_b32 v10, v1, v4
	ds_bpermute_b32 v11, v1, v5
	;; [unrolled: 1-line block ×6, first 2 shown]
	v_cmp_neq_f64_e32 vcc, 0, v[6:7]
	s_and_saveexec_b64 s[8:9], vcc
	s_cbranch_execz .LBB13_43
; %bb.40:
	s_waitcnt lgkmcnt(0)
	v_cmp_neq_f64_e32 vcc, 0, v[12:13]
	s_and_saveexec_b64 s[10:11], vcc
	s_cbranch_execz .LBB13_42
; %bb.41:
	v_add_f64 v[14:15], v[6:7], v[12:13]
	v_div_scale_f64 v[16:17], s[12:13], v[14:15], v[14:15], v[12:13]
	v_rcp_f64_e32 v[24:25], v[16:17]
	v_add_f64 v[10:11], v[10:11], -v[4:5]
	v_add_f64 v[2:3], v[2:3], v[8:9]
	v_mul_f64 v[8:9], v[10:11], v[10:11]
	v_fma_f64 v[26:27], -v[16:17], v[24:25], 1.0
	v_fmac_f64_e32 v[24:25], v[24:25], v[26:27]
	v_fma_f64 v[26:27], -v[16:17], v[24:25], 1.0
	v_fmac_f64_e32 v[24:25], v[24:25], v[26:27]
	v_div_scale_f64 v[26:27], vcc, v[12:13], v[14:15], v[12:13]
	v_mul_f64 v[28:29], v[26:27], v[24:25]
	v_fma_f64 v[16:17], -v[16:17], v[28:29], v[26:27]
	v_mul_f64 v[6:7], v[6:7], v[8:9]
	s_nop 0
	v_div_fmas_f64 v[16:17], v[16:17], v[24:25], v[28:29]
	v_div_fixup_f64 v[12:13], v[16:17], v[14:15], v[12:13]
	v_fmac_f64_e32 v[4:5], v[10:11], v[12:13]
	v_fmac_f64_e32 v[2:3], v[6:7], v[12:13]
	v_mov_b64_e32 v[6:7], v[14:15]
.LBB13_42:
	s_or_b64 exec, exec, s[10:11]
	v_mov_b64_e32 v[12:13], v[6:7]
	v_mov_b64_e32 v[8:9], v[2:3]
	v_mov_b64_e32 v[10:11], v[4:5]
.LBB13_43:
	s_or_b64 exec, exec, s[8:9]
	s_waitcnt lgkmcnt(5)
	ds_bpermute_b32 v6, v20, v10
	s_waitcnt lgkmcnt(5)
	ds_bpermute_b32 v7, v20, v11
	s_waitcnt lgkmcnt(5)
	ds_bpermute_b32 v2, v20, v8
	s_waitcnt lgkmcnt(5)
	ds_bpermute_b32 v3, v20, v9
	s_waitcnt lgkmcnt(5)
	ds_bpermute_b32 v14, v20, v12
	s_waitcnt lgkmcnt(5)
	ds_bpermute_b32 v15, v20, v13
	v_cmp_neq_f64_e32 vcc, 0, v[12:13]
	s_and_saveexec_b64 s[8:9], vcc
	s_cbranch_execz .LBB13_47
; %bb.44:
	s_waitcnt lgkmcnt(0)
	v_cmp_neq_f64_e32 vcc, 0, v[14:15]
	s_and_saveexec_b64 s[10:11], vcc
	s_cbranch_execz .LBB13_46
; %bb.45:
	v_add_f64 v[4:5], v[12:13], v[14:15]
	v_div_scale_f64 v[16:17], s[12:13], v[4:5], v[4:5], v[14:15]
	v_rcp_f64_e32 v[24:25], v[16:17]
	v_add_f64 v[6:7], v[6:7], -v[10:11]
	v_add_f64 v[8:9], v[8:9], v[2:3]
	v_mul_f64 v[2:3], v[6:7], v[6:7]
	v_fma_f64 v[26:27], -v[16:17], v[24:25], 1.0
	v_fmac_f64_e32 v[24:25], v[24:25], v[26:27]
	v_fma_f64 v[26:27], -v[16:17], v[24:25], 1.0
	v_fmac_f64_e32 v[24:25], v[24:25], v[26:27]
	v_div_scale_f64 v[26:27], vcc, v[14:15], v[4:5], v[14:15]
	v_mul_f64 v[28:29], v[26:27], v[24:25]
	v_fma_f64 v[16:17], -v[16:17], v[28:29], v[26:27]
	v_mul_f64 v[2:3], v[12:13], v[2:3]
	s_nop 0
	v_div_fmas_f64 v[16:17], v[16:17], v[24:25], v[28:29]
	v_div_fixup_f64 v[14:15], v[16:17], v[4:5], v[14:15]
	v_fmac_f64_e32 v[10:11], v[6:7], v[14:15]
	v_fmac_f64_e32 v[8:9], v[2:3], v[14:15]
	v_mov_b64_e32 v[12:13], v[4:5]
.LBB13_46:
	s_or_b64 exec, exec, s[10:11]
	v_mov_b64_e32 v[14:15], v[12:13]
	v_mov_b64_e32 v[2:3], v[8:9]
	v_mov_b64_e32 v[6:7], v[10:11]
.LBB13_47:
	s_or_b64 exec, exec, s[8:9]
	s_waitcnt lgkmcnt(5)
	ds_bpermute_b32 v8, v21, v6
	s_waitcnt lgkmcnt(5)
	ds_bpermute_b32 v9, v21, v7
	s_waitcnt lgkmcnt(5)
	ds_bpermute_b32 v4, v21, v2
	s_waitcnt lgkmcnt(5)
	ds_bpermute_b32 v5, v21, v3
	s_waitcnt lgkmcnt(5)
	ds_bpermute_b32 v10, v21, v14
	s_waitcnt lgkmcnt(5)
	ds_bpermute_b32 v11, v21, v15
	;; [unrolled: 48-line block ×5, first 2 shown]
	v_cmp_neq_f64_e32 vcc, 0, v[12:13]
	s_and_saveexec_b64 s[8:9], vcc
	s_cbranch_execz .LBB13_63
; %bb.60:
	s_waitcnt lgkmcnt(0)
	v_cmp_neq_f64_e32 vcc, 0, v[6:7]
	s_and_saveexec_b64 s[10:11], vcc
	s_cbranch_execz .LBB13_62
; %bb.61:
	v_add_f64 v[14:15], v[12:13], v[6:7]
	v_div_scale_f64 v[16:17], s[12:13], v[14:15], v[14:15], v[6:7]
	v_rcp_f64_e32 v[18:19], v[16:17]
	v_add_f64 v[4:5], v[4:5], -v[10:11]
	v_add_f64 v[8:9], v[8:9], v[2:3]
	v_mul_f64 v[2:3], v[4:5], v[4:5]
	v_fma_f64 v[20:21], -v[16:17], v[18:19], 1.0
	v_fmac_f64_e32 v[18:19], v[18:19], v[20:21]
	v_fma_f64 v[20:21], -v[16:17], v[18:19], 1.0
	v_fmac_f64_e32 v[18:19], v[18:19], v[20:21]
	v_div_scale_f64 v[20:21], vcc, v[6:7], v[14:15], v[6:7]
	v_mul_f64 v[22:23], v[20:21], v[18:19]
	v_fma_f64 v[16:17], -v[16:17], v[22:23], v[20:21]
	v_mul_f64 v[2:3], v[12:13], v[2:3]
	s_nop 0
	v_div_fmas_f64 v[16:17], v[16:17], v[18:19], v[22:23]
	v_div_fixup_f64 v[6:7], v[16:17], v[14:15], v[6:7]
	v_fmac_f64_e32 v[10:11], v[4:5], v[6:7]
	v_fmac_f64_e32 v[8:9], v[2:3], v[6:7]
	v_mov_b64_e32 v[12:13], v[14:15]
.LBB13_62:
	s_or_b64 exec, exec, s[10:11]
	v_mov_b64_e32 v[6:7], v[12:13]
	v_mov_b64_e32 v[2:3], v[8:9]
	;; [unrolled: 1-line block ×3, first 2 shown]
.LBB13_63:
	s_or_b64 exec, exec, s[8:9]
	s_or_b64 exec, exec, s[4:5]
	v_cmp_eq_u32_e32 vcc, 0, v0
	s_and_saveexec_b64 s[4:5], vcc
	s_cbranch_execz .LBB13_35
.LBB13_64:
	s_waitcnt lgkmcnt(0)
	v_max_f64 v[0:1], v[6:7], v[6:7]
	v_max_f64 v[0:1], v[0:1], 0
	v_div_scale_f64 v[6:7], s[4:5], v[0:1], v[0:1], v[2:3]
	v_rcp_f64_e32 v[8:9], v[6:7]
	v_div_scale_f64 v[10:11], vcc, v[2:3], v[0:1], v[2:3]
	s_load_dwordx2 s[0:1], s[0:1], 0x20
	v_fma_f64 v[12:13], -v[6:7], v[8:9], 1.0
	v_fmac_f64_e32 v[8:9], v[8:9], v[12:13]
	v_fma_f64 v[12:13], -v[6:7], v[8:9], 1.0
	v_fmac_f64_e32 v[8:9], v[8:9], v[12:13]
	v_mul_f64 v[12:13], v[10:11], v[8:9]
	v_fma_f64 v[6:7], -v[6:7], v[12:13], v[10:11]
	v_div_fmas_f64 v[6:7], v[6:7], v[8:9], v[12:13]
	v_div_fixup_f64 v[0:1], v[6:7], v[0:1], v[2:3]
	v_fmac_f64_e32 v[0:1], v[4:5], v[4:5]
	v_add_f64 v[0:1], s[6:7], v[0:1]
	v_rsq_f64_e32 v[2:3], v[0:1]
	s_mov_b32 s4, 0
	s_mov_b32 s5, 0x3fd80000
	s_lshl_b64 s[2:3], s[2:3], 3
	v_mul_f64 v[0:1], v[2:3], -v[0:1]
	v_fma_f64 v[0:1], v[0:1], v[2:3], 1.0
	v_mul_f64 v[4:5], v[2:3], v[0:1]
	v_fma_f64 v[0:1], v[0:1], s[4:5], 0.5
	v_fma_f64 v[0:1], v[4:5], v[0:1], v[2:3]
	v_mov_b32_e32 v4, 0x180
	v_cmp_class_f64_e32 vcc, v[2:3], v4
	s_waitcnt lgkmcnt(0)
	s_add_u32 s0, s0, s2
	s_addc_u32 s1, s1, s3
	v_cndmask_b32_e32 v1, v3, v1, vcc
	v_cndmask_b32_e32 v0, v2, v0, vcc
	v_mov_b32_e32 v2, 0
	global_store_dwordx2 v2, v[0:1], s[0:1]
	s_endpgm
	.section	.rodata,"a",@progbits
	.p2align	6, 0x0
	.amdhsa_kernel _ZN2at6native12_GLOBAL__N_124RowwiseMomentsCUDAKernelIddLb1EEEvlT0_PKT_PS3_S7_
		.amdhsa_group_segment_fixed_size 2048
		.amdhsa_private_segment_fixed_size 0
		.amdhsa_kernarg_size 296
		.amdhsa_user_sgpr_count 2
		.amdhsa_user_sgpr_dispatch_ptr 0
		.amdhsa_user_sgpr_queue_ptr 0
		.amdhsa_user_sgpr_kernarg_segment_ptr 1
		.amdhsa_user_sgpr_dispatch_id 0
		.amdhsa_user_sgpr_kernarg_preload_length 0
		.amdhsa_user_sgpr_kernarg_preload_offset 0
		.amdhsa_user_sgpr_private_segment_size 0
		.amdhsa_uses_dynamic_stack 0
		.amdhsa_enable_private_segment 0
		.amdhsa_system_sgpr_workgroup_id_x 1
		.amdhsa_system_sgpr_workgroup_id_y 0
		.amdhsa_system_sgpr_workgroup_id_z 0
		.amdhsa_system_sgpr_workgroup_info 0
		.amdhsa_system_vgpr_workitem_id 0
		.amdhsa_next_free_vgpr 30
		.amdhsa_next_free_sgpr 20
		.amdhsa_accum_offset 32
		.amdhsa_reserve_vcc 1
		.amdhsa_float_round_mode_32 0
		.amdhsa_float_round_mode_16_64 0
		.amdhsa_float_denorm_mode_32 3
		.amdhsa_float_denorm_mode_16_64 3
		.amdhsa_dx10_clamp 1
		.amdhsa_ieee_mode 1
		.amdhsa_fp16_overflow 0
		.amdhsa_tg_split 0
		.amdhsa_exception_fp_ieee_invalid_op 0
		.amdhsa_exception_fp_denorm_src 0
		.amdhsa_exception_fp_ieee_div_zero 0
		.amdhsa_exception_fp_ieee_overflow 0
		.amdhsa_exception_fp_ieee_underflow 0
		.amdhsa_exception_fp_ieee_inexact 0
		.amdhsa_exception_int_div_zero 0
	.end_amdhsa_kernel
	.section	.text._ZN2at6native12_GLOBAL__N_124RowwiseMomentsCUDAKernelIddLb1EEEvlT0_PKT_PS3_S7_,"axG",@progbits,_ZN2at6native12_GLOBAL__N_124RowwiseMomentsCUDAKernelIddLb1EEEvlT0_PKT_PS3_S7_,comdat
.Lfunc_end13:
	.size	_ZN2at6native12_GLOBAL__N_124RowwiseMomentsCUDAKernelIddLb1EEEvlT0_PKT_PS3_S7_, .Lfunc_end13-_ZN2at6native12_GLOBAL__N_124RowwiseMomentsCUDAKernelIddLb1EEEvlT0_PKT_PS3_S7_
                                        ; -- End function
	.set _ZN2at6native12_GLOBAL__N_124RowwiseMomentsCUDAKernelIddLb1EEEvlT0_PKT_PS3_S7_.num_vgpr, 30
	.set _ZN2at6native12_GLOBAL__N_124RowwiseMomentsCUDAKernelIddLb1EEEvlT0_PKT_PS3_S7_.num_agpr, 0
	.set _ZN2at6native12_GLOBAL__N_124RowwiseMomentsCUDAKernelIddLb1EEEvlT0_PKT_PS3_S7_.numbered_sgpr, 20
	.set _ZN2at6native12_GLOBAL__N_124RowwiseMomentsCUDAKernelIddLb1EEEvlT0_PKT_PS3_S7_.num_named_barrier, 0
	.set _ZN2at6native12_GLOBAL__N_124RowwiseMomentsCUDAKernelIddLb1EEEvlT0_PKT_PS3_S7_.private_seg_size, 0
	.set _ZN2at6native12_GLOBAL__N_124RowwiseMomentsCUDAKernelIddLb1EEEvlT0_PKT_PS3_S7_.uses_vcc, 1
	.set _ZN2at6native12_GLOBAL__N_124RowwiseMomentsCUDAKernelIddLb1EEEvlT0_PKT_PS3_S7_.uses_flat_scratch, 0
	.set _ZN2at6native12_GLOBAL__N_124RowwiseMomentsCUDAKernelIddLb1EEEvlT0_PKT_PS3_S7_.has_dyn_sized_stack, 0
	.set _ZN2at6native12_GLOBAL__N_124RowwiseMomentsCUDAKernelIddLb1EEEvlT0_PKT_PS3_S7_.has_recursion, 0
	.set _ZN2at6native12_GLOBAL__N_124RowwiseMomentsCUDAKernelIddLb1EEEvlT0_PKT_PS3_S7_.has_indirect_call, 0
	.section	.AMDGPU.csdata,"",@progbits
; Kernel info:
; codeLenInByte = 4128
; TotalNumSgprs: 26
; NumVgprs: 30
; NumAgprs: 0
; TotalNumVgprs: 30
; ScratchSize: 0
; MemoryBound: 0
; FloatMode: 240
; IeeeMode: 1
; LDSByteSize: 2048 bytes/workgroup (compile time only)
; SGPRBlocks: 3
; VGPRBlocks: 3
; NumSGPRsForWavesPerEU: 26
; NumVGPRsForWavesPerEU: 30
; AccumOffset: 32
; Occupancy: 8
; WaveLimiterHint : 0
; COMPUTE_PGM_RSRC2:SCRATCH_EN: 0
; COMPUTE_PGM_RSRC2:USER_SGPR: 2
; COMPUTE_PGM_RSRC2:TRAP_HANDLER: 0
; COMPUTE_PGM_RSRC2:TGID_X_EN: 1
; COMPUTE_PGM_RSRC2:TGID_Y_EN: 0
; COMPUTE_PGM_RSRC2:TGID_Z_EN: 0
; COMPUTE_PGM_RSRC2:TIDIG_COMP_CNT: 0
; COMPUTE_PGM_RSRC3_GFX90A:ACCUM_OFFSET: 7
; COMPUTE_PGM_RSRC3_GFX90A:TG_SPLIT: 0
	.section	.text._ZN2at6native12_GLOBAL__N_126LayerNormForwardCUDAKernelIddLb1EEEvlPKT_PKT0_S8_S5_S5_PS3_,"axG",@progbits,_ZN2at6native12_GLOBAL__N_126LayerNormForwardCUDAKernelIddLb1EEEvlPKT_PKT0_S8_S5_S5_PS3_,comdat
	.globl	_ZN2at6native12_GLOBAL__N_126LayerNormForwardCUDAKernelIddLb1EEEvlPKT_PKT0_S8_S5_S5_PS3_ ; -- Begin function _ZN2at6native12_GLOBAL__N_126LayerNormForwardCUDAKernelIddLb1EEEvlPKT_PKT0_S8_S5_S5_PS3_
	.p2align	8
	.type	_ZN2at6native12_GLOBAL__N_126LayerNormForwardCUDAKernelIddLb1EEEvlPKT_PKT0_S8_S5_S5_PS3_,@function
_ZN2at6native12_GLOBAL__N_126LayerNormForwardCUDAKernelIddLb1EEEvlPKT_PKT0_S8_S5_S5_PS3_: ; @_ZN2at6native12_GLOBAL__N_126LayerNormForwardCUDAKernelIddLb1EEEvlPKT_PKT0_S8_S5_S5_PS3_
; %bb.0:
	s_load_dwordx4 s[4:7], s[0:1], 0x0
	v_mov_b32_e32 v1, 0
	s_waitcnt lgkmcnt(0)
	v_cmp_gt_i64_e32 vcc, s[4:5], v[0:1]
	s_and_saveexec_b64 s[8:9], vcc
	s_cbranch_execz .LBB14_6
; %bb.1:
	s_load_dwordx4 s[8:11], s[0:1], 0x18
	s_load_dwordx2 s[16:17], s[0:1], 0x30
	s_load_dword s18, s[0:1], 0x44
	s_mov_b32 s3, 0
	s_mul_hi_u32 s19, s4, s2
	s_waitcnt lgkmcnt(0)
	s_cmp_lg_u64 s[10:11], 0
	s_cselect_b64 s[0:1], -1, 0
	s_lshl_b64 s[14:15], s[2:3], 3
	s_add_u32 s8, s8, s14
	s_addc_u32 s9, s9, s15
	s_and_b32 s14, s18, 0xffff
	s_mul_i32 s18, s5, s2
	s_add_i32 s19, s19, s18
	s_mul_i32 s18, s4, s2
	s_lshl_b64 s[18:19], s[18:19], 3
	s_add_u32 s6, s6, s18
	s_addc_u32 s7, s7, s19
	s_lshl_b32 s2, s14, 3
	s_add_u32 s16, s16, s18
	v_cndmask_b32_e64 v4, 0, 1, s[0:1]
	s_mov_b64 s[12:13], 0
	s_mov_b32 s15, s3
	v_lshlrev_b32_e32 v2, 3, v0
	v_mov_b32_e32 v3, v1
	s_addc_u32 s17, s17, s19
	v_cmp_ne_u32_e64 s[0:1], 1, v4
	v_mov_b64_e32 v[4:5], v[0:1]
	s_branch .LBB14_4
.LBB14_2:                               ;   in Loop: Header=BB14_4 Depth=1
	v_lshl_add_u64 v[6:7], s[10:11], 0, v[2:3]
	global_load_dwordx2 v[6:7], v[6:7], off
.LBB14_3:                               ;   in Loop: Header=BB14_4 Depth=1
	v_lshl_add_u64 v[8:9], s[6:7], 0, v[2:3]
	global_load_dwordx2 v[10:11], v1, s[8:9]
	global_load_dwordx2 v[12:13], v[8:9], off
	v_lshl_add_u64 v[4:5], v[4:5], 0, s[14:15]
	v_cmp_le_i64_e32 vcc, s[4:5], v[4:5]
	v_lshl_add_u64 v[8:9], s[16:17], 0, v[2:3]
	s_or_b64 s[12:13], vcc, s[12:13]
	v_lshl_add_u64 v[2:3], v[2:3], 0, s[2:3]
	s_waitcnt vmcnt(0)
	v_mul_f64 v[10:11], v[12:13], v[10:11]
	v_mul_f64 v[6:7], v[6:7], v[10:11]
	global_store_dwordx2 v[8:9], v[6:7], off
	s_andn2_b64 exec, exec, s[12:13]
	s_cbranch_execz .LBB14_6
.LBB14_4:                               ; =>This Inner Loop Header: Depth=1
	s_and_b64 vcc, exec, s[0:1]
	s_cbranch_vccz .LBB14_2
; %bb.5:                                ;   in Loop: Header=BB14_4 Depth=1
	v_mov_b64_e32 v[6:7], 1.0
	s_branch .LBB14_3
.LBB14_6:
	s_endpgm
	.section	.rodata,"a",@progbits
	.p2align	6, 0x0
	.amdhsa_kernel _ZN2at6native12_GLOBAL__N_126LayerNormForwardCUDAKernelIddLb1EEEvlPKT_PKT0_S8_S5_S5_PS3_
		.amdhsa_group_segment_fixed_size 0
		.amdhsa_private_segment_fixed_size 0
		.amdhsa_kernarg_size 312
		.amdhsa_user_sgpr_count 2
		.amdhsa_user_sgpr_dispatch_ptr 0
		.amdhsa_user_sgpr_queue_ptr 0
		.amdhsa_user_sgpr_kernarg_segment_ptr 1
		.amdhsa_user_sgpr_dispatch_id 0
		.amdhsa_user_sgpr_kernarg_preload_length 0
		.amdhsa_user_sgpr_kernarg_preload_offset 0
		.amdhsa_user_sgpr_private_segment_size 0
		.amdhsa_uses_dynamic_stack 0
		.amdhsa_enable_private_segment 0
		.amdhsa_system_sgpr_workgroup_id_x 1
		.amdhsa_system_sgpr_workgroup_id_y 0
		.amdhsa_system_sgpr_workgroup_id_z 0
		.amdhsa_system_sgpr_workgroup_info 0
		.amdhsa_system_vgpr_workitem_id 0
		.amdhsa_next_free_vgpr 14
		.amdhsa_next_free_sgpr 20
		.amdhsa_accum_offset 16
		.amdhsa_reserve_vcc 1
		.amdhsa_float_round_mode_32 0
		.amdhsa_float_round_mode_16_64 0
		.amdhsa_float_denorm_mode_32 3
		.amdhsa_float_denorm_mode_16_64 3
		.amdhsa_dx10_clamp 1
		.amdhsa_ieee_mode 1
		.amdhsa_fp16_overflow 0
		.amdhsa_tg_split 0
		.amdhsa_exception_fp_ieee_invalid_op 0
		.amdhsa_exception_fp_denorm_src 0
		.amdhsa_exception_fp_ieee_div_zero 0
		.amdhsa_exception_fp_ieee_overflow 0
		.amdhsa_exception_fp_ieee_underflow 0
		.amdhsa_exception_fp_ieee_inexact 0
		.amdhsa_exception_int_div_zero 0
	.end_amdhsa_kernel
	.section	.text._ZN2at6native12_GLOBAL__N_126LayerNormForwardCUDAKernelIddLb1EEEvlPKT_PKT0_S8_S5_S5_PS3_,"axG",@progbits,_ZN2at6native12_GLOBAL__N_126LayerNormForwardCUDAKernelIddLb1EEEvlPKT_PKT0_S8_S5_S5_PS3_,comdat
.Lfunc_end14:
	.size	_ZN2at6native12_GLOBAL__N_126LayerNormForwardCUDAKernelIddLb1EEEvlPKT_PKT0_S8_S5_S5_PS3_, .Lfunc_end14-_ZN2at6native12_GLOBAL__N_126LayerNormForwardCUDAKernelIddLb1EEEvlPKT_PKT0_S8_S5_S5_PS3_
                                        ; -- End function
	.set _ZN2at6native12_GLOBAL__N_126LayerNormForwardCUDAKernelIddLb1EEEvlPKT_PKT0_S8_S5_S5_PS3_.num_vgpr, 14
	.set _ZN2at6native12_GLOBAL__N_126LayerNormForwardCUDAKernelIddLb1EEEvlPKT_PKT0_S8_S5_S5_PS3_.num_agpr, 0
	.set _ZN2at6native12_GLOBAL__N_126LayerNormForwardCUDAKernelIddLb1EEEvlPKT_PKT0_S8_S5_S5_PS3_.numbered_sgpr, 20
	.set _ZN2at6native12_GLOBAL__N_126LayerNormForwardCUDAKernelIddLb1EEEvlPKT_PKT0_S8_S5_S5_PS3_.num_named_barrier, 0
	.set _ZN2at6native12_GLOBAL__N_126LayerNormForwardCUDAKernelIddLb1EEEvlPKT_PKT0_S8_S5_S5_PS3_.private_seg_size, 0
	.set _ZN2at6native12_GLOBAL__N_126LayerNormForwardCUDAKernelIddLb1EEEvlPKT_PKT0_S8_S5_S5_PS3_.uses_vcc, 1
	.set _ZN2at6native12_GLOBAL__N_126LayerNormForwardCUDAKernelIddLb1EEEvlPKT_PKT0_S8_S5_S5_PS3_.uses_flat_scratch, 0
	.set _ZN2at6native12_GLOBAL__N_126LayerNormForwardCUDAKernelIddLb1EEEvlPKT_PKT0_S8_S5_S5_PS3_.has_dyn_sized_stack, 0
	.set _ZN2at6native12_GLOBAL__N_126LayerNormForwardCUDAKernelIddLb1EEEvlPKT_PKT0_S8_S5_S5_PS3_.has_recursion, 0
	.set _ZN2at6native12_GLOBAL__N_126LayerNormForwardCUDAKernelIddLb1EEEvlPKT_PKT0_S8_S5_S5_PS3_.has_indirect_call, 0
	.section	.AMDGPU.csdata,"",@progbits
; Kernel info:
; codeLenInByte = 296
; TotalNumSgprs: 26
; NumVgprs: 14
; NumAgprs: 0
; TotalNumVgprs: 14
; ScratchSize: 0
; MemoryBound: 0
; FloatMode: 240
; IeeeMode: 1
; LDSByteSize: 0 bytes/workgroup (compile time only)
; SGPRBlocks: 3
; VGPRBlocks: 1
; NumSGPRsForWavesPerEU: 26
; NumVGPRsForWavesPerEU: 14
; AccumOffset: 16
; Occupancy: 8
; WaveLimiterHint : 0
; COMPUTE_PGM_RSRC2:SCRATCH_EN: 0
; COMPUTE_PGM_RSRC2:USER_SGPR: 2
; COMPUTE_PGM_RSRC2:TRAP_HANDLER: 0
; COMPUTE_PGM_RSRC2:TGID_X_EN: 1
; COMPUTE_PGM_RSRC2:TGID_Y_EN: 0
; COMPUTE_PGM_RSRC2:TGID_Z_EN: 0
; COMPUTE_PGM_RSRC2:TIDIG_COMP_CNT: 0
; COMPUTE_PGM_RSRC3_GFX90A:ACCUM_OFFSET: 3
; COMPUTE_PGM_RSRC3_GFX90A:TG_SPLIT: 0
	.section	.text._ZN2at6native12_GLOBAL__N_128vectorized_layer_norm_kernelIffLb1EEEviT0_PKT_S6_S6_PS3_S7_PS4_,"axG",@progbits,_ZN2at6native12_GLOBAL__N_128vectorized_layer_norm_kernelIffLb1EEEviT0_PKT_S6_S6_PS3_S7_PS4_,comdat
	.globl	_ZN2at6native12_GLOBAL__N_128vectorized_layer_norm_kernelIffLb1EEEviT0_PKT_S6_S6_PS3_S7_PS4_ ; -- Begin function _ZN2at6native12_GLOBAL__N_128vectorized_layer_norm_kernelIffLb1EEEviT0_PKT_S6_S6_PS3_S7_PS4_
	.p2align	8
	.type	_ZN2at6native12_GLOBAL__N_128vectorized_layer_norm_kernelIffLb1EEEviT0_PKT_S6_S6_PS3_S7_PS4_,@function
_ZN2at6native12_GLOBAL__N_128vectorized_layer_norm_kernelIffLb1EEEviT0_PKT_S6_S6_PS3_S7_PS4_: ; @_ZN2at6native12_GLOBAL__N_128vectorized_layer_norm_kernelIffLb1EEEviT0_PKT_S6_S6_PS3_S7_PS4_
; %bb.0:
	s_load_dwordx4 s[8:11], s[0:1], 0x0
	s_load_dword s4, s[0:1], 0x44
	v_and_b32_e32 v2, 0x3ff, v0
	v_bfe_u32 v3, v0, 10, 10
	s_mov_b32 s3, 0
	s_waitcnt lgkmcnt(0)
	s_ashr_i32 s5, s8, 31
	s_lshr_b32 s20, s4, 16
	s_and_b32 s4, s4, 0xffff
	s_mul_i32 s16, s20, s4
	v_mul_u32_u24_e32 v0, s4, v3
	v_mad_u32_u24 v14, v3, s4, v2
	s_lshr_b32 s4, s5, 30
	s_add_i32 s4, s8, s4
	s_mul_hi_u32 s6, s8, s2
	s_mul_i32 s7, s5, s2
	s_ashr_i32 s28, s4, 2
	s_add_i32 s19, s6, s7
	s_mul_i32 s18, s8, s2
	v_cmp_gt_i32_e64 s[4:5], s28, v14
	v_mov_b32_e32 v9, 0
	v_add_lshl_u32 v8, v0, v2, 4
	s_and_saveexec_b64 s[6:7], s[4:5]
	s_cbranch_execz .LBB15_4
; %bb.1:
	s_lshl_b64 s[12:13], s[18:19], 2
	s_add_u32 s12, s10, s12
	v_mov_b32_e32 v9, 0
	s_addc_u32 s13, s11, s13
	v_lshl_add_u64 v[0:1], s[12:13], 0, v[8:9]
	s_ashr_i32 s17, s16, 31
	v_lshl_add_u64 v[0:1], v[0:1], 0, 8
	s_lshl_b64 s[14:15], s[16:17], 4
	s_mov_b64 s[12:13], 0
	v_mov_b32_e32 v4, v14
.LBB15_2:                               ; =>This Inner Loop Header: Depth=1
	global_load_dwordx4 v[10:13], v[0:1], off offset:-8
	v_add_u32_e32 v4, s16, v4
	v_cmp_le_i32_e32 vcc, s28, v4
	v_lshl_add_u64 v[0:1], v[0:1], 0, s[14:15]
	s_or_b64 s[12:13], vcc, s[12:13]
	s_waitcnt vmcnt(0)
	v_pk_mul_f32 v[6:7], v[10:11], v[10:11]
	s_nop 0
	v_add_f32_e32 v5, v9, v6
	v_pk_mul_f32 v[10:11], v[12:13], v[12:13]
	v_add_f32_e32 v5, v5, v7
	v_add_f32_e32 v5, v5, v10
	;; [unrolled: 1-line block ×3, first 2 shown]
	s_andn2_b64 exec, exec, s[12:13]
	s_cbranch_execnz .LBB15_2
; %bb.3:
	s_or_b64 exec, exec, s[12:13]
.LBB15_4:
	s_or_b64 exec, exec, s[6:7]
	v_mbcnt_lo_u32_b32 v0, -1, 0
	v_mbcnt_hi_u32_b32 v0, -1, v0
	v_lshlrev_b32_e32 v1, 2, v0
	v_or_b32_e32 v4, 0x80, v1
	ds_bpermute_b32 v4, v4, v9
	v_and_b32_e32 v5, 63, v0
	v_cmp_gt_u32_e32 vcc, 48, v5
	s_cmp_lt_u32 s20, 2
	s_waitcnt lgkmcnt(0)
	v_add_f32_e32 v4, v9, v4
	v_cndmask_b32_e64 v6, 0, 16, vcc
	v_add_lshl_u32 v6, v6, v0, 2
	ds_bpermute_b32 v6, v6, v4
	v_cmp_gt_u32_e32 vcc, 56, v5
	s_waitcnt lgkmcnt(0)
	v_add_f32_e32 v4, v4, v6
	v_cndmask_b32_e64 v7, 0, 8, vcc
	v_add_lshl_u32 v7, v7, v0, 2
	ds_bpermute_b32 v6, v7, v4
	v_cmp_gt_u32_e32 vcc, 60, v5
	;; [unrolled: 6-line block ×3, first 2 shown]
	s_waitcnt lgkmcnt(0)
	v_add_f32_e32 v4, v4, v6
	v_cndmask_b32_e64 v7, 0, 2, vcc
	v_add_lshl_u32 v7, v7, v0, 2
	ds_bpermute_b32 v6, v7, v4
	v_cmp_ne_u32_e32 vcc, 63, v5
	s_waitcnt lgkmcnt(0)
	v_add_f32_e32 v4, v4, v6
	v_addc_co_u32_e32 v0, vcc, 0, v0, vcc
	v_lshlrev_b32_e32 v0, 2, v0
	ds_bpermute_b32 v0, v0, v4
	s_waitcnt lgkmcnt(0)
	v_add_f32_e32 v0, v4, v0
	s_cbranch_scc0 .LBB15_6
; %bb.5:
	v_and_b32_e32 v1, 0x100, v1
	ds_bpermute_b32 v1, v1, v0
	v_cvt_f32_i32_e32 v4, s8
	s_waitcnt lgkmcnt(0)
	v_div_scale_f32 v5, s[6:7], v4, v4, v1
	v_rcp_f32_e32 v6, v5
	v_div_scale_f32 v7, vcc, v1, v4, v1
	v_fma_f32 v9, -v5, v6, 1.0
	v_fmac_f32_e32 v6, v9, v6
	v_mul_f32_e32 v9, v7, v6
	v_fma_f32 v10, -v5, v9, v7
	v_fmac_f32_e32 v9, v10, v6
	v_fma_f32 v5, -v5, v9, v7
	v_div_fmas_f32 v5, v5, v6, v9
	v_div_fixup_f32 v11, v5, v4, v1
	v_mov_b32_e32 v10, 0
	s_cbranch_execz .LBB15_7
	s_branch .LBB15_17
.LBB15_6:
                                        ; implicit-def: $vgpr11
	v_mov_b32_e32 v10, 0
.LBB15_7:
	s_lshl_b32 s6, s20, 2
	v_lshlrev_b32_e32 v4, 3, v3
	s_add_i32 s12, s6, 0
	v_cmp_eq_u32_e32 vcc, 0, v2
	v_mov_b32_e32 v1, 0
	v_add_u32_e32 v4, 0, v4
.LBB15_8:                               ; =>This Inner Loop Header: Depth=1
	s_lshr_b32 s13, s20, 1
	v_cmp_le_u32_e64 s[6:7], s13, v3
	s_and_b64 s[14:15], vcc, s[6:7]
	s_and_b32 s6, s20, 0xfffe
	v_cmp_gt_u32_e64 s[6:7], s6, v3
	s_and_b64 s[14:15], s[14:15], s[6:7]
	s_and_saveexec_b64 s[6:7], s[14:15]
	s_cbranch_execz .LBB15_10
; %bb.9:                                ;   in Loop: Header=BB15_8 Depth=1
	v_subrev_u32_e32 v5, s13, v3
	v_lshl_add_u32 v6, v5, 2, s12
	v_lshl_add_u32 v5, v5, 3, 0
	ds_write2_b32 v5, v1, v0 offset1:1
	ds_write_b32 v6, v1
.LBB15_10:                              ;   in Loop: Header=BB15_8 Depth=1
	s_or_b64 exec, exec, s[6:7]
	v_cmp_gt_u32_e64 s[6:7], s13, v3
	s_and_b64 s[14:15], vcc, s[6:7]
	s_waitcnt lgkmcnt(0)
	s_barrier
	s_and_saveexec_b64 s[6:7], s[14:15]
	s_cbranch_execz .LBB15_12
; %bb.11:                               ;   in Loop: Header=BB15_8 Depth=1
	ds_read_b32 v5, v4 offset:4
	s_waitcnt lgkmcnt(0)
	v_add_f32_e32 v0, v0, v5
.LBB15_12:                              ;   in Loop: Header=BB15_8 Depth=1
	s_or_b64 exec, exec, s[6:7]
	s_cmp_lt_u32 s20, 4
	s_barrier
	s_cbranch_scc1 .LBB15_14
; %bb.13:                               ;   in Loop: Header=BB15_8 Depth=1
	s_mov_b32 s20, s13
	s_branch .LBB15_8
.LBB15_14:
	v_or_b32_e32 v1, v2, v3
	v_cmp_eq_u32_e32 vcc, 0, v1
	s_and_saveexec_b64 s[6:7], vcc
	s_cbranch_execz .LBB15_16
; %bb.15:
	v_cvt_f32_i32_e32 v1, s8
	v_div_scale_f32 v2, s[12:13], v1, v1, v0
	v_rcp_f32_e32 v3, v2
	v_div_scale_f32 v4, vcc, v0, v1, v0
	v_fma_f32 v5, -v2, v3, 1.0
	v_fmac_f32_e32 v3, v5, v3
	v_mul_f32_e32 v5, v4, v3
	v_fma_f32 v6, -v2, v5, v4
	v_fmac_f32_e32 v5, v6, v3
	v_fma_f32 v2, -v2, v5, v4
	v_div_fmas_f32 v2, v2, v3, v5
	v_div_fixup_f32 v0, v2, v1, v0
	v_mov_b32_e32 v1, 0
	ds_write2_b32 v1, v1, v0 offset1:1
.LBB15_16:
	s_or_b64 exec, exec, s[6:7]
	v_mov_b32_e32 v0, 0
	s_waitcnt lgkmcnt(0)
	s_barrier
	ds_read2_b32 v[10:11], v0 offset1:1
.LBB15_17:
	s_waitcnt lgkmcnt(0)
	v_add_f32_e32 v0, s9, v11
	s_mov_b32 s6, 0x800000
	v_mul_f32_e32 v1, 0x4b800000, v0
	v_cmp_gt_f32_e32 vcc, s6, v0
	s_load_dwordx4 s[12:15], s[0:1], 0x28
	s_nop 0
	v_cndmask_b32_e32 v0, v0, v1, vcc
	v_rsq_f32_e32 v0, v0
	s_nop 0
	v_mul_f32_e32 v1, 0x45800000, v0
	v_cndmask_b32_e32 v12, v0, v1, vcc
	s_and_saveexec_b64 s[8:9], s[4:5]
	s_cbranch_execz .LBB15_32
; %bb.18:
	s_load_dwordx4 s[4:7], s[0:1], 0x10
	s_mov_b64 s[20:21], 0
	v_mov_b32_e32 v13, v12
	v_mov_b32_e32 v11, v10
	;; [unrolled: 1-line block ×3, first 2 shown]
	s_waitcnt lgkmcnt(0)
	s_cmp_eq_u64 s[4:5], 0
	s_cselect_b64 s[22:23], -1, 0
	s_cmp_eq_u64 s[6:7], 0
	s_cselect_b64 s[0:1], -1, 0
	s_lshl_b64 s[26:27], s[18:19], 2
	s_add_u32 s14, s14, s26
	s_addc_u32 s15, s15, s27
	s_ashr_i32 s17, s16, 31
	s_or_b64 s[18:19], s[22:23], s[0:1]
	s_lshl_b64 s[24:25], s[16:17], 4
	v_cndmask_b32_e64 v0, 0, 1, s[0:1]
	s_add_u32 s0, s10, s26
	s_addc_u32 s1, s11, s27
	s_add_u32 s10, s0, 8
	s_addc_u32 s11, s1, 0
	;; [unrolled: 2-line block ×3, first 2 shown]
	v_cmp_ne_u32_e64 s[0:1], 1, v0
	v_mov_b32_e32 v15, v14
	s_branch .LBB15_20
.LBB15_19:                              ;   in Loop: Header=BB15_20 Depth=1
	v_add_u32_e32 v15, s16, v15
	v_cmp_le_i32_e32 vcc, s28, v15
	s_waitcnt vmcnt(0)
	v_lshl_add_u64 v[0:1], s[14:15], 0, v[8:9]
	s_or_b64 s[20:21], vcc, s[20:21]
	v_lshl_add_u64 v[8:9], v[8:9], 0, s[24:25]
	global_store_dwordx4 v[0:1], v[4:7], off
	s_andn2_b64 exec, exec, s[20:21]
	s_cbranch_execz .LBB15_32
.LBB15_20:                              ; =>This Inner Loop Header: Depth=1
	v_lshl_add_u64 v[0:1], s[10:11], 0, v[8:9]
	global_load_dwordx4 v[0:3], v[0:1], off offset:-8
	s_mov_b64 s[26:27], -1
	s_and_b64 vcc, exec, s[18:19]
                                        ; implicit-def: $vgpr6_vgpr7
	s_cbranch_vccz .LBB15_30
; %bb.21:                               ;   in Loop: Header=BB15_20 Depth=1
	s_and_b64 vcc, exec, s[22:23]
                                        ; implicit-def: $vgpr6_vgpr7
	s_cbranch_vccz .LBB15_27
; %bb.22:                               ;   in Loop: Header=BB15_20 Depth=1
	s_and_b64 vcc, exec, s[0:1]
                                        ; implicit-def: $vgpr6_vgpr7
	s_cbranch_vccnz .LBB15_24
; %bb.23:                               ;   in Loop: Header=BB15_20 Depth=1
	s_waitcnt vmcnt(0)
	v_pk_mul_f32 v[4:5], v[12:13], v[0:1]
	v_pk_mul_f32 v[6:7], v[12:13], v[2:3]
	s_mov_b64 s[26:27], 0
.LBB15_24:                              ;   in Loop: Header=BB15_20 Depth=1
	s_andn2_b64 vcc, exec, s[26:27]
	s_cbranch_vccnz .LBB15_26
; %bb.25:                               ;   in Loop: Header=BB15_20 Depth=1
	v_lshl_add_u64 v[4:5], s[6:7], 0, v[8:9]
	global_load_dwordx4 v[4:7], v[4:5], off
	s_waitcnt vmcnt(1)
	v_pk_add_f32 v[16:17], v[0:1], v[10:11] neg_lo:[0,1] neg_hi:[0,1]
	v_pk_add_f32 v[18:19], v[2:3], v[10:11] neg_lo:[0,1] neg_hi:[0,1]
	s_waitcnt vmcnt(0)
	v_pk_fma_f32 v[4:5], v[12:13], v[16:17], v[4:5]
	v_pk_fma_f32 v[6:7], v[12:13], v[18:19], v[6:7]
.LBB15_26:                              ;   in Loop: Header=BB15_20 Depth=1
	s_mov_b64 s[26:27], 0
.LBB15_27:                              ;   in Loop: Header=BB15_20 Depth=1
	s_andn2_b64 vcc, exec, s[26:27]
	s_cbranch_vccnz .LBB15_29
; %bb.28:                               ;   in Loop: Header=BB15_20 Depth=1
	v_lshl_add_u64 v[4:5], s[4:5], 0, v[8:9]
	global_load_dwordx4 v[4:7], v[4:5], off offset:-8
	s_waitcnt vmcnt(1)
	v_pk_mul_f32 v[16:17], v[12:13], v[0:1]
	v_pk_mul_f32 v[18:19], v[12:13], v[2:3]
	s_waitcnt vmcnt(0)
	v_pk_mul_f32 v[4:5], v[16:17], v[4:5]
	v_pk_mul_f32 v[6:7], v[18:19], v[6:7]
.LBB15_29:                              ;   in Loop: Header=BB15_20 Depth=1
	s_mov_b64 s[26:27], 0
.LBB15_30:                              ;   in Loop: Header=BB15_20 Depth=1
	s_andn2_b64 vcc, exec, s[26:27]
	s_cbranch_vccnz .LBB15_19
; %bb.31:                               ;   in Loop: Header=BB15_20 Depth=1
	v_lshl_add_u64 v[4:5], s[4:5], 0, v[8:9]
	global_load_dwordx4 v[4:7], v[4:5], off offset:-8
	s_waitcnt vmcnt(1)
	v_pk_mul_f32 v[0:1], v[12:13], v[0:1]
	v_pk_mul_f32 v[2:3], v[12:13], v[2:3]
	s_waitcnt vmcnt(0)
	v_pk_mul_f32 v[4:5], v[0:1], v[4:5]
	v_pk_mul_f32 v[6:7], v[2:3], v[6:7]
	s_branch .LBB15_19
.LBB15_32:
	s_or_b64 exec, exec, s[8:9]
	v_cmp_eq_u32_e32 vcc, 0, v14
	s_and_saveexec_b64 s[0:1], vcc
	s_cbranch_execz .LBB15_34
; %bb.33:
	s_lshl_b64 s[0:1], s[2:3], 2
	s_waitcnt lgkmcnt(0)
	s_add_u32 s0, s12, s0
	s_addc_u32 s1, s13, s1
	v_mov_b32_e32 v0, 0
	global_store_dword v0, v12, s[0:1]
.LBB15_34:
	s_endpgm
	.section	.rodata,"a",@progbits
	.p2align	6, 0x0
	.amdhsa_kernel _ZN2at6native12_GLOBAL__N_128vectorized_layer_norm_kernelIffLb1EEEviT0_PKT_S6_S6_PS3_S7_PS4_
		.amdhsa_group_segment_fixed_size 0
		.amdhsa_private_segment_fixed_size 0
		.amdhsa_kernarg_size 312
		.amdhsa_user_sgpr_count 2
		.amdhsa_user_sgpr_dispatch_ptr 0
		.amdhsa_user_sgpr_queue_ptr 0
		.amdhsa_user_sgpr_kernarg_segment_ptr 1
		.amdhsa_user_sgpr_dispatch_id 0
		.amdhsa_user_sgpr_kernarg_preload_length 0
		.amdhsa_user_sgpr_kernarg_preload_offset 0
		.amdhsa_user_sgpr_private_segment_size 0
		.amdhsa_uses_dynamic_stack 0
		.amdhsa_enable_private_segment 0
		.amdhsa_system_sgpr_workgroup_id_x 1
		.amdhsa_system_sgpr_workgroup_id_y 0
		.amdhsa_system_sgpr_workgroup_id_z 0
		.amdhsa_system_sgpr_workgroup_info 0
		.amdhsa_system_vgpr_workitem_id 1
		.amdhsa_next_free_vgpr 20
		.amdhsa_next_free_sgpr 29
		.amdhsa_accum_offset 20
		.amdhsa_reserve_vcc 1
		.amdhsa_float_round_mode_32 0
		.amdhsa_float_round_mode_16_64 0
		.amdhsa_float_denorm_mode_32 3
		.amdhsa_float_denorm_mode_16_64 3
		.amdhsa_dx10_clamp 1
		.amdhsa_ieee_mode 1
		.amdhsa_fp16_overflow 0
		.amdhsa_tg_split 0
		.amdhsa_exception_fp_ieee_invalid_op 0
		.amdhsa_exception_fp_denorm_src 0
		.amdhsa_exception_fp_ieee_div_zero 0
		.amdhsa_exception_fp_ieee_overflow 0
		.amdhsa_exception_fp_ieee_underflow 0
		.amdhsa_exception_fp_ieee_inexact 0
		.amdhsa_exception_int_div_zero 0
	.end_amdhsa_kernel
	.section	.text._ZN2at6native12_GLOBAL__N_128vectorized_layer_norm_kernelIffLb1EEEviT0_PKT_S6_S6_PS3_S7_PS4_,"axG",@progbits,_ZN2at6native12_GLOBAL__N_128vectorized_layer_norm_kernelIffLb1EEEviT0_PKT_S6_S6_PS3_S7_PS4_,comdat
.Lfunc_end15:
	.size	_ZN2at6native12_GLOBAL__N_128vectorized_layer_norm_kernelIffLb1EEEviT0_PKT_S6_S6_PS3_S7_PS4_, .Lfunc_end15-_ZN2at6native12_GLOBAL__N_128vectorized_layer_norm_kernelIffLb1EEEviT0_PKT_S6_S6_PS3_S7_PS4_
                                        ; -- End function
	.set _ZN2at6native12_GLOBAL__N_128vectorized_layer_norm_kernelIffLb1EEEviT0_PKT_S6_S6_PS3_S7_PS4_.num_vgpr, 20
	.set _ZN2at6native12_GLOBAL__N_128vectorized_layer_norm_kernelIffLb1EEEviT0_PKT_S6_S6_PS3_S7_PS4_.num_agpr, 0
	.set _ZN2at6native12_GLOBAL__N_128vectorized_layer_norm_kernelIffLb1EEEviT0_PKT_S6_S6_PS3_S7_PS4_.numbered_sgpr, 29
	.set _ZN2at6native12_GLOBAL__N_128vectorized_layer_norm_kernelIffLb1EEEviT0_PKT_S6_S6_PS3_S7_PS4_.num_named_barrier, 0
	.set _ZN2at6native12_GLOBAL__N_128vectorized_layer_norm_kernelIffLb1EEEviT0_PKT_S6_S6_PS3_S7_PS4_.private_seg_size, 0
	.set _ZN2at6native12_GLOBAL__N_128vectorized_layer_norm_kernelIffLb1EEEviT0_PKT_S6_S6_PS3_S7_PS4_.uses_vcc, 1
	.set _ZN2at6native12_GLOBAL__N_128vectorized_layer_norm_kernelIffLb1EEEviT0_PKT_S6_S6_PS3_S7_PS4_.uses_flat_scratch, 0
	.set _ZN2at6native12_GLOBAL__N_128vectorized_layer_norm_kernelIffLb1EEEviT0_PKT_S6_S6_PS3_S7_PS4_.has_dyn_sized_stack, 0
	.set _ZN2at6native12_GLOBAL__N_128vectorized_layer_norm_kernelIffLb1EEEviT0_PKT_S6_S6_PS3_S7_PS4_.has_recursion, 0
	.set _ZN2at6native12_GLOBAL__N_128vectorized_layer_norm_kernelIffLb1EEEviT0_PKT_S6_S6_PS3_S7_PS4_.has_indirect_call, 0
	.section	.AMDGPU.csdata,"",@progbits
; Kernel info:
; codeLenInByte = 1460
; TotalNumSgprs: 35
; NumVgprs: 20
; NumAgprs: 0
; TotalNumVgprs: 20
; ScratchSize: 0
; MemoryBound: 0
; FloatMode: 240
; IeeeMode: 1
; LDSByteSize: 0 bytes/workgroup (compile time only)
; SGPRBlocks: 4
; VGPRBlocks: 2
; NumSGPRsForWavesPerEU: 35
; NumVGPRsForWavesPerEU: 20
; AccumOffset: 20
; Occupancy: 8
; WaveLimiterHint : 0
; COMPUTE_PGM_RSRC2:SCRATCH_EN: 0
; COMPUTE_PGM_RSRC2:USER_SGPR: 2
; COMPUTE_PGM_RSRC2:TRAP_HANDLER: 0
; COMPUTE_PGM_RSRC2:TGID_X_EN: 1
; COMPUTE_PGM_RSRC2:TGID_Y_EN: 0
; COMPUTE_PGM_RSRC2:TGID_Z_EN: 0
; COMPUTE_PGM_RSRC2:TIDIG_COMP_CNT: 1
; COMPUTE_PGM_RSRC3_GFX90A:ACCUM_OFFSET: 4
; COMPUTE_PGM_RSRC3_GFX90A:TG_SPLIT: 0
	.section	.text._ZN2at6native12_GLOBAL__N_124RowwiseMomentsCUDAKernelIffLb1EEEvlT0_PKT_PS3_S7_,"axG",@progbits,_ZN2at6native12_GLOBAL__N_124RowwiseMomentsCUDAKernelIffLb1EEEvlT0_PKT_PS3_S7_,comdat
	.globl	_ZN2at6native12_GLOBAL__N_124RowwiseMomentsCUDAKernelIffLb1EEEvlT0_PKT_PS3_S7_ ; -- Begin function _ZN2at6native12_GLOBAL__N_124RowwiseMomentsCUDAKernelIffLb1EEEvlT0_PKT_PS3_S7_
	.p2align	8
	.type	_ZN2at6native12_GLOBAL__N_124RowwiseMomentsCUDAKernelIffLb1EEEvlT0_PKT_PS3_S7_,@function
_ZN2at6native12_GLOBAL__N_124RowwiseMomentsCUDAKernelIffLb1EEEvlT0_PKT_PS3_S7_: ; @_ZN2at6native12_GLOBAL__N_124RowwiseMomentsCUDAKernelIffLb1EEEvlT0_PKT_PS3_S7_
; %bb.0:
	s_load_dwordx2 s[4:5], s[0:1], 0x0
	v_mov_b32_e32 v1, 0
	s_mov_b32 s3, 0
	v_mov_b32_e32 v2, v1
	v_mov_b32_e32 v3, v1
	s_waitcnt lgkmcnt(0)
	v_cmp_gt_i64_e32 vcc, s[4:5], v[0:1]
	v_mov_b64_e32 v[6:7], 0
	s_and_saveexec_b64 s[6:7], vcc
	s_cbranch_execz .LBB16_4
; %bb.1:
	s_load_dword s8, s[0:1], 0x34
	s_load_dwordx2 s[10:11], s[0:1], 0x10
	s_mul_i32 s12, s5, s2
	s_mul_hi_u32 s13, s4, s2
	s_add_i32 s13, s13, s12
	s_mul_i32 s12, s4, s2
	s_waitcnt lgkmcnt(0)
	s_and_b32 s8, s8, 0xffff
	s_lshl_b64 s[12:13], s[12:13], 2
	s_add_u32 s10, s10, s12
	v_lshlrev_b32_e32 v2, 2, v0
	v_mov_b32_e32 v3, v1
	s_addc_u32 s11, s11, s13
	s_mov_b32 s9, s3
	v_lshl_add_u64 v[4:5], s[10:11], 0, v[2:3]
	s_lshl_b32 s10, s8, 2
	s_mov_b32 s11, s3
	s_mov_b64 s[12:13], 0
	v_mov_b64_e32 v[8:9], v[0:1]
	s_mov_b64 s[14:15], 0
.LBB16_2:                               ; =>This Inner Loop Header: Depth=1
	global_load_dword v2, v[4:5], off
	s_add_u32 s14, s14, 1
	s_addc_u32 s15, s15, 0
	s_flbit_i32_b32 s16, s15
	s_min_u32 s18, s16, 32
	s_lshl_b64 s[16:17], s[14:15], s18
	s_min_u32 s16, s16, 1
	s_or_b32 s16, s17, s16
	v_cvt_f32_u32_e32 v10, s16
	s_sub_i32 s18, 32, s18
	v_lshl_add_u64 v[8:9], v[8:9], 0, s[8:9]
	v_cmp_le_i64_e32 vcc, s[4:5], v[8:9]
	v_ldexp_f32 v10, v10, s18
	s_or_b64 s[12:13], vcc, s[12:13]
	v_lshl_add_u64 v[4:5], v[4:5], 0, s[10:11]
	v_mov_b64_e32 v[6:7], s[14:15]
	s_waitcnt vmcnt(0)
	v_sub_f32_e32 v11, v2, v3
	v_div_scale_f32 v12, s[16:17], v10, v10, v11
	v_rcp_f32_e32 v13, v12
	v_div_scale_f32 v14, vcc, v11, v10, v11
	v_fma_f32 v15, -v12, v13, 1.0
	v_fmac_f32_e32 v13, v15, v13
	v_mul_f32_e32 v15, v14, v13
	v_fma_f32 v16, -v12, v15, v14
	v_fmac_f32_e32 v15, v16, v13
	v_fma_f32 v12, -v12, v15, v14
	v_div_fmas_f32 v12, v12, v13, v15
	v_div_fixup_f32 v12, v12, v10, v11
	v_add_f32_e32 v3, v3, v12
	v_sub_f32_e32 v2, v2, v3
	v_fmac_f32_e32 v1, v11, v2
	s_andn2_b64 exec, exec, s[12:13]
	s_cbranch_execnz .LBB16_2
; %bb.3:
	s_or_b64 exec, exec, s[12:13]
	v_mov_b32_e32 v2, v1
	v_mov_b32_e32 v1, v10
.LBB16_4:
	s_or_b64 exec, exec, s[6:7]
	v_mbcnt_lo_u32_b32 v4, -1, 0
	v_mbcnt_hi_u32_b32 v14, -1, v4
	v_mov_b32_e32 v4, 0x80
	v_lshl_or_b32 v10, v14, 2, v4
	ds_bpermute_b32 v5, v10, v3
	ds_bpermute_b32 v4, v10, v2
	;; [unrolled: 1-line block ×5, first 2 shown]
	v_cmp_neq_f32_e32 vcc, 0, v1
	s_and_saveexec_b64 s[4:5], vcc
	s_cbranch_execz .LBB16_8
; %bb.5:
	s_waitcnt lgkmcnt(0)
	v_cmp_neq_f32_e32 vcc, 0, v11
	s_and_saveexec_b64 s[6:7], vcc
	s_cbranch_execz .LBB16_7
; %bb.6:
	v_add_f32_e32 v9, v1, v11
	v_div_scale_f32 v8, s[8:9], v9, v9, v11
	v_rcp_f32_e32 v12, v8
	v_pk_add_f32 v[6:7], v[4:5], v[2:3] neg_lo:[0,1] neg_hi:[0,1]
	v_pk_add_f32 v[4:5], v[2:3], v[4:5]
	v_mul_f32_e32 v2, v7, v7
	v_fma_f32 v6, -v8, v12, 1.0
	v_fmac_f32_e32 v12, v6, v12
	v_div_scale_f32 v6, vcc, v11, v9, v11
	v_mul_f32_e32 v13, v6, v12
	v_fma_f32 v15, -v8, v13, v6
	v_fmac_f32_e32 v13, v15, v12
	v_fma_f32 v6, -v8, v13, v6
	v_div_fmas_f32 v6, v6, v12, v13
	v_div_fixup_f32 v8, v6, v9, v11
	v_mul_f32_e32 v6, v1, v2
	v_mov_b32_e32 v5, v3
	v_pk_fma_f32 v[2:3], v[6:7], v[8:9], v[4:5] op_sel_hi:[1,0,1]
	v_mov_b64_e32 v[6:7], -1
	v_mov_b32_e32 v1, v9
.LBB16_7:
	s_or_b64 exec, exec, s[6:7]
	v_mov_b32_e32 v11, v1
	v_mov_b64_e32 v[8:9], v[6:7]
	v_mov_b64_e32 v[4:5], v[2:3]
.LBB16_8:
	s_or_b64 exec, exec, s[4:5]
	v_and_b32_e32 v15, 63, v14
	v_cmp_gt_u32_e32 vcc, 48, v15
	s_nop 1
	v_cndmask_b32_e64 v1, 0, 16, vcc
	v_add_lshl_u32 v1, v1, v14, 2
	s_waitcnt lgkmcnt(4)
	ds_bpermute_b32 v3, v1, v5
	s_waitcnt lgkmcnt(4)
	ds_bpermute_b32 v2, v1, v4
	;; [unrolled: 2-line block ×5, first 2 shown]
	v_cmp_neq_f32_e32 vcc, 0, v11
	s_and_saveexec_b64 s[4:5], vcc
	s_cbranch_execz .LBB16_12
; %bb.9:
	s_waitcnt lgkmcnt(0)
	v_cmp_neq_f32_e32 vcc, 0, v12
	s_and_saveexec_b64 s[6:7], vcc
	s_cbranch_execz .LBB16_11
; %bb.10:
	v_add_f32_e32 v13, v11, v12
	v_div_scale_f32 v8, s[8:9], v13, v13, v12
	v_rcp_f32_e32 v9, v8
	v_pk_add_f32 v[6:7], v[2:3], v[4:5] neg_lo:[0,1] neg_hi:[0,1]
	v_pk_add_f32 v[2:3], v[4:5], v[2:3]
	v_fma_f32 v6, -v8, v9, 1.0
	v_fmac_f32_e32 v9, v6, v9
	v_div_scale_f32 v6, vcc, v12, v13, v12
	v_mul_f32_e32 v16, v6, v9
	v_fma_f32 v17, -v8, v16, v6
	v_fmac_f32_e32 v16, v17, v9
	v_fma_f32 v6, -v8, v16, v6
	v_div_fmas_f32 v6, v6, v9, v16
	v_mul_f32_e32 v3, v7, v7
	v_div_fixup_f32 v8, v6, v13, v12
	v_mul_f32_e32 v6, v11, v3
	v_mov_b32_e32 v3, v5
	v_pk_fma_f32 v[4:5], v[6:7], v[8:9], v[2:3] op_sel_hi:[1,0,1]
	v_mov_b64_e32 v[8:9], -1
	v_mov_b32_e32 v11, v13
.LBB16_11:
	s_or_b64 exec, exec, s[6:7]
	v_mov_b32_e32 v12, v11
	v_mov_b64_e32 v[6:7], v[8:9]
	v_mov_b64_e32 v[2:3], v[4:5]
.LBB16_12:
	s_or_b64 exec, exec, s[4:5]
	v_cmp_gt_u32_e32 vcc, 56, v15
	s_nop 1
	v_cndmask_b32_e64 v4, 0, 8, vcc
	v_add_lshl_u32 v11, v4, v14, 2
	s_waitcnt lgkmcnt(4)
	ds_bpermute_b32 v5, v11, v3
	s_waitcnt lgkmcnt(4)
	ds_bpermute_b32 v4, v11, v2
	s_waitcnt lgkmcnt(4)
	ds_bpermute_b32 v8, v11, v6
	s_waitcnt lgkmcnt(4)
	ds_bpermute_b32 v9, v11, v7
	s_waitcnt lgkmcnt(4)
	ds_bpermute_b32 v13, v11, v12
	v_cmp_neq_f32_e32 vcc, 0, v12
	s_and_saveexec_b64 s[4:5], vcc
	s_cbranch_execz .LBB16_16
; %bb.13:
	s_waitcnt lgkmcnt(0)
	v_cmp_neq_f32_e32 vcc, 0, v13
	s_and_saveexec_b64 s[6:7], vcc
	s_cbranch_execz .LBB16_15
; %bb.14:
	v_add_f32_e32 v9, v12, v13
	v_div_scale_f32 v8, s[8:9], v9, v9, v13
	v_rcp_f32_e32 v16, v8
	v_pk_add_f32 v[6:7], v[4:5], v[2:3] neg_lo:[0,1] neg_hi:[0,1]
	v_pk_add_f32 v[4:5], v[2:3], v[4:5]
	v_mul_f32_e32 v2, v7, v7
	v_fma_f32 v6, -v8, v16, 1.0
	v_fmac_f32_e32 v16, v6, v16
	v_div_scale_f32 v6, vcc, v13, v9, v13
	v_mul_f32_e32 v17, v6, v16
	v_fma_f32 v18, -v8, v17, v6
	v_fmac_f32_e32 v17, v18, v16
	v_fma_f32 v6, -v8, v17, v6
	v_div_fmas_f32 v6, v6, v16, v17
	v_div_fixup_f32 v8, v6, v9, v13
	v_mul_f32_e32 v6, v12, v2
	v_mov_b32_e32 v5, v3
	v_pk_fma_f32 v[2:3], v[6:7], v[8:9], v[4:5] op_sel_hi:[1,0,1]
	v_mov_b64_e32 v[6:7], -1
	v_mov_b32_e32 v12, v9
.LBB16_15:
	s_or_b64 exec, exec, s[6:7]
	v_mov_b32_e32 v13, v12
	v_mov_b64_e32 v[8:9], v[6:7]
	v_mov_b64_e32 v[4:5], v[2:3]
.LBB16_16:
	s_or_b64 exec, exec, s[4:5]
	v_cmp_gt_u32_e32 vcc, 60, v15
	s_nop 1
	v_cndmask_b32_e64 v2, 0, 4, vcc
	v_add_lshl_u32 v12, v2, v14, 2
	s_waitcnt lgkmcnt(4)
	ds_bpermute_b32 v3, v12, v5
	s_waitcnt lgkmcnt(4)
	ds_bpermute_b32 v2, v12, v4
	;; [unrolled: 2-line block ×5, first 2 shown]
	v_cmp_neq_f32_e32 vcc, 0, v13
	s_and_saveexec_b64 s[4:5], vcc
	s_cbranch_execz .LBB16_20
; %bb.17:
	s_waitcnt lgkmcnt(0)
	v_cmp_neq_f32_e32 vcc, 0, v16
	s_and_saveexec_b64 s[6:7], vcc
	s_cbranch_execz .LBB16_19
; %bb.18:
	v_add_f32_e32 v17, v13, v16
	v_div_scale_f32 v8, s[8:9], v17, v17, v16
	v_rcp_f32_e32 v9, v8
	v_pk_add_f32 v[6:7], v[2:3], v[4:5] neg_lo:[0,1] neg_hi:[0,1]
	v_pk_add_f32 v[2:3], v[4:5], v[2:3]
	v_fma_f32 v6, -v8, v9, 1.0
	v_fmac_f32_e32 v9, v6, v9
	v_div_scale_f32 v6, vcc, v16, v17, v16
	v_mul_f32_e32 v18, v6, v9
	v_fma_f32 v19, -v8, v18, v6
	v_fmac_f32_e32 v18, v19, v9
	v_fma_f32 v6, -v8, v18, v6
	v_div_fmas_f32 v6, v6, v9, v18
	v_mul_f32_e32 v3, v7, v7
	v_div_fixup_f32 v8, v6, v17, v16
	v_mul_f32_e32 v6, v13, v3
	v_mov_b32_e32 v3, v5
	v_pk_fma_f32 v[4:5], v[6:7], v[8:9], v[2:3] op_sel_hi:[1,0,1]
	v_mov_b64_e32 v[8:9], -1
	v_mov_b32_e32 v13, v17
.LBB16_19:
	s_or_b64 exec, exec, s[6:7]
	v_mov_b32_e32 v16, v13
	v_mov_b64_e32 v[6:7], v[8:9]
	v_mov_b64_e32 v[2:3], v[4:5]
.LBB16_20:
	s_or_b64 exec, exec, s[4:5]
	v_cmp_gt_u32_e32 vcc, 62, v15
	s_nop 1
	v_cndmask_b32_e64 v4, 0, 2, vcc
	v_add_lshl_u32 v13, v4, v14, 2
	s_waitcnt lgkmcnt(4)
	ds_bpermute_b32 v5, v13, v3
	s_waitcnt lgkmcnt(4)
	ds_bpermute_b32 v4, v13, v2
	s_waitcnt lgkmcnt(4)
	ds_bpermute_b32 v8, v13, v6
	s_waitcnt lgkmcnt(4)
	ds_bpermute_b32 v9, v13, v7
	s_waitcnt lgkmcnt(4)
	ds_bpermute_b32 v17, v13, v16
	v_cmp_neq_f32_e32 vcc, 0, v16
	s_and_saveexec_b64 s[4:5], vcc
	s_cbranch_execz .LBB16_24
; %bb.21:
	s_waitcnt lgkmcnt(0)
	v_cmp_neq_f32_e32 vcc, 0, v17
	s_and_saveexec_b64 s[6:7], vcc
	s_cbranch_execz .LBB16_23
; %bb.22:
	v_add_f32_e32 v9, v16, v17
	v_div_scale_f32 v8, s[8:9], v9, v9, v17
	v_rcp_f32_e32 v18, v8
	v_pk_add_f32 v[6:7], v[4:5], v[2:3] neg_lo:[0,1] neg_hi:[0,1]
	v_pk_add_f32 v[4:5], v[2:3], v[4:5]
	v_mul_f32_e32 v2, v7, v7
	v_fma_f32 v6, -v8, v18, 1.0
	v_fmac_f32_e32 v18, v6, v18
	v_div_scale_f32 v6, vcc, v17, v9, v17
	v_mul_f32_e32 v19, v6, v18
	v_fma_f32 v20, -v8, v19, v6
	v_fmac_f32_e32 v19, v20, v18
	v_fma_f32 v6, -v8, v19, v6
	v_div_fmas_f32 v6, v6, v18, v19
	v_div_fixup_f32 v8, v6, v9, v17
	v_mul_f32_e32 v6, v16, v2
	v_mov_b32_e32 v5, v3
	v_pk_fma_f32 v[2:3], v[6:7], v[8:9], v[4:5] op_sel_hi:[1,0,1]
	v_mov_b64_e32 v[6:7], -1
	v_mov_b32_e32 v16, v9
.LBB16_23:
	s_or_b64 exec, exec, s[6:7]
	v_mov_b32_e32 v17, v16
	v_mov_b64_e32 v[8:9], v[6:7]
	v_mov_b64_e32 v[4:5], v[2:3]
.LBB16_24:
	s_or_b64 exec, exec, s[4:5]
	v_cmp_ne_u32_e32 vcc, 63, v15
	s_nop 1
	v_addc_co_u32_e32 v2, vcc, 0, v14, vcc
	v_lshlrev_b32_e32 v14, 2, v2
	s_waitcnt lgkmcnt(4)
	ds_bpermute_b32 v3, v14, v5
	s_waitcnt lgkmcnt(4)
	ds_bpermute_b32 v2, v14, v4
	;; [unrolled: 2-line block ×5, first 2 shown]
	v_cmp_neq_f32_e32 vcc, 0, v17
	s_and_saveexec_b64 s[4:5], vcc
	s_cbranch_execz .LBB16_28
; %bb.25:
	s_waitcnt lgkmcnt(0)
	v_cmp_neq_f32_e32 vcc, 0, v15
	s_and_saveexec_b64 s[6:7], vcc
	s_cbranch_execz .LBB16_27
; %bb.26:
	v_add_f32_e32 v16, v17, v15
	v_div_scale_f32 v8, s[8:9], v16, v16, v15
	v_rcp_f32_e32 v9, v8
	v_pk_add_f32 v[6:7], v[2:3], v[4:5] neg_lo:[0,1] neg_hi:[0,1]
	v_pk_add_f32 v[2:3], v[4:5], v[2:3]
	v_fma_f32 v6, -v8, v9, 1.0
	v_fmac_f32_e32 v9, v6, v9
	v_div_scale_f32 v6, vcc, v15, v16, v15
	v_mul_f32_e32 v18, v6, v9
	v_fma_f32 v19, -v8, v18, v6
	v_fmac_f32_e32 v18, v19, v9
	v_fma_f32 v6, -v8, v18, v6
	v_div_fmas_f32 v6, v6, v9, v18
	v_mul_f32_e32 v3, v7, v7
	v_div_fixup_f32 v8, v6, v16, v15
	v_mul_f32_e32 v6, v17, v3
	v_mov_b32_e32 v3, v5
	v_pk_fma_f32 v[4:5], v[6:7], v[8:9], v[2:3] op_sel_hi:[1,0,1]
	v_mov_b64_e32 v[8:9], -1
	v_mov_b32_e32 v17, v16
.LBB16_27:
	s_or_b64 exec, exec, s[6:7]
	v_mov_b32_e32 v15, v17
	v_mov_b64_e32 v[6:7], v[8:9]
	v_mov_b64_e32 v[2:3], v[4:5]
.LBB16_28:
	s_or_b64 exec, exec, s[4:5]
	v_and_b32_e32 v4, 63, v0
	v_cmp_eq_u32_e32 vcc, 0, v4
	s_waitcnt lgkmcnt(0)
	s_barrier
	s_and_saveexec_b64 s[4:5], vcc
	s_cbranch_execz .LBB16_30
; %bb.29:
	v_lshrrev_b32_e32 v5, 6, v0
	v_mul_u32_u24_e32 v5, 24, v5
	v_pk_mov_b32 v[2:3], v[2:3], v[2:3] op_sel:[1,0]
	ds_write2_b64 v5, v[2:3], v[6:7] offset1:1
	ds_write_b32 v5, v15 offset:16
.LBB16_30:
	s_or_b64 exec, exec, s[4:5]
	s_waitcnt lgkmcnt(0)
	s_barrier
	s_load_dword s4, s[0:1], 0x34
	v_mul_u32_u24_e32 v4, 24, v4
	v_mov_b32_e32 v2, 0
	v_mov_b32_e32 v3, 0
	s_waitcnt lgkmcnt(0)
	s_bfe_u32 s4, s4, 0xa0006
	v_cmp_gt_u32_e32 vcc, s4, v0
	s_and_saveexec_b64 s[4:5], vcc
	s_cbranch_execnz .LBB16_36
; %bb.31:
	s_or_b64 exec, exec, s[4:5]
	s_and_saveexec_b64 s[4:5], vcc
	s_cbranch_execnz .LBB16_37
.LBB16_32:
	s_or_b64 exec, exec, s[4:5]
	v_mov_b32_e32 v6, 0
	s_and_saveexec_b64 s[4:5], vcc
	s_cbranch_execnz .LBB16_38
.LBB16_33:
	s_or_b64 exec, exec, s[4:5]
	v_cmp_gt_u32_e32 vcc, 64, v0
	s_and_saveexec_b64 s[4:5], vcc
	s_cbranch_execnz .LBB16_39
.LBB16_34:
	s_or_b64 exec, exec, s[4:5]
	v_cmp_eq_u32_e32 vcc, 0, v0
	s_and_saveexec_b64 s[4:5], vcc
	s_cbranch_execnz .LBB16_64
.LBB16_35:
	s_endpgm
.LBB16_36:
	ds_read_b32 v3, v4
	s_or_b64 exec, exec, s[4:5]
	s_and_saveexec_b64 s[4:5], vcc
	s_cbranch_execz .LBB16_32
.LBB16_37:
	ds_read_b32 v2, v4 offset:4
	s_or_b64 exec, exec, s[4:5]
	v_mov_b32_e32 v6, 0
	s_and_saveexec_b64 s[4:5], vcc
	s_cbranch_execz .LBB16_33
.LBB16_38:
	ds_read_b32 v6, v4 offset:16
	s_or_b64 exec, exec, s[4:5]
	v_cmp_gt_u32_e32 vcc, 64, v0
	s_and_saveexec_b64 s[4:5], vcc
	s_cbranch_execz .LBB16_34
.LBB16_39:
	s_waitcnt lgkmcnt(0)
	ds_bpermute_b32 v5, v10, v3
	ds_bpermute_b32 v4, v10, v2
	;; [unrolled: 1-line block ×3, first 2 shown]
	v_cmp_neq_f32_e32 vcc, 0, v6
	s_and_saveexec_b64 s[6:7], vcc
	s_cbranch_execz .LBB16_43
; %bb.40:
	s_waitcnt lgkmcnt(0)
	v_cmp_neq_f32_e32 vcc, 0, v7
	s_and_saveexec_b64 s[8:9], vcc
	s_cbranch_execz .LBB16_42
; %bb.41:
	v_add_f32_e32 v10, v6, v7
	v_div_scale_f32 v9, s[10:11], v10, v10, v7
	v_rcp_f32_e32 v15, v9
	v_add_f32_e32 v8, v2, v4
	v_pk_add_f32 v[4:5], v[4:5], v[2:3] neg_lo:[0,1] neg_hi:[0,1]
	v_fma_f32 v2, -v9, v15, 1.0
	v_fmac_f32_e32 v15, v2, v15
	v_div_scale_f32 v2, vcc, v7, v10, v7
	v_mul_f32_e32 v4, v2, v15
	v_fma_f32 v16, -v9, v4, v2
	v_fmac_f32_e32 v4, v16, v15
	v_fma_f32 v2, -v9, v4, v2
	v_div_fmas_f32 v2, v2, v15, v4
	v_div_fixup_f32 v4, v2, v10, v7
	v_mul_f32_e32 v2, v5, v5
	v_mul_f32_e32 v6, v6, v2
	v_mov_b32_e32 v7, v4
	v_mov_b32_e32 v9, v3
	v_pk_fma_f32 v[2:3], v[4:5], v[6:7], v[8:9]
	v_mov_b32_e32 v6, v10
.LBB16_42:
	s_or_b64 exec, exec, s[8:9]
	v_mov_b32_e32 v7, v6
	v_mov_b64_e32 v[4:5], v[2:3]
.LBB16_43:
	s_or_b64 exec, exec, s[6:7]
	s_waitcnt lgkmcnt(2)
	ds_bpermute_b32 v3, v1, v5
	s_waitcnt lgkmcnt(2)
	ds_bpermute_b32 v2, v1, v4
	;; [unrolled: 2-line block ×3, first 2 shown]
	v_cmp_neq_f32_e32 vcc, 0, v7
	s_and_saveexec_b64 s[6:7], vcc
	s_cbranch_execz .LBB16_47
; %bb.44:
	s_waitcnt lgkmcnt(0)
	v_cmp_neq_f32_e32 vcc, 0, v1
	s_and_saveexec_b64 s[8:9], vcc
	s_cbranch_execz .LBB16_46
; %bb.45:
	v_add_f32_e32 v10, v7, v1
	v_div_scale_f32 v6, s[10:11], v10, v10, v1
	v_rcp_f32_e32 v15, v6
	v_pk_add_f32 v[8:9], v[2:3], v[4:5] neg_lo:[0,1] neg_hi:[0,1]
	v_pk_add_f32 v[2:3], v[4:5], v[2:3]
	v_fma_f32 v8, -v6, v15, 1.0
	v_fmac_f32_e32 v15, v8, v15
	v_div_scale_f32 v8, vcc, v1, v10, v1
	v_mul_f32_e32 v16, v8, v15
	v_fma_f32 v17, -v6, v16, v8
	v_fmac_f32_e32 v16, v17, v15
	v_fma_f32 v6, -v6, v16, v8
	v_div_fmas_f32 v6, v6, v15, v16
	v_div_fixup_f32 v6, v6, v10, v1
	v_mul_f32_e32 v1, v9, v9
	v_mul_f32_e32 v8, v7, v1
	v_mov_b32_e32 v3, v5
	v_pk_fma_f32 v[4:5], v[8:9], v[6:7], v[2:3] op_sel_hi:[1,0,1]
	v_mov_b32_e32 v7, v10
.LBB16_46:
	s_or_b64 exec, exec, s[8:9]
	v_mov_b32_e32 v1, v7
	v_mov_b64_e32 v[2:3], v[4:5]
.LBB16_47:
	s_or_b64 exec, exec, s[6:7]
	s_waitcnt lgkmcnt(2)
	ds_bpermute_b32 v5, v11, v3
	s_waitcnt lgkmcnt(2)
	ds_bpermute_b32 v4, v11, v2
	s_waitcnt lgkmcnt(2)
	ds_bpermute_b32 v6, v11, v1
	v_cmp_neq_f32_e32 vcc, 0, v1
	s_and_saveexec_b64 s[6:7], vcc
	s_cbranch_execz .LBB16_51
; %bb.48:
	s_waitcnt lgkmcnt(0)
	v_cmp_neq_f32_e32 vcc, 0, v6
	s_and_saveexec_b64 s[8:9], vcc
	s_cbranch_execz .LBB16_50
; %bb.49:
	v_add_f32_e32 v7, v1, v6
	v_div_scale_f32 v10, s[10:11], v7, v7, v6
	v_rcp_f32_e32 v11, v10
	v_pk_add_f32 v[8:9], v[4:5], v[2:3] neg_lo:[0,1] neg_hi:[0,1]
	v_pk_add_f32 v[4:5], v[2:3], v[4:5]
	v_mul_f32_e32 v2, v9, v9
	v_fma_f32 v8, -v10, v11, 1.0
	v_fmac_f32_e32 v11, v8, v11
	v_div_scale_f32 v8, vcc, v6, v7, v6
	v_mul_f32_e32 v15, v8, v11
	v_fma_f32 v16, -v10, v15, v8
	v_fmac_f32_e32 v15, v16, v11
	v_fma_f32 v8, -v10, v15, v8
	v_div_fmas_f32 v8, v8, v11, v15
	v_div_fixup_f32 v6, v8, v7, v6
	v_mul_f32_e32 v8, v1, v2
	v_mov_b32_e32 v5, v3
	v_pk_fma_f32 v[2:3], v[8:9], v[6:7], v[4:5] op_sel_hi:[1,0,1]
	v_mov_b32_e32 v1, v7
.LBB16_50:
	s_or_b64 exec, exec, s[8:9]
	v_mov_b32_e32 v6, v1
	v_mov_b64_e32 v[4:5], v[2:3]
.LBB16_51:
	s_or_b64 exec, exec, s[6:7]
	s_waitcnt lgkmcnt(2)
	ds_bpermute_b32 v3, v12, v5
	s_waitcnt lgkmcnt(2)
	ds_bpermute_b32 v2, v12, v4
	;; [unrolled: 2-line block ×3, first 2 shown]
	v_cmp_neq_f32_e32 vcc, 0, v6
	s_and_saveexec_b64 s[6:7], vcc
	s_cbranch_execz .LBB16_55
; %bb.52:
	s_waitcnt lgkmcnt(0)
	v_cmp_neq_f32_e32 vcc, 0, v7
	s_and_saveexec_b64 s[8:9], vcc
	s_cbranch_execz .LBB16_54
; %bb.53:
	v_add_f32_e32 v1, v6, v7
	v_div_scale_f32 v10, s[10:11], v1, v1, v7
	v_rcp_f32_e32 v11, v10
	v_pk_add_f32 v[8:9], v[2:3], v[4:5] neg_lo:[0,1] neg_hi:[0,1]
	v_pk_add_f32 v[2:3], v[4:5], v[2:3]
	v_fma_f32 v8, -v10, v11, 1.0
	v_fmac_f32_e32 v11, v8, v11
	v_div_scale_f32 v8, vcc, v7, v1, v7
	v_mul_f32_e32 v12, v8, v11
	v_fma_f32 v15, -v10, v12, v8
	v_fmac_f32_e32 v12, v15, v11
	v_fma_f32 v8, -v10, v12, v8
	v_div_fmas_f32 v8, v8, v11, v12
	v_mul_f32_e32 v3, v9, v9
	v_div_fixup_f32 v10, v8, v1, v7
	v_mul_f32_e32 v8, v6, v3
	v_mov_b32_e32 v3, v5
	v_pk_fma_f32 v[4:5], v[8:9], v[10:11], v[2:3] op_sel_hi:[1,0,1]
	v_mov_b32_e32 v6, v1
.LBB16_54:
	s_or_b64 exec, exec, s[8:9]
	v_mov_b32_e32 v7, v6
	v_mov_b64_e32 v[2:3], v[4:5]
.LBB16_55:
	s_or_b64 exec, exec, s[6:7]
	s_waitcnt lgkmcnt(2)
	ds_bpermute_b32 v5, v13, v3
	s_waitcnt lgkmcnt(2)
	ds_bpermute_b32 v4, v13, v2
	;; [unrolled: 2-line block ×3, first 2 shown]
	v_cmp_neq_f32_e32 vcc, 0, v7
	s_and_saveexec_b64 s[6:7], vcc
	s_cbranch_execz .LBB16_59
; %bb.56:
	s_waitcnt lgkmcnt(0)
	v_cmp_neq_f32_e32 vcc, 0, v1
	s_and_saveexec_b64 s[8:9], vcc
	s_cbranch_execz .LBB16_58
; %bb.57:
	v_add_f32_e32 v10, v7, v1
	v_div_scale_f32 v6, s[10:11], v10, v10, v1
	v_rcp_f32_e32 v11, v6
	v_pk_add_f32 v[8:9], v[4:5], v[2:3] neg_lo:[0,1] neg_hi:[0,1]
	v_pk_add_f32 v[4:5], v[2:3], v[4:5]
	v_fma_f32 v8, -v6, v11, 1.0
	v_fmac_f32_e32 v11, v8, v11
	v_div_scale_f32 v8, vcc, v1, v10, v1
	v_mul_f32_e32 v12, v8, v11
	v_fma_f32 v13, -v6, v12, v8
	v_fmac_f32_e32 v12, v13, v11
	v_fma_f32 v6, -v6, v12, v8
	v_div_fmas_f32 v6, v6, v11, v12
	v_div_fixup_f32 v6, v6, v10, v1
	v_mul_f32_e32 v1, v9, v9
	v_mul_f32_e32 v8, v7, v1
	v_mov_b32_e32 v5, v3
	v_pk_fma_f32 v[2:3], v[8:9], v[6:7], v[4:5] op_sel_hi:[1,0,1]
	v_mov_b32_e32 v7, v10
.LBB16_58:
	s_or_b64 exec, exec, s[8:9]
	v_mov_b32_e32 v1, v7
	v_mov_b64_e32 v[4:5], v[2:3]
.LBB16_59:
	s_or_b64 exec, exec, s[6:7]
	s_waitcnt lgkmcnt(2)
	ds_bpermute_b32 v3, v14, v5
	s_waitcnt lgkmcnt(2)
	ds_bpermute_b32 v2, v14, v4
	;; [unrolled: 2-line block ×3, first 2 shown]
	v_cmp_neq_f32_e32 vcc, 0, v1
	s_and_saveexec_b64 s[6:7], vcc
	s_cbranch_execz .LBB16_63
; %bb.60:
	s_waitcnt lgkmcnt(0)
	v_cmp_neq_f32_e32 vcc, 0, v6
	s_and_saveexec_b64 s[8:9], vcc
	s_cbranch_execz .LBB16_62
; %bb.61:
	v_add_f32_e32 v7, v1, v6
	v_div_scale_f32 v10, s[10:11], v7, v7, v6
	v_rcp_f32_e32 v11, v10
	v_pk_add_f32 v[8:9], v[2:3], v[4:5] neg_lo:[0,1] neg_hi:[0,1]
	v_pk_add_f32 v[2:3], v[4:5], v[2:3]
	v_fma_f32 v8, -v10, v11, 1.0
	v_fmac_f32_e32 v11, v8, v11
	v_div_scale_f32 v8, vcc, v6, v7, v6
	v_mul_f32_e32 v12, v8, v11
	v_fma_f32 v13, -v10, v12, v8
	v_fmac_f32_e32 v12, v13, v11
	v_fma_f32 v8, -v10, v12, v8
	v_div_fmas_f32 v8, v8, v11, v12
	v_mul_f32_e32 v3, v9, v9
	v_div_fixup_f32 v6, v8, v7, v6
	v_mul_f32_e32 v8, v1, v3
	v_mov_b32_e32 v3, v5
	v_pk_fma_f32 v[4:5], v[8:9], v[6:7], v[2:3] op_sel_hi:[1,0,1]
	v_mov_b32_e32 v1, v7
.LBB16_62:
	s_or_b64 exec, exec, s[8:9]
	v_mov_b64_e32 v[2:3], v[4:5]
	v_mov_b32_e32 v6, v1
.LBB16_63:
	s_or_b64 exec, exec, s[6:7]
	s_or_b64 exec, exec, s[4:5]
	v_cmp_eq_u32_e32 vcc, 0, v0
	s_and_saveexec_b64 s[4:5], vcc
	s_cbranch_execz .LBB16_35
.LBB16_64:
	s_waitcnt lgkmcnt(0)
	v_max_f32_e32 v0, v6, v6
	v_max_f32_e32 v0, 0, v0
	v_div_scale_f32 v1, s[4:5], v0, v0, v2
	v_rcp_f32_e32 v4, v1
	s_load_dword s6, s[0:1], 0x8
	s_load_dwordx2 s[4:5], s[0:1], 0x20
	s_mov_b32 s0, 0x800000
	v_fma_f32 v5, -v1, v4, 1.0
	v_fmac_f32_e32 v4, v5, v4
	v_div_scale_f32 v5, vcc, v2, v0, v2
	v_mul_f32_e32 v6, v5, v4
	v_fma_f32 v7, -v1, v6, v5
	v_fmac_f32_e32 v6, v7, v4
	v_fma_f32 v1, -v1, v6, v5
	v_div_fmas_f32 v1, v1, v4, v6
	v_div_fixup_f32 v0, v1, v0, v2
	v_fmac_f32_e32 v0, v3, v3
	s_waitcnt lgkmcnt(0)
	v_add_f32_e32 v0, s6, v0
	v_mul_f32_e32 v1, 0x4b800000, v0
	v_cmp_gt_f32_e32 vcc, s0, v0
	s_lshl_b64 s[0:1], s[2:3], 2
	s_add_u32 s0, s4, s0
	v_cndmask_b32_e32 v0, v0, v1, vcc
	v_rsq_f32_e32 v0, v0
	s_addc_u32 s1, s5, s1
	v_mul_f32_e32 v1, 0x45800000, v0
	v_cndmask_b32_e32 v0, v0, v1, vcc
	v_mov_b32_e32 v1, 0
	global_store_dword v1, v0, s[0:1]
	s_endpgm
	.section	.rodata,"a",@progbits
	.p2align	6, 0x0
	.amdhsa_kernel _ZN2at6native12_GLOBAL__N_124RowwiseMomentsCUDAKernelIffLb1EEEvlT0_PKT_PS3_S7_
		.amdhsa_group_segment_fixed_size 1536
		.amdhsa_private_segment_fixed_size 0
		.amdhsa_kernarg_size 296
		.amdhsa_user_sgpr_count 2
		.amdhsa_user_sgpr_dispatch_ptr 0
		.amdhsa_user_sgpr_queue_ptr 0
		.amdhsa_user_sgpr_kernarg_segment_ptr 1
		.amdhsa_user_sgpr_dispatch_id 0
		.amdhsa_user_sgpr_kernarg_preload_length 0
		.amdhsa_user_sgpr_kernarg_preload_offset 0
		.amdhsa_user_sgpr_private_segment_size 0
		.amdhsa_uses_dynamic_stack 0
		.amdhsa_enable_private_segment 0
		.amdhsa_system_sgpr_workgroup_id_x 1
		.amdhsa_system_sgpr_workgroup_id_y 0
		.amdhsa_system_sgpr_workgroup_id_z 0
		.amdhsa_system_sgpr_workgroup_info 0
		.amdhsa_system_vgpr_workitem_id 0
		.amdhsa_next_free_vgpr 21
		.amdhsa_next_free_sgpr 19
		.amdhsa_accum_offset 24
		.amdhsa_reserve_vcc 1
		.amdhsa_float_round_mode_32 0
		.amdhsa_float_round_mode_16_64 0
		.amdhsa_float_denorm_mode_32 3
		.amdhsa_float_denorm_mode_16_64 3
		.amdhsa_dx10_clamp 1
		.amdhsa_ieee_mode 1
		.amdhsa_fp16_overflow 0
		.amdhsa_tg_split 0
		.amdhsa_exception_fp_ieee_invalid_op 0
		.amdhsa_exception_fp_denorm_src 0
		.amdhsa_exception_fp_ieee_div_zero 0
		.amdhsa_exception_fp_ieee_overflow 0
		.amdhsa_exception_fp_ieee_underflow 0
		.amdhsa_exception_fp_ieee_inexact 0
		.amdhsa_exception_int_div_zero 0
	.end_amdhsa_kernel
	.section	.text._ZN2at6native12_GLOBAL__N_124RowwiseMomentsCUDAKernelIffLb1EEEvlT0_PKT_PS3_S7_,"axG",@progbits,_ZN2at6native12_GLOBAL__N_124RowwiseMomentsCUDAKernelIffLb1EEEvlT0_PKT_PS3_S7_,comdat
.Lfunc_end16:
	.size	_ZN2at6native12_GLOBAL__N_124RowwiseMomentsCUDAKernelIffLb1EEEvlT0_PKT_PS3_S7_, .Lfunc_end16-_ZN2at6native12_GLOBAL__N_124RowwiseMomentsCUDAKernelIffLb1EEEvlT0_PKT_PS3_S7_
                                        ; -- End function
	.set _ZN2at6native12_GLOBAL__N_124RowwiseMomentsCUDAKernelIffLb1EEEvlT0_PKT_PS3_S7_.num_vgpr, 21
	.set _ZN2at6native12_GLOBAL__N_124RowwiseMomentsCUDAKernelIffLb1EEEvlT0_PKT_PS3_S7_.num_agpr, 0
	.set _ZN2at6native12_GLOBAL__N_124RowwiseMomentsCUDAKernelIffLb1EEEvlT0_PKT_PS3_S7_.numbered_sgpr, 19
	.set _ZN2at6native12_GLOBAL__N_124RowwiseMomentsCUDAKernelIffLb1EEEvlT0_PKT_PS3_S7_.num_named_barrier, 0
	.set _ZN2at6native12_GLOBAL__N_124RowwiseMomentsCUDAKernelIffLb1EEEvlT0_PKT_PS3_S7_.private_seg_size, 0
	.set _ZN2at6native12_GLOBAL__N_124RowwiseMomentsCUDAKernelIffLb1EEEvlT0_PKT_PS3_S7_.uses_vcc, 1
	.set _ZN2at6native12_GLOBAL__N_124RowwiseMomentsCUDAKernelIffLb1EEEvlT0_PKT_PS3_S7_.uses_flat_scratch, 0
	.set _ZN2at6native12_GLOBAL__N_124RowwiseMomentsCUDAKernelIffLb1EEEvlT0_PKT_PS3_S7_.has_dyn_sized_stack, 0
	.set _ZN2at6native12_GLOBAL__N_124RowwiseMomentsCUDAKernelIffLb1EEEvlT0_PKT_PS3_S7_.has_recursion, 0
	.set _ZN2at6native12_GLOBAL__N_124RowwiseMomentsCUDAKernelIffLb1EEEvlT0_PKT_PS3_S7_.has_indirect_call, 0
	.section	.AMDGPU.csdata,"",@progbits
; Kernel info:
; codeLenInByte = 3440
; TotalNumSgprs: 25
; NumVgprs: 21
; NumAgprs: 0
; TotalNumVgprs: 21
; ScratchSize: 0
; MemoryBound: 0
; FloatMode: 240
; IeeeMode: 1
; LDSByteSize: 1536 bytes/workgroup (compile time only)
; SGPRBlocks: 3
; VGPRBlocks: 2
; NumSGPRsForWavesPerEU: 25
; NumVGPRsForWavesPerEU: 21
; AccumOffset: 24
; Occupancy: 8
; WaveLimiterHint : 0
; COMPUTE_PGM_RSRC2:SCRATCH_EN: 0
; COMPUTE_PGM_RSRC2:USER_SGPR: 2
; COMPUTE_PGM_RSRC2:TRAP_HANDLER: 0
; COMPUTE_PGM_RSRC2:TGID_X_EN: 1
; COMPUTE_PGM_RSRC2:TGID_Y_EN: 0
; COMPUTE_PGM_RSRC2:TGID_Z_EN: 0
; COMPUTE_PGM_RSRC2:TIDIG_COMP_CNT: 0
; COMPUTE_PGM_RSRC3_GFX90A:ACCUM_OFFSET: 5
; COMPUTE_PGM_RSRC3_GFX90A:TG_SPLIT: 0
	.section	.text._ZN2at6native12_GLOBAL__N_126LayerNormForwardCUDAKernelIffLb1EEEvlPKT_PKT0_S8_S5_S5_PS3_,"axG",@progbits,_ZN2at6native12_GLOBAL__N_126LayerNormForwardCUDAKernelIffLb1EEEvlPKT_PKT0_S8_S5_S5_PS3_,comdat
	.globl	_ZN2at6native12_GLOBAL__N_126LayerNormForwardCUDAKernelIffLb1EEEvlPKT_PKT0_S8_S5_S5_PS3_ ; -- Begin function _ZN2at6native12_GLOBAL__N_126LayerNormForwardCUDAKernelIffLb1EEEvlPKT_PKT0_S8_S5_S5_PS3_
	.p2align	8
	.type	_ZN2at6native12_GLOBAL__N_126LayerNormForwardCUDAKernelIffLb1EEEvlPKT_PKT0_S8_S5_S5_PS3_,@function
_ZN2at6native12_GLOBAL__N_126LayerNormForwardCUDAKernelIffLb1EEEvlPKT_PKT0_S8_S5_S5_PS3_: ; @_ZN2at6native12_GLOBAL__N_126LayerNormForwardCUDAKernelIffLb1EEEvlPKT_PKT0_S8_S5_S5_PS3_
; %bb.0:
	s_load_dwordx4 s[4:7], s[0:1], 0x0
	v_mov_b32_e32 v1, 0
	s_waitcnt lgkmcnt(0)
	v_cmp_gt_i64_e32 vcc, s[4:5], v[0:1]
	s_and_saveexec_b64 s[8:9], vcc
	s_cbranch_execz .LBB17_6
; %bb.1:
	s_load_dwordx4 s[8:11], s[0:1], 0x18
	s_load_dwordx2 s[16:17], s[0:1], 0x30
	s_load_dword s18, s[0:1], 0x44
	s_mov_b32 s3, 0
	s_mul_hi_u32 s19, s4, s2
	s_waitcnt lgkmcnt(0)
	s_cmp_lg_u64 s[10:11], 0
	s_cselect_b64 s[0:1], -1, 0
	s_lshl_b64 s[14:15], s[2:3], 2
	s_add_u32 s8, s8, s14
	s_addc_u32 s9, s9, s15
	s_and_b32 s14, s18, 0xffff
	s_mul_i32 s18, s5, s2
	s_add_i32 s19, s19, s18
	s_mul_i32 s18, s4, s2
	s_lshl_b64 s[18:19], s[18:19], 2
	s_add_u32 s6, s6, s18
	s_addc_u32 s7, s7, s19
	s_lshl_b32 s2, s14, 2
	s_add_u32 s16, s16, s18
	v_cndmask_b32_e64 v4, 0, 1, s[0:1]
	s_mov_b64 s[12:13], 0
	s_mov_b32 s15, s3
	v_lshlrev_b32_e32 v2, 2, v0
	v_mov_b32_e32 v3, v1
	s_addc_u32 s17, s17, s19
	v_cmp_ne_u32_e64 s[0:1], 1, v4
	v_mov_b64_e32 v[4:5], v[0:1]
	s_branch .LBB17_4
.LBB17_2:                               ;   in Loop: Header=BB17_4 Depth=1
	v_lshl_add_u64 v[6:7], s[10:11], 0, v[2:3]
	global_load_dword v0, v[6:7], off
.LBB17_3:                               ;   in Loop: Header=BB17_4 Depth=1
	v_lshl_add_u64 v[6:7], s[6:7], 0, v[2:3]
	global_load_dword v8, v1, s[8:9]
	global_load_dword v9, v[6:7], off
	v_lshl_add_u64 v[4:5], v[4:5], 0, s[14:15]
	v_cmp_le_i64_e32 vcc, s[4:5], v[4:5]
	v_lshl_add_u64 v[6:7], s[16:17], 0, v[2:3]
	s_or_b64 s[12:13], vcc, s[12:13]
	v_lshl_add_u64 v[2:3], v[2:3], 0, s[2:3]
	s_waitcnt vmcnt(0)
	v_mul_f32_e32 v8, v9, v8
	v_mul_f32_e32 v0, v0, v8
	global_store_dword v[6:7], v0, off
	s_andn2_b64 exec, exec, s[12:13]
	s_cbranch_execz .LBB17_6
.LBB17_4:                               ; =>This Inner Loop Header: Depth=1
	s_and_b64 vcc, exec, s[0:1]
	s_cbranch_vccz .LBB17_2
; %bb.5:                                ;   in Loop: Header=BB17_4 Depth=1
	v_mov_b32_e32 v0, 1.0
	s_branch .LBB17_3
.LBB17_6:
	s_endpgm
	.section	.rodata,"a",@progbits
	.p2align	6, 0x0
	.amdhsa_kernel _ZN2at6native12_GLOBAL__N_126LayerNormForwardCUDAKernelIffLb1EEEvlPKT_PKT0_S8_S5_S5_PS3_
		.amdhsa_group_segment_fixed_size 0
		.amdhsa_private_segment_fixed_size 0
		.amdhsa_kernarg_size 312
		.amdhsa_user_sgpr_count 2
		.amdhsa_user_sgpr_dispatch_ptr 0
		.amdhsa_user_sgpr_queue_ptr 0
		.amdhsa_user_sgpr_kernarg_segment_ptr 1
		.amdhsa_user_sgpr_dispatch_id 0
		.amdhsa_user_sgpr_kernarg_preload_length 0
		.amdhsa_user_sgpr_kernarg_preload_offset 0
		.amdhsa_user_sgpr_private_segment_size 0
		.amdhsa_uses_dynamic_stack 0
		.amdhsa_enable_private_segment 0
		.amdhsa_system_sgpr_workgroup_id_x 1
		.amdhsa_system_sgpr_workgroup_id_y 0
		.amdhsa_system_sgpr_workgroup_id_z 0
		.amdhsa_system_sgpr_workgroup_info 0
		.amdhsa_system_vgpr_workitem_id 0
		.amdhsa_next_free_vgpr 10
		.amdhsa_next_free_sgpr 20
		.amdhsa_accum_offset 12
		.amdhsa_reserve_vcc 1
		.amdhsa_float_round_mode_32 0
		.amdhsa_float_round_mode_16_64 0
		.amdhsa_float_denorm_mode_32 3
		.amdhsa_float_denorm_mode_16_64 3
		.amdhsa_dx10_clamp 1
		.amdhsa_ieee_mode 1
		.amdhsa_fp16_overflow 0
		.amdhsa_tg_split 0
		.amdhsa_exception_fp_ieee_invalid_op 0
		.amdhsa_exception_fp_denorm_src 0
		.amdhsa_exception_fp_ieee_div_zero 0
		.amdhsa_exception_fp_ieee_overflow 0
		.amdhsa_exception_fp_ieee_underflow 0
		.amdhsa_exception_fp_ieee_inexact 0
		.amdhsa_exception_int_div_zero 0
	.end_amdhsa_kernel
	.section	.text._ZN2at6native12_GLOBAL__N_126LayerNormForwardCUDAKernelIffLb1EEEvlPKT_PKT0_S8_S5_S5_PS3_,"axG",@progbits,_ZN2at6native12_GLOBAL__N_126LayerNormForwardCUDAKernelIffLb1EEEvlPKT_PKT0_S8_S5_S5_PS3_,comdat
.Lfunc_end17:
	.size	_ZN2at6native12_GLOBAL__N_126LayerNormForwardCUDAKernelIffLb1EEEvlPKT_PKT0_S8_S5_S5_PS3_, .Lfunc_end17-_ZN2at6native12_GLOBAL__N_126LayerNormForwardCUDAKernelIffLb1EEEvlPKT_PKT0_S8_S5_S5_PS3_
                                        ; -- End function
	.set _ZN2at6native12_GLOBAL__N_126LayerNormForwardCUDAKernelIffLb1EEEvlPKT_PKT0_S8_S5_S5_PS3_.num_vgpr, 10
	.set _ZN2at6native12_GLOBAL__N_126LayerNormForwardCUDAKernelIffLb1EEEvlPKT_PKT0_S8_S5_S5_PS3_.num_agpr, 0
	.set _ZN2at6native12_GLOBAL__N_126LayerNormForwardCUDAKernelIffLb1EEEvlPKT_PKT0_S8_S5_S5_PS3_.numbered_sgpr, 20
	.set _ZN2at6native12_GLOBAL__N_126LayerNormForwardCUDAKernelIffLb1EEEvlPKT_PKT0_S8_S5_S5_PS3_.num_named_barrier, 0
	.set _ZN2at6native12_GLOBAL__N_126LayerNormForwardCUDAKernelIffLb1EEEvlPKT_PKT0_S8_S5_S5_PS3_.private_seg_size, 0
	.set _ZN2at6native12_GLOBAL__N_126LayerNormForwardCUDAKernelIffLb1EEEvlPKT_PKT0_S8_S5_S5_PS3_.uses_vcc, 1
	.set _ZN2at6native12_GLOBAL__N_126LayerNormForwardCUDAKernelIffLb1EEEvlPKT_PKT0_S8_S5_S5_PS3_.uses_flat_scratch, 0
	.set _ZN2at6native12_GLOBAL__N_126LayerNormForwardCUDAKernelIffLb1EEEvlPKT_PKT0_S8_S5_S5_PS3_.has_dyn_sized_stack, 0
	.set _ZN2at6native12_GLOBAL__N_126LayerNormForwardCUDAKernelIffLb1EEEvlPKT_PKT0_S8_S5_S5_PS3_.has_recursion, 0
	.set _ZN2at6native12_GLOBAL__N_126LayerNormForwardCUDAKernelIffLb1EEEvlPKT_PKT0_S8_S5_S5_PS3_.has_indirect_call, 0
	.section	.AMDGPU.csdata,"",@progbits
; Kernel info:
; codeLenInByte = 288
; TotalNumSgprs: 26
; NumVgprs: 10
; NumAgprs: 0
; TotalNumVgprs: 10
; ScratchSize: 0
; MemoryBound: 0
; FloatMode: 240
; IeeeMode: 1
; LDSByteSize: 0 bytes/workgroup (compile time only)
; SGPRBlocks: 3
; VGPRBlocks: 1
; NumSGPRsForWavesPerEU: 26
; NumVGPRsForWavesPerEU: 10
; AccumOffset: 12
; Occupancy: 8
; WaveLimiterHint : 0
; COMPUTE_PGM_RSRC2:SCRATCH_EN: 0
; COMPUTE_PGM_RSRC2:USER_SGPR: 2
; COMPUTE_PGM_RSRC2:TRAP_HANDLER: 0
; COMPUTE_PGM_RSRC2:TGID_X_EN: 1
; COMPUTE_PGM_RSRC2:TGID_Y_EN: 0
; COMPUTE_PGM_RSRC2:TGID_Z_EN: 0
; COMPUTE_PGM_RSRC2:TIDIG_COMP_CNT: 0
; COMPUTE_PGM_RSRC3_GFX90A:ACCUM_OFFSET: 2
; COMPUTE_PGM_RSRC3_GFX90A:TG_SPLIT: 0
	.section	.text._ZN2at6native12_GLOBAL__N_128vectorized_layer_norm_kernelIN3c104HalfEfLb1EEEviT0_PKT_S8_S8_PS5_S9_PS6_,"axG",@progbits,_ZN2at6native12_GLOBAL__N_128vectorized_layer_norm_kernelIN3c104HalfEfLb1EEEviT0_PKT_S8_S8_PS5_S9_PS6_,comdat
	.globl	_ZN2at6native12_GLOBAL__N_128vectorized_layer_norm_kernelIN3c104HalfEfLb1EEEviT0_PKT_S8_S8_PS5_S9_PS6_ ; -- Begin function _ZN2at6native12_GLOBAL__N_128vectorized_layer_norm_kernelIN3c104HalfEfLb1EEEviT0_PKT_S8_S8_PS5_S9_PS6_
	.p2align	8
	.type	_ZN2at6native12_GLOBAL__N_128vectorized_layer_norm_kernelIN3c104HalfEfLb1EEEviT0_PKT_S8_S8_PS5_S9_PS6_,@function
_ZN2at6native12_GLOBAL__N_128vectorized_layer_norm_kernelIN3c104HalfEfLb1EEEviT0_PKT_S8_S8_PS5_S9_PS6_: ; @_ZN2at6native12_GLOBAL__N_128vectorized_layer_norm_kernelIN3c104HalfEfLb1EEEviT0_PKT_S8_S8_PS5_S9_PS6_
; %bb.0:
	s_load_dwordx4 s[8:11], s[0:1], 0x0
	s_load_dword s4, s[0:1], 0x44
	v_and_b32_e32 v2, 0x3ff, v0
	v_bfe_u32 v3, v0, 10, 10
	s_mov_b32 s3, 0
	s_waitcnt lgkmcnt(0)
	s_ashr_i32 s5, s8, 31
	s_lshr_b32 s20, s4, 16
	s_and_b32 s4, s4, 0xffff
	s_mul_i32 s16, s20, s4
	v_mul_u32_u24_e32 v0, s4, v3
	v_mad_u32_u24 v16, v3, s4, v2
	s_lshr_b32 s4, s5, 30
	s_add_i32 s4, s8, s4
	s_mul_hi_u32 s6, s8, s2
	s_mul_i32 s7, s5, s2
	s_ashr_i32 s28, s4, 2
	s_add_i32 s19, s6, s7
	s_mul_i32 s18, s8, s2
	v_cmp_gt_i32_e64 s[4:5], s28, v16
	v_mov_b32_e32 v9, 0
	v_add_lshl_u32 v8, v0, v2, 3
	s_and_saveexec_b64 s[6:7], s[4:5]
	s_cbranch_execz .LBB18_4
; %bb.1:
	s_lshl_b64 s[12:13], s[18:19], 1
	s_add_u32 s12, s10, s12
	v_mov_b32_e32 v9, 0
	s_addc_u32 s13, s11, s13
	v_lshl_add_u64 v[0:1], s[12:13], 0, v[8:9]
	s_ashr_i32 s17, s16, 31
	v_lshl_add_u64 v[0:1], v[0:1], 0, 4
	s_lshl_b64 s[14:15], s[16:17], 3
	s_mov_b64 s[12:13], 0
	v_mov_b32_e32 v4, v16
.LBB18_2:                               ; =>This Inner Loop Header: Depth=1
	global_load_dwordx2 v[6:7], v[0:1], off offset:-4
	v_add_u32_e32 v4, s16, v4
	v_cmp_le_i32_e32 vcc, s28, v4
	v_lshl_add_u64 v[0:1], v[0:1], 0, s[14:15]
	s_or_b64 s[12:13], vcc, s[12:13]
	s_waitcnt vmcnt(0)
	v_cvt_f32_f16_sdwa v11, v6 dst_sel:DWORD dst_unused:UNUSED_PAD src0_sel:WORD_1
	v_cvt_f32_f16_e32 v10, v6
	v_cvt_f32_f16_sdwa v13, v7 dst_sel:DWORD dst_unused:UNUSED_PAD src0_sel:WORD_1
	v_cvt_f32_f16_e32 v12, v7
	v_pk_mul_f32 v[6:7], v[10:11], v[10:11]
	s_nop 0
	v_add_f32_e32 v5, v9, v6
	v_pk_mul_f32 v[10:11], v[12:13], v[12:13]
	v_add_f32_e32 v5, v5, v7
	v_add_f32_e32 v5, v5, v10
	;; [unrolled: 1-line block ×3, first 2 shown]
	s_andn2_b64 exec, exec, s[12:13]
	s_cbranch_execnz .LBB18_2
; %bb.3:
	s_or_b64 exec, exec, s[12:13]
.LBB18_4:
	s_or_b64 exec, exec, s[6:7]
	v_mbcnt_lo_u32_b32 v0, -1, 0
	v_mbcnt_hi_u32_b32 v1, -1, v0
	v_lshlrev_b32_e32 v0, 2, v1
	v_or_b32_e32 v4, 0x80, v0
	ds_bpermute_b32 v4, v4, v9
	v_and_b32_e32 v5, 63, v1
	v_cmp_gt_u32_e32 vcc, 48, v5
	s_cmp_lt_u32 s20, 2
	s_waitcnt lgkmcnt(0)
	v_add_f32_e32 v4, v9, v4
	v_cndmask_b32_e64 v6, 0, 16, vcc
	v_add_lshl_u32 v6, v6, v1, 2
	ds_bpermute_b32 v6, v6, v4
	v_cmp_gt_u32_e32 vcc, 56, v5
	s_waitcnt lgkmcnt(0)
	v_add_f32_e32 v4, v4, v6
	v_cndmask_b32_e64 v7, 0, 8, vcc
	v_add_lshl_u32 v7, v7, v1, 2
	ds_bpermute_b32 v6, v7, v4
	v_cmp_gt_u32_e32 vcc, 60, v5
	;; [unrolled: 6-line block ×3, first 2 shown]
	s_waitcnt lgkmcnt(0)
	v_add_f32_e32 v4, v4, v6
	v_cndmask_b32_e64 v7, 0, 2, vcc
	v_add_lshl_u32 v7, v7, v1, 2
	ds_bpermute_b32 v6, v7, v4
	v_cmp_ne_u32_e32 vcc, 63, v5
	s_waitcnt lgkmcnt(0)
	v_add_f32_e32 v4, v4, v6
	v_addc_co_u32_e32 v1, vcc, 0, v1, vcc
	v_lshlrev_b32_e32 v1, 2, v1
	ds_bpermute_b32 v1, v1, v4
	s_waitcnt lgkmcnt(0)
	v_add_f32_e32 v4, v4, v1
	s_cbranch_scc0 .LBB18_6
; %bb.5:
	v_and_b32_e32 v0, 0x100, v0
	ds_bpermute_b32 v0, v0, v4
	v_cvt_f32_i32_e32 v1, s8
	s_waitcnt lgkmcnt(0)
	v_div_scale_f32 v5, s[6:7], v1, v1, v0
	v_rcp_f32_e32 v6, v5
	v_div_scale_f32 v7, vcc, v0, v1, v0
	v_fma_f32 v9, -v5, v6, 1.0
	v_fmac_f32_e32 v6, v9, v6
	v_mul_f32_e32 v9, v7, v6
	v_fma_f32 v10, -v5, v9, v7
	v_fmac_f32_e32 v9, v10, v6
	v_fma_f32 v5, -v5, v9, v7
	v_div_fmas_f32 v5, v5, v6, v9
	v_div_fixup_f32 v1, v5, v1, v0
	v_mov_b32_e32 v0, 0
	s_cbranch_execz .LBB18_7
	s_branch .LBB18_17
.LBB18_6:
                                        ; implicit-def: $vgpr1
	v_mov_b32_e32 v0, 0
.LBB18_7:
	s_lshl_b32 s6, s20, 2
	v_lshlrev_b32_e32 v1, 3, v3
	s_add_i32 s12, s6, 0
	v_cmp_eq_u32_e32 vcc, 0, v2
	v_mov_b32_e32 v0, 0
	v_add_u32_e32 v1, 0, v1
.LBB18_8:                               ; =>This Inner Loop Header: Depth=1
	s_lshr_b32 s13, s20, 1
	v_cmp_le_u32_e64 s[6:7], s13, v3
	s_and_b64 s[14:15], vcc, s[6:7]
	s_and_b32 s6, s20, 0xfffe
	v_cmp_gt_u32_e64 s[6:7], s6, v3
	s_and_b64 s[14:15], s[14:15], s[6:7]
	s_and_saveexec_b64 s[6:7], s[14:15]
	s_cbranch_execz .LBB18_10
; %bb.9:                                ;   in Loop: Header=BB18_8 Depth=1
	v_subrev_u32_e32 v5, s13, v3
	v_lshl_add_u32 v6, v5, 2, s12
	v_lshl_add_u32 v5, v5, 3, 0
	ds_write2_b32 v5, v0, v4 offset1:1
	ds_write_b32 v6, v0
.LBB18_10:                              ;   in Loop: Header=BB18_8 Depth=1
	s_or_b64 exec, exec, s[6:7]
	v_cmp_gt_u32_e64 s[6:7], s13, v3
	s_and_b64 s[14:15], vcc, s[6:7]
	s_waitcnt lgkmcnt(0)
	s_barrier
	s_and_saveexec_b64 s[6:7], s[14:15]
	s_cbranch_execz .LBB18_12
; %bb.11:                               ;   in Loop: Header=BB18_8 Depth=1
	ds_read_b32 v5, v1 offset:4
	s_waitcnt lgkmcnt(0)
	v_add_f32_e32 v4, v4, v5
.LBB18_12:                              ;   in Loop: Header=BB18_8 Depth=1
	s_or_b64 exec, exec, s[6:7]
	s_cmp_lt_u32 s20, 4
	s_barrier
	s_cbranch_scc1 .LBB18_14
; %bb.13:                               ;   in Loop: Header=BB18_8 Depth=1
	s_mov_b32 s20, s13
	s_branch .LBB18_8
.LBB18_14:
	v_or_b32_e32 v0, v2, v3
	v_cmp_eq_u32_e32 vcc, 0, v0
	s_and_saveexec_b64 s[6:7], vcc
	s_cbranch_execz .LBB18_16
; %bb.15:
	v_cvt_f32_i32_e32 v0, s8
	v_div_scale_f32 v1, s[12:13], v0, v0, v4
	v_rcp_f32_e32 v2, v1
	v_div_scale_f32 v3, vcc, v4, v0, v4
	v_fma_f32 v5, -v1, v2, 1.0
	v_fmac_f32_e32 v2, v5, v2
	v_mul_f32_e32 v5, v3, v2
	v_fma_f32 v6, -v1, v5, v3
	v_fmac_f32_e32 v5, v6, v2
	v_fma_f32 v1, -v1, v5, v3
	v_div_fmas_f32 v1, v1, v2, v5
	v_div_fixup_f32 v0, v1, v0, v4
	v_mov_b32_e32 v1, 0
	ds_write2_b32 v1, v1, v0 offset1:1
.LBB18_16:
	s_or_b64 exec, exec, s[6:7]
	v_mov_b32_e32 v0, 0
	s_waitcnt lgkmcnt(0)
	s_barrier
	ds_read2_b32 v[0:1], v0 offset1:1
.LBB18_17:
	s_waitcnt lgkmcnt(0)
	v_add_f32_e32 v1, s9, v1
	s_mov_b32 s6, 0x800000
	v_mul_f32_e32 v2, 0x4b800000, v1
	v_cmp_gt_f32_e32 vcc, s6, v1
	s_load_dwordx4 s[12:15], s[0:1], 0x28
	s_nop 0
	v_cndmask_b32_e32 v1, v1, v2, vcc
	v_rsq_f32_e32 v1, v1
	s_nop 0
	v_mul_f32_e32 v2, 0x45800000, v1
	v_cndmask_b32_e32 v10, v1, v2, vcc
	s_and_saveexec_b64 s[8:9], s[4:5]
	s_cbranch_execz .LBB18_32
; %bb.18:
	s_load_dwordx4 s[4:7], s[0:1], 0x10
	s_mov_b64 s[20:21], 0
	v_mov_b32_e32 v11, v10
	v_mov_b32_e32 v12, v10
	;; [unrolled: 1-line block ×3, first 2 shown]
	s_waitcnt lgkmcnt(0)
	s_cmp_eq_u64 s[4:5], 0
	s_cselect_b64 s[22:23], -1, 0
	s_cmp_eq_u64 s[6:7], 0
	s_cselect_b64 s[0:1], -1, 0
	s_lshl_b64 s[18:19], s[18:19], 1
	s_add_u32 s14, s14, s18
	s_addc_u32 s15, s15, s19
	s_add_u32 s10, s10, s18
	v_cndmask_b32_e64 v4, 0, 1, s[0:1]
	s_addc_u32 s11, s11, s19
	s_ashr_i32 s17, s16, 31
	s_or_b64 s[18:19], s[22:23], s[0:1]
	v_mov_b32_e32 v1, v0
	v_mov_b32_e32 v2, v0
	;; [unrolled: 1-line block ×4, first 2 shown]
	s_lshl_b64 s[24:25], s[16:17], 3
	v_cmp_ne_u32_e64 s[0:1], 1, v4
	v_mov_b32_e32 v17, v16
	s_branch .LBB18_20
.LBB18_19:                              ;   in Loop: Header=BB18_20 Depth=1
	v_add_u32_e32 v17, s16, v17
	v_cmp_le_i32_e32 vcc, s28, v17
	v_cvt_pk_f16_f32 v7, v6, v7
	v_cvt_pk_f16_f32 v6, v4, v5
	v_lshl_add_u64 v[4:5], s[14:15], 0, v[8:9]
	s_or_b64 s[20:21], vcc, s[20:21]
	v_lshl_add_u64 v[8:9], v[8:9], 0, s[24:25]
	global_store_dwordx2 v[4:5], v[6:7], off
	s_andn2_b64 exec, exec, s[20:21]
	s_cbranch_execz .LBB18_32
.LBB18_20:                              ; =>This Inner Loop Header: Depth=1
	v_lshl_add_u64 v[4:5], s[10:11], 0, v[8:9]
	global_load_dwordx2 v[14:15], v[4:5], off
	s_mov_b64 s[26:27], -1
	s_and_b64 vcc, exec, s[18:19]
                                        ; implicit-def: $vgpr4_vgpr5_vgpr6_vgpr7
	s_cbranch_vccz .LBB18_30
; %bb.21:                               ;   in Loop: Header=BB18_20 Depth=1
	s_and_b64 vcc, exec, s[22:23]
                                        ; implicit-def: $vgpr4_vgpr5_vgpr6_vgpr7
	s_cbranch_vccz .LBB18_27
; %bb.22:                               ;   in Loop: Header=BB18_20 Depth=1
	s_and_b64 vcc, exec, s[0:1]
                                        ; implicit-def: $vgpr4_vgpr5_vgpr6_vgpr7
	s_cbranch_vccnz .LBB18_24
; %bb.23:                               ;   in Loop: Header=BB18_20 Depth=1
	s_waitcnt vmcnt(0)
	v_cvt_f32_f16_sdwa v5, v14 dst_sel:DWORD dst_unused:UNUSED_PAD src0_sel:WORD_1
	v_cvt_f32_f16_sdwa v7, v15 dst_sel:DWORD dst_unused:UNUSED_PAD src0_sel:WORD_1
	v_cvt_f32_f16_e32 v6, v15
	v_cvt_f32_f16_e32 v4, v14
	s_mov_b64 s[26:27], 0
	v_pk_mul_f32 v[6:7], v[12:13], v[6:7]
	v_pk_mul_f32 v[4:5], v[10:11], v[4:5]
.LBB18_24:                              ;   in Loop: Header=BB18_20 Depth=1
	s_andn2_b64 vcc, exec, s[26:27]
	s_cbranch_vccnz .LBB18_26
; %bb.25:                               ;   in Loop: Header=BB18_20 Depth=1
	v_lshl_add_u64 v[4:5], s[6:7], 0, v[8:9]
	global_load_dwordx2 v[4:5], v[4:5], off
	s_waitcnt vmcnt(1)
	v_cvt_f32_f16_e32 v6, v14
	v_cvt_f32_f16_sdwa v7, v14 dst_sel:DWORD dst_unused:UNUSED_PAD src0_sel:WORD_1
	v_cvt_f32_f16_sdwa v22, v15 dst_sel:DWORD dst_unused:UNUSED_PAD src0_sel:WORD_1
	v_cvt_f32_f16_e32 v23, v15
	v_sub_f32_e32 v18, v6, v0
	v_sub_f32_e32 v19, v7, v1
	s_waitcnt vmcnt(0)
	v_cvt_f32_f16_e32 v20, v4
	v_cvt_f32_f16_e32 v6, v5
	v_cvt_f32_f16_sdwa v7, v5 dst_sel:DWORD dst_unused:UNUSED_PAD src0_sel:WORD_1
	v_cvt_f32_f16_sdwa v21, v4 dst_sel:DWORD dst_unused:UNUSED_PAD src0_sel:WORD_1
	v_sub_f32_e32 v4, v23, v2
	v_sub_f32_e32 v5, v22, v3
	v_pk_fma_f32 v[6:7], v[12:13], v[4:5], v[6:7]
	v_pk_fma_f32 v[4:5], v[10:11], v[18:19], v[20:21]
.LBB18_26:                              ;   in Loop: Header=BB18_20 Depth=1
	s_mov_b64 s[26:27], 0
.LBB18_27:                              ;   in Loop: Header=BB18_20 Depth=1
	s_andn2_b64 vcc, exec, s[26:27]
	s_cbranch_vccnz .LBB18_29
; %bb.28:                               ;   in Loop: Header=BB18_20 Depth=1
	v_lshl_add_u64 v[4:5], s[4:5], 0, v[8:9]
	global_load_dwordx2 v[4:5], v[4:5], off
	s_waitcnt vmcnt(1)
	v_cvt_f32_f16_sdwa v7, v14 dst_sel:DWORD dst_unused:UNUSED_PAD src0_sel:WORD_1
	v_cvt_f32_f16_sdwa v19, v15 dst_sel:DWORD dst_unused:UNUSED_PAD src0_sel:WORD_1
	v_cvt_f32_f16_e32 v6, v14
	v_cvt_f32_f16_e32 v18, v15
	s_waitcnt vmcnt(0)
	v_cvt_f32_f16_e32 v20, v4
	v_cvt_f32_f16_e32 v22, v5
	v_cvt_f32_f16_sdwa v23, v5 dst_sel:DWORD dst_unused:UNUSED_PAD src0_sel:WORD_1
	v_cvt_f32_f16_sdwa v21, v4 dst_sel:DWORD dst_unused:UNUSED_PAD src0_sel:WORD_1
	v_pk_mul_f32 v[4:5], v[12:13], v[18:19]
	v_pk_mul_f32 v[18:19], v[10:11], v[6:7]
	;; [unrolled: 1-line block ×4, first 2 shown]
.LBB18_29:                              ;   in Loop: Header=BB18_20 Depth=1
	s_mov_b64 s[26:27], 0
.LBB18_30:                              ;   in Loop: Header=BB18_20 Depth=1
	s_andn2_b64 vcc, exec, s[26:27]
	s_cbranch_vccnz .LBB18_19
; %bb.31:                               ;   in Loop: Header=BB18_20 Depth=1
	v_lshl_add_u64 v[4:5], s[4:5], 0, v[8:9]
	global_load_dwordx2 v[4:5], v[4:5], off
	s_waitcnt vmcnt(1)
	v_cvt_f32_f16_sdwa v7, v14 dst_sel:DWORD dst_unused:UNUSED_PAD src0_sel:WORD_1
	v_cvt_f32_f16_sdwa v19, v15 dst_sel:DWORD dst_unused:UNUSED_PAD src0_sel:WORD_1
	v_cvt_f32_f16_e32 v6, v14
	v_cvt_f32_f16_e32 v18, v15
	s_waitcnt vmcnt(0)
	v_cvt_f32_f16_e32 v14, v4
	v_cvt_f32_f16_e32 v20, v5
	v_cvt_f32_f16_sdwa v21, v5 dst_sel:DWORD dst_unused:UNUSED_PAD src0_sel:WORD_1
	v_cvt_f32_f16_sdwa v15, v4 dst_sel:DWORD dst_unused:UNUSED_PAD src0_sel:WORD_1
	v_pk_mul_f32 v[4:5], v[12:13], v[18:19]
	v_pk_mul_f32 v[18:19], v[10:11], v[6:7]
	;; [unrolled: 1-line block ×4, first 2 shown]
	s_branch .LBB18_19
.LBB18_32:
	s_or_b64 exec, exec, s[8:9]
	v_cmp_eq_u32_e32 vcc, 0, v16
	s_and_saveexec_b64 s[0:1], vcc
	s_cbranch_execz .LBB18_34
; %bb.33:
	s_lshl_b64 s[0:1], s[2:3], 2
	s_waitcnt lgkmcnt(0)
	s_add_u32 s0, s12, s0
	s_addc_u32 s1, s13, s1
	v_mov_b32_e32 v0, 0
	global_store_dword v0, v10, s[0:1]
.LBB18_34:
	s_endpgm
	.section	.rodata,"a",@progbits
	.p2align	6, 0x0
	.amdhsa_kernel _ZN2at6native12_GLOBAL__N_128vectorized_layer_norm_kernelIN3c104HalfEfLb1EEEviT0_PKT_S8_S8_PS5_S9_PS6_
		.amdhsa_group_segment_fixed_size 0
		.amdhsa_private_segment_fixed_size 0
		.amdhsa_kernarg_size 312
		.amdhsa_user_sgpr_count 2
		.amdhsa_user_sgpr_dispatch_ptr 0
		.amdhsa_user_sgpr_queue_ptr 0
		.amdhsa_user_sgpr_kernarg_segment_ptr 1
		.amdhsa_user_sgpr_dispatch_id 0
		.amdhsa_user_sgpr_kernarg_preload_length 0
		.amdhsa_user_sgpr_kernarg_preload_offset 0
		.amdhsa_user_sgpr_private_segment_size 0
		.amdhsa_uses_dynamic_stack 0
		.amdhsa_enable_private_segment 0
		.amdhsa_system_sgpr_workgroup_id_x 1
		.amdhsa_system_sgpr_workgroup_id_y 0
		.amdhsa_system_sgpr_workgroup_id_z 0
		.amdhsa_system_sgpr_workgroup_info 0
		.amdhsa_system_vgpr_workitem_id 1
		.amdhsa_next_free_vgpr 24
		.amdhsa_next_free_sgpr 29
		.amdhsa_accum_offset 24
		.amdhsa_reserve_vcc 1
		.amdhsa_float_round_mode_32 0
		.amdhsa_float_round_mode_16_64 0
		.amdhsa_float_denorm_mode_32 3
		.amdhsa_float_denorm_mode_16_64 3
		.amdhsa_dx10_clamp 1
		.amdhsa_ieee_mode 1
		.amdhsa_fp16_overflow 0
		.amdhsa_tg_split 0
		.amdhsa_exception_fp_ieee_invalid_op 0
		.amdhsa_exception_fp_denorm_src 0
		.amdhsa_exception_fp_ieee_div_zero 0
		.amdhsa_exception_fp_ieee_overflow 0
		.amdhsa_exception_fp_ieee_underflow 0
		.amdhsa_exception_fp_ieee_inexact 0
		.amdhsa_exception_int_div_zero 0
	.end_amdhsa_kernel
	.section	.text._ZN2at6native12_GLOBAL__N_128vectorized_layer_norm_kernelIN3c104HalfEfLb1EEEviT0_PKT_S8_S8_PS5_S9_PS6_,"axG",@progbits,_ZN2at6native12_GLOBAL__N_128vectorized_layer_norm_kernelIN3c104HalfEfLb1EEEviT0_PKT_S8_S8_PS5_S9_PS6_,comdat
.Lfunc_end18:
	.size	_ZN2at6native12_GLOBAL__N_128vectorized_layer_norm_kernelIN3c104HalfEfLb1EEEviT0_PKT_S8_S8_PS5_S9_PS6_, .Lfunc_end18-_ZN2at6native12_GLOBAL__N_128vectorized_layer_norm_kernelIN3c104HalfEfLb1EEEviT0_PKT_S8_S8_PS5_S9_PS6_
                                        ; -- End function
	.set _ZN2at6native12_GLOBAL__N_128vectorized_layer_norm_kernelIN3c104HalfEfLb1EEEviT0_PKT_S8_S8_PS5_S9_PS6_.num_vgpr, 24
	.set _ZN2at6native12_GLOBAL__N_128vectorized_layer_norm_kernelIN3c104HalfEfLb1EEEviT0_PKT_S8_S8_PS5_S9_PS6_.num_agpr, 0
	.set _ZN2at6native12_GLOBAL__N_128vectorized_layer_norm_kernelIN3c104HalfEfLb1EEEviT0_PKT_S8_S8_PS5_S9_PS6_.numbered_sgpr, 29
	.set _ZN2at6native12_GLOBAL__N_128vectorized_layer_norm_kernelIN3c104HalfEfLb1EEEviT0_PKT_S8_S8_PS5_S9_PS6_.num_named_barrier, 0
	.set _ZN2at6native12_GLOBAL__N_128vectorized_layer_norm_kernelIN3c104HalfEfLb1EEEviT0_PKT_S8_S8_PS5_S9_PS6_.private_seg_size, 0
	.set _ZN2at6native12_GLOBAL__N_128vectorized_layer_norm_kernelIN3c104HalfEfLb1EEEviT0_PKT_S8_S8_PS5_S9_PS6_.uses_vcc, 1
	.set _ZN2at6native12_GLOBAL__N_128vectorized_layer_norm_kernelIN3c104HalfEfLb1EEEviT0_PKT_S8_S8_PS5_S9_PS6_.uses_flat_scratch, 0
	.set _ZN2at6native12_GLOBAL__N_128vectorized_layer_norm_kernelIN3c104HalfEfLb1EEEviT0_PKT_S8_S8_PS5_S9_PS6_.has_dyn_sized_stack, 0
	.set _ZN2at6native12_GLOBAL__N_128vectorized_layer_norm_kernelIN3c104HalfEfLb1EEEviT0_PKT_S8_S8_PS5_S9_PS6_.has_recursion, 0
	.set _ZN2at6native12_GLOBAL__N_128vectorized_layer_norm_kernelIN3c104HalfEfLb1EEEviT0_PKT_S8_S8_PS5_S9_PS6_.has_indirect_call, 0
	.section	.AMDGPU.csdata,"",@progbits
; Kernel info:
; codeLenInByte = 1664
; TotalNumSgprs: 35
; NumVgprs: 24
; NumAgprs: 0
; TotalNumVgprs: 24
; ScratchSize: 0
; MemoryBound: 0
; FloatMode: 240
; IeeeMode: 1
; LDSByteSize: 0 bytes/workgroup (compile time only)
; SGPRBlocks: 4
; VGPRBlocks: 2
; NumSGPRsForWavesPerEU: 35
; NumVGPRsForWavesPerEU: 24
; AccumOffset: 24
; Occupancy: 8
; WaveLimiterHint : 0
; COMPUTE_PGM_RSRC2:SCRATCH_EN: 0
; COMPUTE_PGM_RSRC2:USER_SGPR: 2
; COMPUTE_PGM_RSRC2:TRAP_HANDLER: 0
; COMPUTE_PGM_RSRC2:TGID_X_EN: 1
; COMPUTE_PGM_RSRC2:TGID_Y_EN: 0
; COMPUTE_PGM_RSRC2:TGID_Z_EN: 0
; COMPUTE_PGM_RSRC2:TIDIG_COMP_CNT: 1
; COMPUTE_PGM_RSRC3_GFX90A:ACCUM_OFFSET: 5
; COMPUTE_PGM_RSRC3_GFX90A:TG_SPLIT: 0
	.section	.text._ZN2at6native12_GLOBAL__N_124RowwiseMomentsCUDAKernelIN3c104HalfEfLb1EEEvlT0_PKT_PS5_S9_,"axG",@progbits,_ZN2at6native12_GLOBAL__N_124RowwiseMomentsCUDAKernelIN3c104HalfEfLb1EEEvlT0_PKT_PS5_S9_,comdat
	.globl	_ZN2at6native12_GLOBAL__N_124RowwiseMomentsCUDAKernelIN3c104HalfEfLb1EEEvlT0_PKT_PS5_S9_ ; -- Begin function _ZN2at6native12_GLOBAL__N_124RowwiseMomentsCUDAKernelIN3c104HalfEfLb1EEEvlT0_PKT_PS5_S9_
	.p2align	8
	.type	_ZN2at6native12_GLOBAL__N_124RowwiseMomentsCUDAKernelIN3c104HalfEfLb1EEEvlT0_PKT_PS5_S9_,@function
_ZN2at6native12_GLOBAL__N_124RowwiseMomentsCUDAKernelIN3c104HalfEfLb1EEEvlT0_PKT_PS5_S9_: ; @_ZN2at6native12_GLOBAL__N_124RowwiseMomentsCUDAKernelIN3c104HalfEfLb1EEEvlT0_PKT_PS5_S9_
; %bb.0:
	s_load_dwordx2 s[4:5], s[0:1], 0x0
	v_mov_b32_e32 v1, 0
	s_mov_b32 s3, 0
	v_mov_b32_e32 v2, v1
	v_mov_b32_e32 v3, v1
	s_waitcnt lgkmcnt(0)
	v_cmp_gt_i64_e32 vcc, s[4:5], v[0:1]
	v_mov_b64_e32 v[6:7], 0
	s_and_saveexec_b64 s[6:7], vcc
	s_cbranch_execz .LBB19_4
; %bb.1:
	s_load_dword s8, s[0:1], 0x34
	s_load_dwordx2 s[10:11], s[0:1], 0x10
	s_mul_i32 s12, s5, s2
	s_mul_hi_u32 s13, s4, s2
	s_add_i32 s13, s13, s12
	s_mul_i32 s12, s4, s2
	s_waitcnt lgkmcnt(0)
	s_and_b32 s8, s8, 0xffff
	s_lshl_b64 s[12:13], s[12:13], 1
	s_add_u32 s10, s10, s12
	v_lshlrev_b32_e32 v2, 1, v0
	v_mov_b32_e32 v3, v1
	s_addc_u32 s11, s11, s13
	s_mov_b32 s9, s3
	v_lshl_add_u64 v[4:5], s[10:11], 0, v[2:3]
	s_lshl_b32 s10, s8, 1
	s_mov_b32 s11, s3
	s_mov_b64 s[12:13], 0
	v_mov_b64_e32 v[8:9], v[0:1]
	s_mov_b64 s[14:15], 0
.LBB19_2:                               ; =>This Inner Loop Header: Depth=1
	global_load_ushort v2, v[4:5], off
	s_add_u32 s14, s14, 1
	s_addc_u32 s15, s15, 0
	s_flbit_i32_b32 s16, s15
	s_min_u32 s18, s16, 32
	s_lshl_b64 s[16:17], s[14:15], s18
	s_min_u32 s16, s16, 1
	s_or_b32 s16, s17, s16
	v_cvt_f32_u32_e32 v10, s16
	s_sub_i32 s18, 32, s18
	v_lshl_add_u64 v[8:9], v[8:9], 0, s[8:9]
	v_cmp_le_i64_e32 vcc, s[4:5], v[8:9]
	v_ldexp_f32 v10, v10, s18
	s_or_b64 s[12:13], vcc, s[12:13]
	v_lshl_add_u64 v[4:5], v[4:5], 0, s[10:11]
	v_mov_b64_e32 v[6:7], s[14:15]
	s_waitcnt vmcnt(0)
	v_cvt_f32_f16_e32 v2, v2
	v_sub_f32_e32 v11, v2, v3
	v_div_scale_f32 v12, s[16:17], v10, v10, v11
	v_rcp_f32_e32 v13, v12
	v_div_scale_f32 v14, vcc, v11, v10, v11
	v_fma_f32 v15, -v12, v13, 1.0
	v_fmac_f32_e32 v13, v15, v13
	v_mul_f32_e32 v15, v14, v13
	v_fma_f32 v16, -v12, v15, v14
	v_fmac_f32_e32 v15, v16, v13
	v_fma_f32 v12, -v12, v15, v14
	v_div_fmas_f32 v12, v12, v13, v15
	v_div_fixup_f32 v12, v12, v10, v11
	v_add_f32_e32 v3, v3, v12
	v_sub_f32_e32 v2, v2, v3
	v_fmac_f32_e32 v1, v11, v2
	s_andn2_b64 exec, exec, s[12:13]
	s_cbranch_execnz .LBB19_2
; %bb.3:
	s_or_b64 exec, exec, s[12:13]
	v_mov_b32_e32 v2, v1
	v_mov_b32_e32 v1, v10
.LBB19_4:
	s_or_b64 exec, exec, s[6:7]
	v_mbcnt_lo_u32_b32 v4, -1, 0
	v_mbcnt_hi_u32_b32 v14, -1, v4
	v_mov_b32_e32 v4, 0x80
	v_lshl_or_b32 v10, v14, 2, v4
	ds_bpermute_b32 v5, v10, v3
	ds_bpermute_b32 v4, v10, v2
	;; [unrolled: 1-line block ×5, first 2 shown]
	v_cmp_neq_f32_e32 vcc, 0, v1
	s_and_saveexec_b64 s[4:5], vcc
	s_cbranch_execz .LBB19_8
; %bb.5:
	s_waitcnt lgkmcnt(0)
	v_cmp_neq_f32_e32 vcc, 0, v11
	s_and_saveexec_b64 s[6:7], vcc
	s_cbranch_execz .LBB19_7
; %bb.6:
	v_add_f32_e32 v9, v1, v11
	v_div_scale_f32 v8, s[8:9], v9, v9, v11
	v_rcp_f32_e32 v12, v8
	v_pk_add_f32 v[6:7], v[4:5], v[2:3] neg_lo:[0,1] neg_hi:[0,1]
	v_pk_add_f32 v[4:5], v[2:3], v[4:5]
	v_mul_f32_e32 v2, v7, v7
	v_fma_f32 v6, -v8, v12, 1.0
	v_fmac_f32_e32 v12, v6, v12
	v_div_scale_f32 v6, vcc, v11, v9, v11
	v_mul_f32_e32 v13, v6, v12
	v_fma_f32 v15, -v8, v13, v6
	v_fmac_f32_e32 v13, v15, v12
	v_fma_f32 v6, -v8, v13, v6
	v_div_fmas_f32 v6, v6, v12, v13
	v_div_fixup_f32 v8, v6, v9, v11
	v_mul_f32_e32 v6, v1, v2
	v_mov_b32_e32 v5, v3
	v_pk_fma_f32 v[2:3], v[6:7], v[8:9], v[4:5] op_sel_hi:[1,0,1]
	v_mov_b64_e32 v[6:7], -1
	v_mov_b32_e32 v1, v9
.LBB19_7:
	s_or_b64 exec, exec, s[6:7]
	v_mov_b32_e32 v11, v1
	v_mov_b64_e32 v[8:9], v[6:7]
	v_mov_b64_e32 v[4:5], v[2:3]
.LBB19_8:
	s_or_b64 exec, exec, s[4:5]
	v_and_b32_e32 v15, 63, v14
	v_cmp_gt_u32_e32 vcc, 48, v15
	s_nop 1
	v_cndmask_b32_e64 v1, 0, 16, vcc
	v_add_lshl_u32 v1, v1, v14, 2
	s_waitcnt lgkmcnt(4)
	ds_bpermute_b32 v3, v1, v5
	s_waitcnt lgkmcnt(4)
	ds_bpermute_b32 v2, v1, v4
	;; [unrolled: 2-line block ×5, first 2 shown]
	v_cmp_neq_f32_e32 vcc, 0, v11
	s_and_saveexec_b64 s[4:5], vcc
	s_cbranch_execz .LBB19_12
; %bb.9:
	s_waitcnt lgkmcnt(0)
	v_cmp_neq_f32_e32 vcc, 0, v12
	s_and_saveexec_b64 s[6:7], vcc
	s_cbranch_execz .LBB19_11
; %bb.10:
	v_add_f32_e32 v13, v11, v12
	v_div_scale_f32 v8, s[8:9], v13, v13, v12
	v_rcp_f32_e32 v9, v8
	v_pk_add_f32 v[6:7], v[2:3], v[4:5] neg_lo:[0,1] neg_hi:[0,1]
	v_pk_add_f32 v[2:3], v[4:5], v[2:3]
	v_fma_f32 v6, -v8, v9, 1.0
	v_fmac_f32_e32 v9, v6, v9
	v_div_scale_f32 v6, vcc, v12, v13, v12
	v_mul_f32_e32 v16, v6, v9
	v_fma_f32 v17, -v8, v16, v6
	v_fmac_f32_e32 v16, v17, v9
	v_fma_f32 v6, -v8, v16, v6
	v_div_fmas_f32 v6, v6, v9, v16
	v_mul_f32_e32 v3, v7, v7
	v_div_fixup_f32 v8, v6, v13, v12
	v_mul_f32_e32 v6, v11, v3
	v_mov_b32_e32 v3, v5
	v_pk_fma_f32 v[4:5], v[6:7], v[8:9], v[2:3] op_sel_hi:[1,0,1]
	v_mov_b64_e32 v[8:9], -1
	v_mov_b32_e32 v11, v13
.LBB19_11:
	s_or_b64 exec, exec, s[6:7]
	v_mov_b32_e32 v12, v11
	v_mov_b64_e32 v[6:7], v[8:9]
	v_mov_b64_e32 v[2:3], v[4:5]
.LBB19_12:
	s_or_b64 exec, exec, s[4:5]
	v_cmp_gt_u32_e32 vcc, 56, v15
	s_nop 1
	v_cndmask_b32_e64 v4, 0, 8, vcc
	v_add_lshl_u32 v11, v4, v14, 2
	s_waitcnt lgkmcnt(4)
	ds_bpermute_b32 v5, v11, v3
	s_waitcnt lgkmcnt(4)
	ds_bpermute_b32 v4, v11, v2
	;; [unrolled: 2-line block ×5, first 2 shown]
	v_cmp_neq_f32_e32 vcc, 0, v12
	s_and_saveexec_b64 s[4:5], vcc
	s_cbranch_execz .LBB19_16
; %bb.13:
	s_waitcnt lgkmcnt(0)
	v_cmp_neq_f32_e32 vcc, 0, v13
	s_and_saveexec_b64 s[6:7], vcc
	s_cbranch_execz .LBB19_15
; %bb.14:
	v_add_f32_e32 v9, v12, v13
	v_div_scale_f32 v8, s[8:9], v9, v9, v13
	v_rcp_f32_e32 v16, v8
	v_pk_add_f32 v[6:7], v[4:5], v[2:3] neg_lo:[0,1] neg_hi:[0,1]
	v_pk_add_f32 v[4:5], v[2:3], v[4:5]
	v_mul_f32_e32 v2, v7, v7
	v_fma_f32 v6, -v8, v16, 1.0
	v_fmac_f32_e32 v16, v6, v16
	v_div_scale_f32 v6, vcc, v13, v9, v13
	v_mul_f32_e32 v17, v6, v16
	v_fma_f32 v18, -v8, v17, v6
	v_fmac_f32_e32 v17, v18, v16
	v_fma_f32 v6, -v8, v17, v6
	v_div_fmas_f32 v6, v6, v16, v17
	v_div_fixup_f32 v8, v6, v9, v13
	v_mul_f32_e32 v6, v12, v2
	v_mov_b32_e32 v5, v3
	v_pk_fma_f32 v[2:3], v[6:7], v[8:9], v[4:5] op_sel_hi:[1,0,1]
	v_mov_b64_e32 v[6:7], -1
	v_mov_b32_e32 v12, v9
.LBB19_15:
	s_or_b64 exec, exec, s[6:7]
	v_mov_b32_e32 v13, v12
	v_mov_b64_e32 v[8:9], v[6:7]
	v_mov_b64_e32 v[4:5], v[2:3]
.LBB19_16:
	s_or_b64 exec, exec, s[4:5]
	v_cmp_gt_u32_e32 vcc, 60, v15
	s_nop 1
	v_cndmask_b32_e64 v2, 0, 4, vcc
	v_add_lshl_u32 v12, v2, v14, 2
	s_waitcnt lgkmcnt(4)
	ds_bpermute_b32 v3, v12, v5
	s_waitcnt lgkmcnt(4)
	ds_bpermute_b32 v2, v12, v4
	;; [unrolled: 2-line block ×5, first 2 shown]
	v_cmp_neq_f32_e32 vcc, 0, v13
	s_and_saveexec_b64 s[4:5], vcc
	s_cbranch_execz .LBB19_20
; %bb.17:
	s_waitcnt lgkmcnt(0)
	v_cmp_neq_f32_e32 vcc, 0, v16
	s_and_saveexec_b64 s[6:7], vcc
	s_cbranch_execz .LBB19_19
; %bb.18:
	v_add_f32_e32 v17, v13, v16
	v_div_scale_f32 v8, s[8:9], v17, v17, v16
	v_rcp_f32_e32 v9, v8
	v_pk_add_f32 v[6:7], v[2:3], v[4:5] neg_lo:[0,1] neg_hi:[0,1]
	v_pk_add_f32 v[2:3], v[4:5], v[2:3]
	v_fma_f32 v6, -v8, v9, 1.0
	v_fmac_f32_e32 v9, v6, v9
	v_div_scale_f32 v6, vcc, v16, v17, v16
	v_mul_f32_e32 v18, v6, v9
	v_fma_f32 v19, -v8, v18, v6
	v_fmac_f32_e32 v18, v19, v9
	v_fma_f32 v6, -v8, v18, v6
	v_div_fmas_f32 v6, v6, v9, v18
	v_mul_f32_e32 v3, v7, v7
	v_div_fixup_f32 v8, v6, v17, v16
	v_mul_f32_e32 v6, v13, v3
	v_mov_b32_e32 v3, v5
	v_pk_fma_f32 v[4:5], v[6:7], v[8:9], v[2:3] op_sel_hi:[1,0,1]
	v_mov_b64_e32 v[8:9], -1
	v_mov_b32_e32 v13, v17
.LBB19_19:
	s_or_b64 exec, exec, s[6:7]
	v_mov_b32_e32 v16, v13
	v_mov_b64_e32 v[6:7], v[8:9]
	v_mov_b64_e32 v[2:3], v[4:5]
.LBB19_20:
	s_or_b64 exec, exec, s[4:5]
	v_cmp_gt_u32_e32 vcc, 62, v15
	s_nop 1
	v_cndmask_b32_e64 v4, 0, 2, vcc
	v_add_lshl_u32 v13, v4, v14, 2
	s_waitcnt lgkmcnt(4)
	ds_bpermute_b32 v5, v13, v3
	s_waitcnt lgkmcnt(4)
	ds_bpermute_b32 v4, v13, v2
	;; [unrolled: 2-line block ×5, first 2 shown]
	v_cmp_neq_f32_e32 vcc, 0, v16
	s_and_saveexec_b64 s[4:5], vcc
	s_cbranch_execz .LBB19_24
; %bb.21:
	s_waitcnt lgkmcnt(0)
	v_cmp_neq_f32_e32 vcc, 0, v17
	s_and_saveexec_b64 s[6:7], vcc
	s_cbranch_execz .LBB19_23
; %bb.22:
	v_add_f32_e32 v9, v16, v17
	v_div_scale_f32 v8, s[8:9], v9, v9, v17
	v_rcp_f32_e32 v18, v8
	v_pk_add_f32 v[6:7], v[4:5], v[2:3] neg_lo:[0,1] neg_hi:[0,1]
	v_pk_add_f32 v[4:5], v[2:3], v[4:5]
	v_mul_f32_e32 v2, v7, v7
	v_fma_f32 v6, -v8, v18, 1.0
	v_fmac_f32_e32 v18, v6, v18
	v_div_scale_f32 v6, vcc, v17, v9, v17
	v_mul_f32_e32 v19, v6, v18
	v_fma_f32 v20, -v8, v19, v6
	v_fmac_f32_e32 v19, v20, v18
	v_fma_f32 v6, -v8, v19, v6
	v_div_fmas_f32 v6, v6, v18, v19
	v_div_fixup_f32 v8, v6, v9, v17
	v_mul_f32_e32 v6, v16, v2
	v_mov_b32_e32 v5, v3
	v_pk_fma_f32 v[2:3], v[6:7], v[8:9], v[4:5] op_sel_hi:[1,0,1]
	v_mov_b64_e32 v[6:7], -1
	v_mov_b32_e32 v16, v9
.LBB19_23:
	s_or_b64 exec, exec, s[6:7]
	v_mov_b32_e32 v17, v16
	v_mov_b64_e32 v[8:9], v[6:7]
	v_mov_b64_e32 v[4:5], v[2:3]
.LBB19_24:
	s_or_b64 exec, exec, s[4:5]
	v_cmp_ne_u32_e32 vcc, 63, v15
	s_nop 1
	v_addc_co_u32_e32 v2, vcc, 0, v14, vcc
	v_lshlrev_b32_e32 v14, 2, v2
	s_waitcnt lgkmcnt(4)
	ds_bpermute_b32 v3, v14, v5
	s_waitcnt lgkmcnt(4)
	ds_bpermute_b32 v2, v14, v4
	;; [unrolled: 2-line block ×5, first 2 shown]
	v_cmp_neq_f32_e32 vcc, 0, v17
	s_and_saveexec_b64 s[4:5], vcc
	s_cbranch_execz .LBB19_28
; %bb.25:
	s_waitcnt lgkmcnt(0)
	v_cmp_neq_f32_e32 vcc, 0, v15
	s_and_saveexec_b64 s[6:7], vcc
	s_cbranch_execz .LBB19_27
; %bb.26:
	v_add_f32_e32 v16, v17, v15
	v_div_scale_f32 v8, s[8:9], v16, v16, v15
	v_rcp_f32_e32 v9, v8
	v_pk_add_f32 v[6:7], v[2:3], v[4:5] neg_lo:[0,1] neg_hi:[0,1]
	v_pk_add_f32 v[2:3], v[4:5], v[2:3]
	v_fma_f32 v6, -v8, v9, 1.0
	v_fmac_f32_e32 v9, v6, v9
	v_div_scale_f32 v6, vcc, v15, v16, v15
	v_mul_f32_e32 v18, v6, v9
	v_fma_f32 v19, -v8, v18, v6
	v_fmac_f32_e32 v18, v19, v9
	v_fma_f32 v6, -v8, v18, v6
	v_div_fmas_f32 v6, v6, v9, v18
	v_mul_f32_e32 v3, v7, v7
	v_div_fixup_f32 v8, v6, v16, v15
	v_mul_f32_e32 v6, v17, v3
	v_mov_b32_e32 v3, v5
	v_pk_fma_f32 v[4:5], v[6:7], v[8:9], v[2:3] op_sel_hi:[1,0,1]
	v_mov_b64_e32 v[8:9], -1
	v_mov_b32_e32 v17, v16
.LBB19_27:
	s_or_b64 exec, exec, s[6:7]
	v_mov_b32_e32 v15, v17
	v_mov_b64_e32 v[6:7], v[8:9]
	v_mov_b64_e32 v[2:3], v[4:5]
.LBB19_28:
	s_or_b64 exec, exec, s[4:5]
	v_and_b32_e32 v4, 63, v0
	v_cmp_eq_u32_e32 vcc, 0, v4
	s_waitcnt lgkmcnt(0)
	s_barrier
	s_and_saveexec_b64 s[4:5], vcc
	s_cbranch_execz .LBB19_30
; %bb.29:
	v_lshrrev_b32_e32 v5, 6, v0
	v_mul_u32_u24_e32 v5, 24, v5
	v_pk_mov_b32 v[2:3], v[2:3], v[2:3] op_sel:[1,0]
	ds_write2_b64 v5, v[2:3], v[6:7] offset1:1
	ds_write_b32 v5, v15 offset:16
.LBB19_30:
	s_or_b64 exec, exec, s[4:5]
	s_waitcnt lgkmcnt(0)
	s_barrier
	s_load_dword s4, s[0:1], 0x34
	v_mul_u32_u24_e32 v4, 24, v4
	v_mov_b32_e32 v2, 0
	v_mov_b32_e32 v3, 0
	s_waitcnt lgkmcnt(0)
	s_bfe_u32 s4, s4, 0xa0006
	v_cmp_gt_u32_e32 vcc, s4, v0
	s_and_saveexec_b64 s[4:5], vcc
	s_cbranch_execnz .LBB19_36
; %bb.31:
	s_or_b64 exec, exec, s[4:5]
	s_and_saveexec_b64 s[4:5], vcc
	s_cbranch_execnz .LBB19_37
.LBB19_32:
	s_or_b64 exec, exec, s[4:5]
	v_mov_b32_e32 v6, 0
	s_and_saveexec_b64 s[4:5], vcc
	s_cbranch_execnz .LBB19_38
.LBB19_33:
	s_or_b64 exec, exec, s[4:5]
	v_cmp_gt_u32_e32 vcc, 64, v0
	s_and_saveexec_b64 s[4:5], vcc
	s_cbranch_execnz .LBB19_39
.LBB19_34:
	s_or_b64 exec, exec, s[4:5]
	v_cmp_eq_u32_e32 vcc, 0, v0
	s_and_saveexec_b64 s[4:5], vcc
	s_cbranch_execnz .LBB19_64
.LBB19_35:
	s_endpgm
.LBB19_36:
	ds_read_b32 v3, v4
	s_or_b64 exec, exec, s[4:5]
	s_and_saveexec_b64 s[4:5], vcc
	s_cbranch_execz .LBB19_32
.LBB19_37:
	ds_read_b32 v2, v4 offset:4
	s_or_b64 exec, exec, s[4:5]
	v_mov_b32_e32 v6, 0
	s_and_saveexec_b64 s[4:5], vcc
	s_cbranch_execz .LBB19_33
.LBB19_38:
	ds_read_b32 v6, v4 offset:16
	s_or_b64 exec, exec, s[4:5]
	v_cmp_gt_u32_e32 vcc, 64, v0
	s_and_saveexec_b64 s[4:5], vcc
	s_cbranch_execz .LBB19_34
.LBB19_39:
	s_waitcnt lgkmcnt(0)
	ds_bpermute_b32 v5, v10, v3
	ds_bpermute_b32 v4, v10, v2
	;; [unrolled: 1-line block ×3, first 2 shown]
	v_cmp_neq_f32_e32 vcc, 0, v6
	s_and_saveexec_b64 s[6:7], vcc
	s_cbranch_execz .LBB19_43
; %bb.40:
	s_waitcnt lgkmcnt(0)
	v_cmp_neq_f32_e32 vcc, 0, v7
	s_and_saveexec_b64 s[8:9], vcc
	s_cbranch_execz .LBB19_42
; %bb.41:
	v_add_f32_e32 v10, v6, v7
	v_div_scale_f32 v9, s[10:11], v10, v10, v7
	v_rcp_f32_e32 v15, v9
	v_add_f32_e32 v8, v2, v4
	v_pk_add_f32 v[4:5], v[4:5], v[2:3] neg_lo:[0,1] neg_hi:[0,1]
	v_fma_f32 v2, -v9, v15, 1.0
	v_fmac_f32_e32 v15, v2, v15
	v_div_scale_f32 v2, vcc, v7, v10, v7
	v_mul_f32_e32 v4, v2, v15
	v_fma_f32 v16, -v9, v4, v2
	v_fmac_f32_e32 v4, v16, v15
	v_fma_f32 v2, -v9, v4, v2
	v_div_fmas_f32 v2, v2, v15, v4
	v_div_fixup_f32 v4, v2, v10, v7
	v_mul_f32_e32 v2, v5, v5
	v_mul_f32_e32 v6, v6, v2
	v_mov_b32_e32 v7, v4
	v_mov_b32_e32 v9, v3
	v_pk_fma_f32 v[2:3], v[4:5], v[6:7], v[8:9]
	v_mov_b32_e32 v6, v10
.LBB19_42:
	s_or_b64 exec, exec, s[8:9]
	v_mov_b32_e32 v7, v6
	v_mov_b64_e32 v[4:5], v[2:3]
.LBB19_43:
	s_or_b64 exec, exec, s[6:7]
	s_waitcnt lgkmcnt(2)
	ds_bpermute_b32 v3, v1, v5
	s_waitcnt lgkmcnt(2)
	ds_bpermute_b32 v2, v1, v4
	;; [unrolled: 2-line block ×3, first 2 shown]
	v_cmp_neq_f32_e32 vcc, 0, v7
	s_and_saveexec_b64 s[6:7], vcc
	s_cbranch_execz .LBB19_47
; %bb.44:
	s_waitcnt lgkmcnt(0)
	v_cmp_neq_f32_e32 vcc, 0, v1
	s_and_saveexec_b64 s[8:9], vcc
	s_cbranch_execz .LBB19_46
; %bb.45:
	v_add_f32_e32 v10, v7, v1
	v_div_scale_f32 v6, s[10:11], v10, v10, v1
	v_rcp_f32_e32 v15, v6
	v_pk_add_f32 v[8:9], v[2:3], v[4:5] neg_lo:[0,1] neg_hi:[0,1]
	v_pk_add_f32 v[2:3], v[4:5], v[2:3]
	v_fma_f32 v8, -v6, v15, 1.0
	v_fmac_f32_e32 v15, v8, v15
	v_div_scale_f32 v8, vcc, v1, v10, v1
	v_mul_f32_e32 v16, v8, v15
	v_fma_f32 v17, -v6, v16, v8
	v_fmac_f32_e32 v16, v17, v15
	v_fma_f32 v6, -v6, v16, v8
	v_div_fmas_f32 v6, v6, v15, v16
	v_div_fixup_f32 v6, v6, v10, v1
	v_mul_f32_e32 v1, v9, v9
	v_mul_f32_e32 v8, v7, v1
	v_mov_b32_e32 v3, v5
	v_pk_fma_f32 v[4:5], v[8:9], v[6:7], v[2:3] op_sel_hi:[1,0,1]
	v_mov_b32_e32 v7, v10
.LBB19_46:
	s_or_b64 exec, exec, s[8:9]
	v_mov_b32_e32 v1, v7
	v_mov_b64_e32 v[2:3], v[4:5]
.LBB19_47:
	s_or_b64 exec, exec, s[6:7]
	s_waitcnt lgkmcnt(2)
	ds_bpermute_b32 v5, v11, v3
	s_waitcnt lgkmcnt(2)
	ds_bpermute_b32 v4, v11, v2
	;; [unrolled: 2-line block ×3, first 2 shown]
	v_cmp_neq_f32_e32 vcc, 0, v1
	s_and_saveexec_b64 s[6:7], vcc
	s_cbranch_execz .LBB19_51
; %bb.48:
	s_waitcnt lgkmcnt(0)
	v_cmp_neq_f32_e32 vcc, 0, v6
	s_and_saveexec_b64 s[8:9], vcc
	s_cbranch_execz .LBB19_50
; %bb.49:
	v_add_f32_e32 v7, v1, v6
	v_div_scale_f32 v10, s[10:11], v7, v7, v6
	v_rcp_f32_e32 v11, v10
	v_pk_add_f32 v[8:9], v[4:5], v[2:3] neg_lo:[0,1] neg_hi:[0,1]
	v_pk_add_f32 v[4:5], v[2:3], v[4:5]
	v_mul_f32_e32 v2, v9, v9
	v_fma_f32 v8, -v10, v11, 1.0
	v_fmac_f32_e32 v11, v8, v11
	v_div_scale_f32 v8, vcc, v6, v7, v6
	v_mul_f32_e32 v15, v8, v11
	v_fma_f32 v16, -v10, v15, v8
	v_fmac_f32_e32 v15, v16, v11
	v_fma_f32 v8, -v10, v15, v8
	v_div_fmas_f32 v8, v8, v11, v15
	v_div_fixup_f32 v6, v8, v7, v6
	v_mul_f32_e32 v8, v1, v2
	v_mov_b32_e32 v5, v3
	v_pk_fma_f32 v[2:3], v[8:9], v[6:7], v[4:5] op_sel_hi:[1,0,1]
	v_mov_b32_e32 v1, v7
.LBB19_50:
	s_or_b64 exec, exec, s[8:9]
	v_mov_b32_e32 v6, v1
	v_mov_b64_e32 v[4:5], v[2:3]
.LBB19_51:
	s_or_b64 exec, exec, s[6:7]
	s_waitcnt lgkmcnt(2)
	ds_bpermute_b32 v3, v12, v5
	s_waitcnt lgkmcnt(2)
	ds_bpermute_b32 v2, v12, v4
	;; [unrolled: 2-line block ×3, first 2 shown]
	v_cmp_neq_f32_e32 vcc, 0, v6
	s_and_saveexec_b64 s[6:7], vcc
	s_cbranch_execz .LBB19_55
; %bb.52:
	s_waitcnt lgkmcnt(0)
	v_cmp_neq_f32_e32 vcc, 0, v7
	s_and_saveexec_b64 s[8:9], vcc
	s_cbranch_execz .LBB19_54
; %bb.53:
	v_add_f32_e32 v1, v6, v7
	v_div_scale_f32 v10, s[10:11], v1, v1, v7
	v_rcp_f32_e32 v11, v10
	v_pk_add_f32 v[8:9], v[2:3], v[4:5] neg_lo:[0,1] neg_hi:[0,1]
	v_pk_add_f32 v[2:3], v[4:5], v[2:3]
	v_fma_f32 v8, -v10, v11, 1.0
	v_fmac_f32_e32 v11, v8, v11
	v_div_scale_f32 v8, vcc, v7, v1, v7
	v_mul_f32_e32 v12, v8, v11
	v_fma_f32 v15, -v10, v12, v8
	v_fmac_f32_e32 v12, v15, v11
	v_fma_f32 v8, -v10, v12, v8
	v_div_fmas_f32 v8, v8, v11, v12
	v_mul_f32_e32 v3, v9, v9
	v_div_fixup_f32 v10, v8, v1, v7
	v_mul_f32_e32 v8, v6, v3
	v_mov_b32_e32 v3, v5
	v_pk_fma_f32 v[4:5], v[8:9], v[10:11], v[2:3] op_sel_hi:[1,0,1]
	v_mov_b32_e32 v6, v1
.LBB19_54:
	s_or_b64 exec, exec, s[8:9]
	v_mov_b32_e32 v7, v6
	v_mov_b64_e32 v[2:3], v[4:5]
.LBB19_55:
	s_or_b64 exec, exec, s[6:7]
	s_waitcnt lgkmcnt(2)
	ds_bpermute_b32 v5, v13, v3
	s_waitcnt lgkmcnt(2)
	ds_bpermute_b32 v4, v13, v2
	;; [unrolled: 2-line block ×3, first 2 shown]
	v_cmp_neq_f32_e32 vcc, 0, v7
	s_and_saveexec_b64 s[6:7], vcc
	s_cbranch_execz .LBB19_59
; %bb.56:
	s_waitcnt lgkmcnt(0)
	v_cmp_neq_f32_e32 vcc, 0, v1
	s_and_saveexec_b64 s[8:9], vcc
	s_cbranch_execz .LBB19_58
; %bb.57:
	v_add_f32_e32 v10, v7, v1
	v_div_scale_f32 v6, s[10:11], v10, v10, v1
	v_rcp_f32_e32 v11, v6
	v_pk_add_f32 v[8:9], v[4:5], v[2:3] neg_lo:[0,1] neg_hi:[0,1]
	v_pk_add_f32 v[4:5], v[2:3], v[4:5]
	v_fma_f32 v8, -v6, v11, 1.0
	v_fmac_f32_e32 v11, v8, v11
	v_div_scale_f32 v8, vcc, v1, v10, v1
	v_mul_f32_e32 v12, v8, v11
	v_fma_f32 v13, -v6, v12, v8
	v_fmac_f32_e32 v12, v13, v11
	v_fma_f32 v6, -v6, v12, v8
	v_div_fmas_f32 v6, v6, v11, v12
	v_div_fixup_f32 v6, v6, v10, v1
	v_mul_f32_e32 v1, v9, v9
	v_mul_f32_e32 v8, v7, v1
	v_mov_b32_e32 v5, v3
	v_pk_fma_f32 v[2:3], v[8:9], v[6:7], v[4:5] op_sel_hi:[1,0,1]
	v_mov_b32_e32 v7, v10
.LBB19_58:
	s_or_b64 exec, exec, s[8:9]
	v_mov_b32_e32 v1, v7
	v_mov_b64_e32 v[4:5], v[2:3]
.LBB19_59:
	s_or_b64 exec, exec, s[6:7]
	s_waitcnt lgkmcnt(2)
	ds_bpermute_b32 v3, v14, v5
	s_waitcnt lgkmcnt(2)
	ds_bpermute_b32 v2, v14, v4
	;; [unrolled: 2-line block ×3, first 2 shown]
	v_cmp_neq_f32_e32 vcc, 0, v1
	s_and_saveexec_b64 s[6:7], vcc
	s_cbranch_execz .LBB19_63
; %bb.60:
	s_waitcnt lgkmcnt(0)
	v_cmp_neq_f32_e32 vcc, 0, v6
	s_and_saveexec_b64 s[8:9], vcc
	s_cbranch_execz .LBB19_62
; %bb.61:
	v_add_f32_e32 v7, v1, v6
	v_div_scale_f32 v10, s[10:11], v7, v7, v6
	v_rcp_f32_e32 v11, v10
	v_pk_add_f32 v[8:9], v[2:3], v[4:5] neg_lo:[0,1] neg_hi:[0,1]
	v_pk_add_f32 v[2:3], v[4:5], v[2:3]
	v_fma_f32 v8, -v10, v11, 1.0
	v_fmac_f32_e32 v11, v8, v11
	v_div_scale_f32 v8, vcc, v6, v7, v6
	v_mul_f32_e32 v12, v8, v11
	v_fma_f32 v13, -v10, v12, v8
	v_fmac_f32_e32 v12, v13, v11
	v_fma_f32 v8, -v10, v12, v8
	v_div_fmas_f32 v8, v8, v11, v12
	v_mul_f32_e32 v3, v9, v9
	v_div_fixup_f32 v6, v8, v7, v6
	v_mul_f32_e32 v8, v1, v3
	v_mov_b32_e32 v3, v5
	v_pk_fma_f32 v[4:5], v[8:9], v[6:7], v[2:3] op_sel_hi:[1,0,1]
	v_mov_b32_e32 v1, v7
.LBB19_62:
	s_or_b64 exec, exec, s[8:9]
	v_mov_b64_e32 v[2:3], v[4:5]
	v_mov_b32_e32 v6, v1
.LBB19_63:
	s_or_b64 exec, exec, s[6:7]
	s_or_b64 exec, exec, s[4:5]
	v_cmp_eq_u32_e32 vcc, 0, v0
	s_and_saveexec_b64 s[4:5], vcc
	s_cbranch_execz .LBB19_35
.LBB19_64:
	s_waitcnt lgkmcnt(0)
	v_max_f32_e32 v0, v6, v6
	v_max_f32_e32 v0, 0, v0
	v_div_scale_f32 v1, s[4:5], v0, v0, v2
	v_rcp_f32_e32 v4, v1
	s_load_dword s6, s[0:1], 0x8
	s_load_dwordx2 s[4:5], s[0:1], 0x20
	s_mov_b32 s0, 0x800000
	v_fma_f32 v5, -v1, v4, 1.0
	v_fmac_f32_e32 v4, v5, v4
	v_div_scale_f32 v5, vcc, v2, v0, v2
	v_mul_f32_e32 v6, v5, v4
	v_fma_f32 v7, -v1, v6, v5
	v_fmac_f32_e32 v6, v7, v4
	v_fma_f32 v1, -v1, v6, v5
	v_div_fmas_f32 v1, v1, v4, v6
	v_div_fixup_f32 v0, v1, v0, v2
	v_fmac_f32_e32 v0, v3, v3
	s_waitcnt lgkmcnt(0)
	v_add_f32_e32 v0, s6, v0
	v_mul_f32_e32 v1, 0x4b800000, v0
	v_cmp_gt_f32_e32 vcc, s0, v0
	s_lshl_b64 s[0:1], s[2:3], 2
	s_add_u32 s0, s4, s0
	v_cndmask_b32_e32 v0, v0, v1, vcc
	v_rsq_f32_e32 v0, v0
	s_addc_u32 s1, s5, s1
	v_mul_f32_e32 v1, 0x45800000, v0
	v_cndmask_b32_e32 v0, v0, v1, vcc
	v_mov_b32_e32 v1, 0
	global_store_dword v1, v0, s[0:1]
	s_endpgm
	.section	.rodata,"a",@progbits
	.p2align	6, 0x0
	.amdhsa_kernel _ZN2at6native12_GLOBAL__N_124RowwiseMomentsCUDAKernelIN3c104HalfEfLb1EEEvlT0_PKT_PS5_S9_
		.amdhsa_group_segment_fixed_size 1536
		.amdhsa_private_segment_fixed_size 0
		.amdhsa_kernarg_size 296
		.amdhsa_user_sgpr_count 2
		.amdhsa_user_sgpr_dispatch_ptr 0
		.amdhsa_user_sgpr_queue_ptr 0
		.amdhsa_user_sgpr_kernarg_segment_ptr 1
		.amdhsa_user_sgpr_dispatch_id 0
		.amdhsa_user_sgpr_kernarg_preload_length 0
		.amdhsa_user_sgpr_kernarg_preload_offset 0
		.amdhsa_user_sgpr_private_segment_size 0
		.amdhsa_uses_dynamic_stack 0
		.amdhsa_enable_private_segment 0
		.amdhsa_system_sgpr_workgroup_id_x 1
		.amdhsa_system_sgpr_workgroup_id_y 0
		.amdhsa_system_sgpr_workgroup_id_z 0
		.amdhsa_system_sgpr_workgroup_info 0
		.amdhsa_system_vgpr_workitem_id 0
		.amdhsa_next_free_vgpr 21
		.amdhsa_next_free_sgpr 19
		.amdhsa_accum_offset 24
		.amdhsa_reserve_vcc 1
		.amdhsa_float_round_mode_32 0
		.amdhsa_float_round_mode_16_64 0
		.amdhsa_float_denorm_mode_32 3
		.amdhsa_float_denorm_mode_16_64 3
		.amdhsa_dx10_clamp 1
		.amdhsa_ieee_mode 1
		.amdhsa_fp16_overflow 0
		.amdhsa_tg_split 0
		.amdhsa_exception_fp_ieee_invalid_op 0
		.amdhsa_exception_fp_denorm_src 0
		.amdhsa_exception_fp_ieee_div_zero 0
		.amdhsa_exception_fp_ieee_overflow 0
		.amdhsa_exception_fp_ieee_underflow 0
		.amdhsa_exception_fp_ieee_inexact 0
		.amdhsa_exception_int_div_zero 0
	.end_amdhsa_kernel
	.section	.text._ZN2at6native12_GLOBAL__N_124RowwiseMomentsCUDAKernelIN3c104HalfEfLb1EEEvlT0_PKT_PS5_S9_,"axG",@progbits,_ZN2at6native12_GLOBAL__N_124RowwiseMomentsCUDAKernelIN3c104HalfEfLb1EEEvlT0_PKT_PS5_S9_,comdat
.Lfunc_end19:
	.size	_ZN2at6native12_GLOBAL__N_124RowwiseMomentsCUDAKernelIN3c104HalfEfLb1EEEvlT0_PKT_PS5_S9_, .Lfunc_end19-_ZN2at6native12_GLOBAL__N_124RowwiseMomentsCUDAKernelIN3c104HalfEfLb1EEEvlT0_PKT_PS5_S9_
                                        ; -- End function
	.set _ZN2at6native12_GLOBAL__N_124RowwiseMomentsCUDAKernelIN3c104HalfEfLb1EEEvlT0_PKT_PS5_S9_.num_vgpr, 21
	.set _ZN2at6native12_GLOBAL__N_124RowwiseMomentsCUDAKernelIN3c104HalfEfLb1EEEvlT0_PKT_PS5_S9_.num_agpr, 0
	.set _ZN2at6native12_GLOBAL__N_124RowwiseMomentsCUDAKernelIN3c104HalfEfLb1EEEvlT0_PKT_PS5_S9_.numbered_sgpr, 19
	.set _ZN2at6native12_GLOBAL__N_124RowwiseMomentsCUDAKernelIN3c104HalfEfLb1EEEvlT0_PKT_PS5_S9_.num_named_barrier, 0
	.set _ZN2at6native12_GLOBAL__N_124RowwiseMomentsCUDAKernelIN3c104HalfEfLb1EEEvlT0_PKT_PS5_S9_.private_seg_size, 0
	.set _ZN2at6native12_GLOBAL__N_124RowwiseMomentsCUDAKernelIN3c104HalfEfLb1EEEvlT0_PKT_PS5_S9_.uses_vcc, 1
	.set _ZN2at6native12_GLOBAL__N_124RowwiseMomentsCUDAKernelIN3c104HalfEfLb1EEEvlT0_PKT_PS5_S9_.uses_flat_scratch, 0
	.set _ZN2at6native12_GLOBAL__N_124RowwiseMomentsCUDAKernelIN3c104HalfEfLb1EEEvlT0_PKT_PS5_S9_.has_dyn_sized_stack, 0
	.set _ZN2at6native12_GLOBAL__N_124RowwiseMomentsCUDAKernelIN3c104HalfEfLb1EEEvlT0_PKT_PS5_S9_.has_recursion, 0
	.set _ZN2at6native12_GLOBAL__N_124RowwiseMomentsCUDAKernelIN3c104HalfEfLb1EEEvlT0_PKT_PS5_S9_.has_indirect_call, 0
	.section	.AMDGPU.csdata,"",@progbits
; Kernel info:
; codeLenInByte = 3444
; TotalNumSgprs: 25
; NumVgprs: 21
; NumAgprs: 0
; TotalNumVgprs: 21
; ScratchSize: 0
; MemoryBound: 0
; FloatMode: 240
; IeeeMode: 1
; LDSByteSize: 1536 bytes/workgroup (compile time only)
; SGPRBlocks: 3
; VGPRBlocks: 2
; NumSGPRsForWavesPerEU: 25
; NumVGPRsForWavesPerEU: 21
; AccumOffset: 24
; Occupancy: 8
; WaveLimiterHint : 0
; COMPUTE_PGM_RSRC2:SCRATCH_EN: 0
; COMPUTE_PGM_RSRC2:USER_SGPR: 2
; COMPUTE_PGM_RSRC2:TRAP_HANDLER: 0
; COMPUTE_PGM_RSRC2:TGID_X_EN: 1
; COMPUTE_PGM_RSRC2:TGID_Y_EN: 0
; COMPUTE_PGM_RSRC2:TGID_Z_EN: 0
; COMPUTE_PGM_RSRC2:TIDIG_COMP_CNT: 0
; COMPUTE_PGM_RSRC3_GFX90A:ACCUM_OFFSET: 5
; COMPUTE_PGM_RSRC3_GFX90A:TG_SPLIT: 0
	.section	.text._ZN2at6native12_GLOBAL__N_126LayerNormForwardCUDAKernelIN3c104HalfEfLb1EEEvlPKT_PKT0_SA_S7_S7_PS5_,"axG",@progbits,_ZN2at6native12_GLOBAL__N_126LayerNormForwardCUDAKernelIN3c104HalfEfLb1EEEvlPKT_PKT0_SA_S7_S7_PS5_,comdat
	.globl	_ZN2at6native12_GLOBAL__N_126LayerNormForwardCUDAKernelIN3c104HalfEfLb1EEEvlPKT_PKT0_SA_S7_S7_PS5_ ; -- Begin function _ZN2at6native12_GLOBAL__N_126LayerNormForwardCUDAKernelIN3c104HalfEfLb1EEEvlPKT_PKT0_SA_S7_S7_PS5_
	.p2align	8
	.type	_ZN2at6native12_GLOBAL__N_126LayerNormForwardCUDAKernelIN3c104HalfEfLb1EEEvlPKT_PKT0_SA_S7_S7_PS5_,@function
_ZN2at6native12_GLOBAL__N_126LayerNormForwardCUDAKernelIN3c104HalfEfLb1EEEvlPKT_PKT0_SA_S7_S7_PS5_: ; @_ZN2at6native12_GLOBAL__N_126LayerNormForwardCUDAKernelIN3c104HalfEfLb1EEEvlPKT_PKT0_SA_S7_S7_PS5_
; %bb.0:
	s_load_dwordx4 s[4:7], s[0:1], 0x0
	v_mov_b32_e32 v1, 0
	s_waitcnt lgkmcnt(0)
	v_cmp_gt_i64_e32 vcc, s[4:5], v[0:1]
	s_and_saveexec_b64 s[8:9], vcc
	s_cbranch_execz .LBB20_6
; %bb.1:
	s_load_dwordx4 s[8:11], s[0:1], 0x18
	s_load_dwordx2 s[14:15], s[0:1], 0x30
	s_load_dword s18, s[0:1], 0x44
	s_mov_b32 s3, 0
	s_mov_b64 s[12:13], 0
	s_waitcnt lgkmcnt(0)
	s_cmp_lg_u64 s[10:11], 0
	s_cselect_b64 s[0:1], -1, 0
	s_lshl_b64 s[16:17], s[2:3], 2
	s_add_u32 s8, s8, s16
	s_addc_u32 s9, s9, s17
	s_load_dword s16, s[8:9], 0x0
	s_and_b32 s8, s18, 0xffff
	s_mul_i32 s17, s5, s2
	s_mul_hi_u32 s18, s4, s2
	s_add_i32 s19, s18, s17
	s_mul_i32 s18, s4, s2
	s_lshl_b64 s[18:19], s[18:19], 1
	s_add_u32 s6, s6, s18
	s_addc_u32 s7, s7, s19
	s_lshl_b32 s2, s8, 1
	s_add_u32 s14, s14, s18
	v_cndmask_b32_e64 v4, 0, 1, s[0:1]
	s_mov_b32 s9, s3
	v_lshlrev_b32_e32 v2, 1, v0
	v_mov_b32_e32 v3, v1
	s_addc_u32 s15, s15, s19
	v_cmp_ne_u32_e64 s[0:1], 1, v4
	s_branch .LBB20_4
.LBB20_2:                               ;   in Loop: Header=BB20_4 Depth=1
	v_lshl_add_u64 v[4:5], s[10:11], 0, v[2:3]
	global_load_ushort v4, v[4:5], off
	s_waitcnt vmcnt(0)
	v_cvt_f32_f16_e32 v4, v4
.LBB20_3:                               ;   in Loop: Header=BB20_4 Depth=1
	v_lshl_add_u64 v[6:7], s[6:7], 0, v[2:3]
	global_load_ushort v5, v[6:7], off
	v_lshl_add_u64 v[0:1], v[0:1], 0, s[8:9]
	v_cmp_le_i64_e32 vcc, s[4:5], v[0:1]
	v_lshl_add_u64 v[6:7], s[14:15], 0, v[2:3]
	s_or_b64 s[12:13], vcc, s[12:13]
	v_lshl_add_u64 v[2:3], v[2:3], 0, s[2:3]
	s_waitcnt vmcnt(0)
	v_cvt_f32_f16_e32 v5, v5
	s_waitcnt lgkmcnt(0)
	v_mul_f32_e32 v5, s16, v5
	v_fma_mixlo_f16 v4, v4, v5, 0
	global_store_short v[6:7], v4, off
	s_andn2_b64 exec, exec, s[12:13]
	s_cbranch_execz .LBB20_6
.LBB20_4:                               ; =>This Inner Loop Header: Depth=1
	s_and_b64 vcc, exec, s[0:1]
	s_cbranch_vccz .LBB20_2
; %bb.5:                                ;   in Loop: Header=BB20_4 Depth=1
	v_mov_b32_e32 v4, 1.0
	s_branch .LBB20_3
.LBB20_6:
	s_endpgm
	.section	.rodata,"a",@progbits
	.p2align	6, 0x0
	.amdhsa_kernel _ZN2at6native12_GLOBAL__N_126LayerNormForwardCUDAKernelIN3c104HalfEfLb1EEEvlPKT_PKT0_SA_S7_S7_PS5_
		.amdhsa_group_segment_fixed_size 0
		.amdhsa_private_segment_fixed_size 0
		.amdhsa_kernarg_size 312
		.amdhsa_user_sgpr_count 2
		.amdhsa_user_sgpr_dispatch_ptr 0
		.amdhsa_user_sgpr_queue_ptr 0
		.amdhsa_user_sgpr_kernarg_segment_ptr 1
		.amdhsa_user_sgpr_dispatch_id 0
		.amdhsa_user_sgpr_kernarg_preload_length 0
		.amdhsa_user_sgpr_kernarg_preload_offset 0
		.amdhsa_user_sgpr_private_segment_size 0
		.amdhsa_uses_dynamic_stack 0
		.amdhsa_enable_private_segment 0
		.amdhsa_system_sgpr_workgroup_id_x 1
		.amdhsa_system_sgpr_workgroup_id_y 0
		.amdhsa_system_sgpr_workgroup_id_z 0
		.amdhsa_system_sgpr_workgroup_info 0
		.amdhsa_system_vgpr_workitem_id 0
		.amdhsa_next_free_vgpr 8
		.amdhsa_next_free_sgpr 20
		.amdhsa_accum_offset 8
		.amdhsa_reserve_vcc 1
		.amdhsa_float_round_mode_32 0
		.amdhsa_float_round_mode_16_64 0
		.amdhsa_float_denorm_mode_32 3
		.amdhsa_float_denorm_mode_16_64 3
		.amdhsa_dx10_clamp 1
		.amdhsa_ieee_mode 1
		.amdhsa_fp16_overflow 0
		.amdhsa_tg_split 0
		.amdhsa_exception_fp_ieee_invalid_op 0
		.amdhsa_exception_fp_denorm_src 0
		.amdhsa_exception_fp_ieee_div_zero 0
		.amdhsa_exception_fp_ieee_overflow 0
		.amdhsa_exception_fp_ieee_underflow 0
		.amdhsa_exception_fp_ieee_inexact 0
		.amdhsa_exception_int_div_zero 0
	.end_amdhsa_kernel
	.section	.text._ZN2at6native12_GLOBAL__N_126LayerNormForwardCUDAKernelIN3c104HalfEfLb1EEEvlPKT_PKT0_SA_S7_S7_PS5_,"axG",@progbits,_ZN2at6native12_GLOBAL__N_126LayerNormForwardCUDAKernelIN3c104HalfEfLb1EEEvlPKT_PKT0_SA_S7_S7_PS5_,comdat
.Lfunc_end20:
	.size	_ZN2at6native12_GLOBAL__N_126LayerNormForwardCUDAKernelIN3c104HalfEfLb1EEEvlPKT_PKT0_SA_S7_S7_PS5_, .Lfunc_end20-_ZN2at6native12_GLOBAL__N_126LayerNormForwardCUDAKernelIN3c104HalfEfLb1EEEvlPKT_PKT0_SA_S7_S7_PS5_
                                        ; -- End function
	.set _ZN2at6native12_GLOBAL__N_126LayerNormForwardCUDAKernelIN3c104HalfEfLb1EEEvlPKT_PKT0_SA_S7_S7_PS5_.num_vgpr, 8
	.set _ZN2at6native12_GLOBAL__N_126LayerNormForwardCUDAKernelIN3c104HalfEfLb1EEEvlPKT_PKT0_SA_S7_S7_PS5_.num_agpr, 0
	.set _ZN2at6native12_GLOBAL__N_126LayerNormForwardCUDAKernelIN3c104HalfEfLb1EEEvlPKT_PKT0_SA_S7_S7_PS5_.numbered_sgpr, 20
	.set _ZN2at6native12_GLOBAL__N_126LayerNormForwardCUDAKernelIN3c104HalfEfLb1EEEvlPKT_PKT0_SA_S7_S7_PS5_.num_named_barrier, 0
	.set _ZN2at6native12_GLOBAL__N_126LayerNormForwardCUDAKernelIN3c104HalfEfLb1EEEvlPKT_PKT0_SA_S7_S7_PS5_.private_seg_size, 0
	.set _ZN2at6native12_GLOBAL__N_126LayerNormForwardCUDAKernelIN3c104HalfEfLb1EEEvlPKT_PKT0_SA_S7_S7_PS5_.uses_vcc, 1
	.set _ZN2at6native12_GLOBAL__N_126LayerNormForwardCUDAKernelIN3c104HalfEfLb1EEEvlPKT_PKT0_SA_S7_S7_PS5_.uses_flat_scratch, 0
	.set _ZN2at6native12_GLOBAL__N_126LayerNormForwardCUDAKernelIN3c104HalfEfLb1EEEvlPKT_PKT0_SA_S7_S7_PS5_.has_dyn_sized_stack, 0
	.set _ZN2at6native12_GLOBAL__N_126LayerNormForwardCUDAKernelIN3c104HalfEfLb1EEEvlPKT_PKT0_SA_S7_S7_PS5_.has_recursion, 0
	.set _ZN2at6native12_GLOBAL__N_126LayerNormForwardCUDAKernelIN3c104HalfEfLb1EEEvlPKT_PKT0_SA_S7_S7_PS5_.has_indirect_call, 0
	.section	.AMDGPU.csdata,"",@progbits
; Kernel info:
; codeLenInByte = 304
; TotalNumSgprs: 26
; NumVgprs: 8
; NumAgprs: 0
; TotalNumVgprs: 8
; ScratchSize: 0
; MemoryBound: 0
; FloatMode: 240
; IeeeMode: 1
; LDSByteSize: 0 bytes/workgroup (compile time only)
; SGPRBlocks: 3
; VGPRBlocks: 0
; NumSGPRsForWavesPerEU: 26
; NumVGPRsForWavesPerEU: 8
; AccumOffset: 8
; Occupancy: 8
; WaveLimiterHint : 0
; COMPUTE_PGM_RSRC2:SCRATCH_EN: 0
; COMPUTE_PGM_RSRC2:USER_SGPR: 2
; COMPUTE_PGM_RSRC2:TRAP_HANDLER: 0
; COMPUTE_PGM_RSRC2:TGID_X_EN: 1
; COMPUTE_PGM_RSRC2:TGID_Y_EN: 0
; COMPUTE_PGM_RSRC2:TGID_Z_EN: 0
; COMPUTE_PGM_RSRC2:TIDIG_COMP_CNT: 0
; COMPUTE_PGM_RSRC3_GFX90A:ACCUM_OFFSET: 1
; COMPUTE_PGM_RSRC3_GFX90A:TG_SPLIT: 0
	.section	.text._ZN2at6native12_GLOBAL__N_128vectorized_layer_norm_kernelIN3c108BFloat16EfLb1EEEviT0_PKT_S8_S8_PS5_S9_PS6_,"axG",@progbits,_ZN2at6native12_GLOBAL__N_128vectorized_layer_norm_kernelIN3c108BFloat16EfLb1EEEviT0_PKT_S8_S8_PS5_S9_PS6_,comdat
	.globl	_ZN2at6native12_GLOBAL__N_128vectorized_layer_norm_kernelIN3c108BFloat16EfLb1EEEviT0_PKT_S8_S8_PS5_S9_PS6_ ; -- Begin function _ZN2at6native12_GLOBAL__N_128vectorized_layer_norm_kernelIN3c108BFloat16EfLb1EEEviT0_PKT_S8_S8_PS5_S9_PS6_
	.p2align	8
	.type	_ZN2at6native12_GLOBAL__N_128vectorized_layer_norm_kernelIN3c108BFloat16EfLb1EEEviT0_PKT_S8_S8_PS5_S9_PS6_,@function
_ZN2at6native12_GLOBAL__N_128vectorized_layer_norm_kernelIN3c108BFloat16EfLb1EEEviT0_PKT_S8_S8_PS5_S9_PS6_: ; @_ZN2at6native12_GLOBAL__N_128vectorized_layer_norm_kernelIN3c108BFloat16EfLb1EEEviT0_PKT_S8_S8_PS5_S9_PS6_
; %bb.0:
	s_load_dwordx4 s[16:19], s[0:1], 0x0
	s_load_dword s4, s[0:1], 0x44
	v_and_b32_e32 v4, 0x3ff, v0
	v_bfe_u32 v5, v0, 10, 10
	s_mov_b32 s3, 0
	s_waitcnt lgkmcnt(0)
	s_ashr_i32 s5, s16, 31
	s_lshr_b32 s12, s4, 16
	s_and_b32 s4, s4, 0xffff
	s_mul_i32 s20, s12, s4
	v_mul_u32_u24_e32 v0, s4, v5
	v_mad_u32_u24 v14, v5, s4, v4
	s_lshr_b32 s4, s5, 30
	s_add_i32 s4, s16, s4
	s_mul_hi_u32 s6, s16, s2
	s_mul_i32 s7, s5, s2
	s_ashr_i32 s28, s4, 2
	s_add_i32 s25, s6, s7
	s_mul_i32 s24, s16, s2
	v_cmp_gt_i32_e64 s[4:5], s28, v14
	v_mov_b32_e32 v1, 0
	v_add_lshl_u32 v0, v0, v4, 3
	s_and_saveexec_b64 s[6:7], s[4:5]
	s_cbranch_execz .LBB21_4
; %bb.1:
	s_lshl_b64 s[8:9], s[24:25], 1
	s_add_u32 s8, s18, s8
	v_mov_b32_e32 v1, 0
	s_addc_u32 s9, s19, s9
	s_ashr_i32 s21, s20, 31
	v_lshl_add_u64 v[2:3], s[8:9], 0, v[0:1]
	s_lshl_b64 s[10:11], s[20:21], 3
	s_mov_b64 s[8:9], 0
	v_mov_b32_e32 v6, v14
.LBB21_2:                               ; =>This Inner Loop Header: Depth=1
	global_load_dwordx2 v[8:9], v[2:3], off
	v_add_u32_e32 v6, s20, v6
	v_cmp_le_i32_e32 vcc, s28, v6
	v_lshl_add_u64 v[2:3], v[2:3], 0, s[10:11]
	s_or_b64 s[8:9], vcc, s[8:9]
	s_waitcnt vmcnt(0)
	v_lshlrev_b32_e32 v10, 16, v8
	v_and_b32_e32 v7, 0xffff0000, v8
	v_alignbit_b32 v8, v9, v8, 16
	v_fmac_f32_e32 v1, v10, v10
	v_and_b32_e32 v8, 0xffff0000, v8
	v_fmac_f32_e32 v1, v7, v7
	v_and_b32_e32 v9, 0xffff0000, v9
	v_fmac_f32_e32 v1, v8, v8
	v_fmac_f32_e32 v1, v9, v9
	s_andn2_b64 exec, exec, s[8:9]
	s_cbranch_execnz .LBB21_2
; %bb.3:
	s_or_b64 exec, exec, s[8:9]
.LBB21_4:
	s_or_b64 exec, exec, s[6:7]
	v_mbcnt_lo_u32_b32 v2, -1, 0
	v_mbcnt_hi_u32_b32 v3, -1, v2
	v_lshlrev_b32_e32 v2, 2, v3
	v_or_b32_e32 v6, 0x80, v2
	ds_bpermute_b32 v6, v6, v1
	v_and_b32_e32 v7, 63, v3
	v_cmp_gt_u32_e32 vcc, 48, v7
	s_cmp_lt_u32 s12, 2
	s_waitcnt lgkmcnt(0)
	v_add_f32_e32 v1, v1, v6
	v_cndmask_b32_e64 v8, 0, 16, vcc
	v_add_lshl_u32 v8, v8, v3, 2
	ds_bpermute_b32 v6, v8, v1
	v_cmp_gt_u32_e32 vcc, 56, v7
	s_waitcnt lgkmcnt(0)
	v_add_f32_e32 v1, v1, v6
	v_cndmask_b32_e64 v8, 0, 8, vcc
	v_add_lshl_u32 v8, v8, v3, 2
	ds_bpermute_b32 v6, v8, v1
	v_cmp_gt_u32_e32 vcc, 60, v7
	;; [unrolled: 6-line block ×3, first 2 shown]
	s_waitcnt lgkmcnt(0)
	v_add_f32_e32 v1, v1, v6
	v_cndmask_b32_e64 v8, 0, 2, vcc
	v_add_lshl_u32 v8, v8, v3, 2
	ds_bpermute_b32 v6, v8, v1
	v_cmp_ne_u32_e32 vcc, 63, v7
	s_waitcnt lgkmcnt(0)
	v_add_f32_e32 v1, v1, v6
	v_addc_co_u32_e32 v3, vcc, 0, v3, vcc
	v_lshlrev_b32_e32 v3, 2, v3
	ds_bpermute_b32 v3, v3, v1
	s_waitcnt lgkmcnt(0)
	v_add_f32_e32 v1, v1, v3
	s_cbranch_scc0 .LBB21_6
; %bb.5:
	v_and_b32_e32 v2, 0x100, v2
	ds_bpermute_b32 v2, v2, v1
	v_cvt_f32_i32_e32 v3, s16
	s_waitcnt lgkmcnt(0)
	v_div_scale_f32 v6, s[6:7], v3, v3, v2
	v_rcp_f32_e32 v7, v6
	v_div_scale_f32 v8, vcc, v2, v3, v2
	v_fma_f32 v9, -v6, v7, 1.0
	v_fmac_f32_e32 v7, v9, v7
	v_mul_f32_e32 v9, v8, v7
	v_fma_f32 v10, -v6, v9, v8
	v_fmac_f32_e32 v9, v10, v7
	v_fma_f32 v6, -v6, v9, v8
	v_div_fmas_f32 v6, v6, v7, v9
	v_div_fixup_f32 v3, v6, v3, v2
	v_mov_b32_e32 v2, 0
	s_cbranch_execz .LBB21_7
	s_branch .LBB21_17
.LBB21_6:
                                        ; implicit-def: $vgpr3
	v_mov_b32_e32 v2, 0
.LBB21_7:
	s_lshl_b32 s6, s12, 2
	v_lshlrev_b32_e32 v3, 3, v5
	s_add_i32 s8, s6, 0
	v_cmp_eq_u32_e32 vcc, 0, v4
	v_mov_b32_e32 v2, 0
	v_add_u32_e32 v3, 0, v3
.LBB21_8:                               ; =>This Inner Loop Header: Depth=1
	s_lshr_b32 s9, s12, 1
	v_cmp_le_u32_e64 s[6:7], s9, v5
	s_and_b64 s[10:11], vcc, s[6:7]
	s_and_b32 s6, s12, 0xfffe
	v_cmp_gt_u32_e64 s[6:7], s6, v5
	s_and_b64 s[10:11], s[10:11], s[6:7]
	s_and_saveexec_b64 s[6:7], s[10:11]
	s_cbranch_execz .LBB21_10
; %bb.9:                                ;   in Loop: Header=BB21_8 Depth=1
	v_subrev_u32_e32 v6, s9, v5
	v_lshl_add_u32 v7, v6, 2, s8
	v_lshl_add_u32 v6, v6, 3, 0
	ds_write2_b32 v6, v2, v1 offset1:1
	ds_write_b32 v7, v2
.LBB21_10:                              ;   in Loop: Header=BB21_8 Depth=1
	s_or_b64 exec, exec, s[6:7]
	v_cmp_gt_u32_e64 s[6:7], s9, v5
	s_and_b64 s[10:11], vcc, s[6:7]
	s_waitcnt lgkmcnt(0)
	s_barrier
	s_and_saveexec_b64 s[6:7], s[10:11]
	s_cbranch_execz .LBB21_12
; %bb.11:                               ;   in Loop: Header=BB21_8 Depth=1
	ds_read_b32 v6, v3 offset:4
	s_waitcnt lgkmcnt(0)
	v_add_f32_e32 v1, v1, v6
.LBB21_12:                              ;   in Loop: Header=BB21_8 Depth=1
	s_or_b64 exec, exec, s[6:7]
	s_cmp_lt_u32 s12, 4
	s_barrier
	s_cbranch_scc1 .LBB21_14
; %bb.13:                               ;   in Loop: Header=BB21_8 Depth=1
	s_mov_b32 s12, s9
	s_branch .LBB21_8
.LBB21_14:
	v_or_b32_e32 v2, v4, v5
	v_cmp_eq_u32_e32 vcc, 0, v2
	s_and_saveexec_b64 s[6:7], vcc
	s_cbranch_execz .LBB21_16
; %bb.15:
	v_cvt_f32_i32_e32 v2, s16
	v_div_scale_f32 v3, s[8:9], v2, v2, v1
	v_rcp_f32_e32 v4, v3
	v_div_scale_f32 v5, vcc, v1, v2, v1
	v_fma_f32 v6, -v3, v4, 1.0
	v_fmac_f32_e32 v4, v6, v4
	v_mul_f32_e32 v6, v5, v4
	v_fma_f32 v7, -v3, v6, v5
	v_fmac_f32_e32 v6, v7, v4
	v_fma_f32 v3, -v3, v6, v5
	v_div_fmas_f32 v3, v3, v4, v6
	v_div_fixup_f32 v1, v3, v2, v1
	v_mov_b32_e32 v2, 0
	ds_write2_b32 v2, v2, v1 offset1:1
.LBB21_16:
	s_or_b64 exec, exec, s[6:7]
	v_mov_b32_e32 v1, 0
	s_waitcnt lgkmcnt(0)
	s_barrier
	ds_read2_b32 v[2:3], v1 offset1:1
.LBB21_17:
	s_waitcnt lgkmcnt(0)
	v_add_f32_e32 v1, s17, v3
	s_mov_b32 s6, 0x800000
	v_mul_f32_e32 v3, 0x4b800000, v1
	v_cmp_gt_f32_e32 vcc, s6, v1
	s_load_dwordx4 s[8:11], s[0:1], 0x28
	s_nop 0
	v_cndmask_b32_e32 v1, v1, v3, vcc
	v_rsq_f32_e32 v1, v1
	s_nop 0
	v_mul_f32_e32 v3, 0x45800000, v1
	v_cndmask_b32_e32 v4, v1, v3, vcc
	s_and_saveexec_b64 s[6:7], s[4:5]
	s_cbranch_execz .LBB21_32
; %bb.18:
	s_load_dwordx4 s[12:15], s[0:1], 0x10
	v_mov_b32_e32 v7, 0
	s_mov_b64 s[16:17], 0
	v_mov_b32_e32 v5, v4
	v_mov_b32_e32 v3, v2
	s_waitcnt lgkmcnt(0)
	s_cmp_eq_u64 s[12:13], 0
	s_cselect_b64 s[22:23], -1, 0
	s_cmp_eq_u64 s[14:15], 0
	s_cselect_b64 s[0:1], -1, 0
	s_lshl_b64 s[4:5], s[24:25], 1
	s_add_u32 s10, s10, s4
	s_addc_u32 s11, s11, s5
	s_add_u32 s18, s18, s4
	v_cndmask_b32_e64 v6, 0, 1, s[0:1]
	s_addc_u32 s19, s19, s5
	s_ashr_i32 s21, s20, 31
	s_or_b64 s[24:25], s[22:23], s[0:1]
	v_mov_b32_e32 v1, v7
	s_lshl_b64 s[26:27], s[20:21], 3
	v_cmp_ne_u32_e64 s[0:1], 1, v6
	s_movk_i32 s21, 0x7fff
	v_mov_b32_e32 v15, 0x7fc0
	v_mov_b32_e32 v16, 1
	;; [unrolled: 1-line block ×4, first 2 shown]
	s_branch .LBB21_20
.LBB21_19:                              ;   in Loop: Header=BB21_20 Depth=1
	s_add_u32 s18, s18, s26
	v_bfe_u32 v8, v19, 16, 1
	s_addc_u32 s19, s19, s27
	v_add3_u32 v10, v19, v8, s21
	v_lshl_add_u64 v[8:9], s[10:11], 0, v[0:1]
	s_add_u32 s10, s10, s26
	s_addc_u32 s11, s11, s27
	s_add_u32 s12, s12, s26
	s_addc_u32 s13, s13, s27
	v_and_b32_e32 v10, 0xffff0000, v10
	v_cmp_o_f32_e32 vcc, v19, v19
	v_add_u32_e32 v18, s20, v18
	s_add_u32 s14, s14, s26
	v_cndmask_b32_e32 v11, v17, v10, vcc
	v_or_b32_sdwa v13, v7, v13 dst_sel:DWORD dst_unused:UNUSED_PAD src0_sel:DWORD src1_sel:WORD_0
	s_addc_u32 s15, s15, s27
	v_cmp_le_i32_e32 vcc, s28, v18
	v_lshl_or_b32 v10, v12, 16, v6
	v_or_b32_e32 v11, v13, v11
	s_or_b64 s[16:17], vcc, s[16:17]
	global_store_dwordx2 v[8:9], v[10:11], off
	s_andn2_b64 exec, exec, s[16:17]
	s_cbranch_execz .LBB21_32
.LBB21_20:                              ; =>This Inner Loop Header: Depth=1
	v_lshl_add_u64 v[8:9], s[18:19], 0, v[0:1]
	global_load_dwordx2 v[8:9], v[8:9], off
	s_mov_b64 s[4:5], -1
	s_and_b64 vcc, exec, s[24:25]
                                        ; implicit-def: $vgpr12_vgpr13
                                        ; implicit-def: $vgpr19
                                        ; implicit-def: $vgpr6
	s_waitcnt vmcnt(0)
	v_lshrrev_b64 v[10:11], 16, v[8:9]
	s_cbranch_vccz .LBB21_30
; %bb.21:                               ;   in Loop: Header=BB21_20 Depth=1
	s_and_b64 vcc, exec, s[22:23]
                                        ; implicit-def: $vgpr12_vgpr13
                                        ; implicit-def: $vgpr19
                                        ; implicit-def: $vgpr6
	s_cbranch_vccz .LBB21_27
; %bb.22:                               ;   in Loop: Header=BB21_20 Depth=1
	s_and_b64 vcc, exec, s[0:1]
                                        ; implicit-def: $vgpr12_vgpr13
                                        ; implicit-def: $vgpr19
                                        ; implicit-def: $vgpr6
	s_cbranch_vccnz .LBB21_24
; %bb.23:                               ;   in Loop: Header=BB21_20 Depth=1
	v_lshlrev_b32_e32 v6, 16, v8
	v_mul_f32_e32 v6, v4, v6
	v_bfe_u32 v11, v6, 16, 1
	v_lshlrev_b32_e32 v13, 16, v9
	v_lshlrev_b32_e32 v12, 16, v10
	v_add3_u32 v11, v6, v11, s21
	v_cmp_o_f32_e32 vcc, v6, v6
	v_pk_mul_f32 v[12:13], v[4:5], v[12:13]
	s_mov_b64 s[4:5], 0
	v_cndmask_b32_sdwa v6, v15, v11, vcc dst_sel:DWORD dst_unused:UNUSED_PAD src0_sel:DWORD src1_sel:WORD_1
	v_and_b32_sdwa v11, v13, v16 dst_sel:DWORD dst_unused:UNUSED_PAD src0_sel:WORD_1 src1_sel:DWORD
	v_and_b32_sdwa v19, v12, v16 dst_sel:DWORD dst_unused:UNUSED_PAD src0_sel:WORD_1 src1_sel:DWORD
	v_add3_u32 v11, v13, v11, s21
	v_cmp_o_f32_e32 vcc, v13, v13
	v_add3_u32 v19, v12, v19, s21
	s_nop 0
	v_cndmask_b32_sdwa v13, v15, v11, vcc dst_sel:DWORD dst_unused:UNUSED_PAD src0_sel:DWORD src1_sel:WORD_1
	v_cmp_o_f32_e32 vcc, v12, v12
	v_and_b32_e32 v11, 0xffff0000, v9
	s_nop 0
	v_cndmask_b32_sdwa v12, v15, v19, vcc dst_sel:DWORD dst_unused:UNUSED_PAD src0_sel:DWORD src1_sel:WORD_1
	v_mul_f32_e32 v19, v4, v11
.LBB21_24:                              ;   in Loop: Header=BB21_20 Depth=1
	s_andn2_b64 vcc, exec, s[4:5]
	s_cbranch_vccnz .LBB21_26
; %bb.25:                               ;   in Loop: Header=BB21_20 Depth=1
	v_lshl_add_u64 v[12:13], s[14:15], 0, v[0:1]
	global_load_dwordx2 v[12:13], v[12:13], off
	v_lshlrev_b32_e32 v6, 16, v8
	v_lshlrev_b32_e32 v21, 16, v9
	;; [unrolled: 1-line block ×3, first 2 shown]
	v_sub_f32_e32 v6, v6, v2
	v_pk_add_f32 v[20:21], v[20:21], v[2:3] neg_lo:[0,1] neg_hi:[0,1]
	v_and_b32_e32 v11, 0xffff0000, v9
	v_sub_f32_e32 v11, v11, v2
	s_waitcnt vmcnt(0)
	v_lshlrev_b32_e32 v24, 16, v12
	v_lshlrev_b32_e32 v23, 16, v13
	v_and_b32_e32 v22, 0xffff0000, v12
	v_and_b32_e32 v19, 0xffff0000, v13
	v_fmac_f32_e32 v24, v4, v6
	v_pk_fma_f32 v[12:13], v[4:5], v[20:21], v[22:23]
	v_bfe_u32 v6, v24, 16, 1
	v_and_b32_sdwa v20, v13, v16 dst_sel:DWORD dst_unused:UNUSED_PAD src0_sel:WORD_1 src1_sel:DWORD
	v_cmp_o_f32_e32 vcc, v13, v13
	v_add3_u32 v6, v24, v6, s21
	v_add3_u32 v13, v13, v20, s21
	v_and_b32_sdwa v21, v12, v16 dst_sel:DWORD dst_unused:UNUSED_PAD src0_sel:WORD_1 src1_sel:DWORD
	v_cmp_o_f32_e64 s[4:5], v12, v12
	v_lshrrev_b32_e32 v6, 16, v6
	v_cndmask_b32_sdwa v13, v15, v13, vcc dst_sel:DWORD dst_unused:UNUSED_PAD src0_sel:DWORD src1_sel:WORD_1
	v_cmp_o_f32_e32 vcc, v24, v24
	v_add3_u32 v12, v12, v21, s21
	v_fmac_f32_e32 v19, v4, v11
	v_cndmask_b32_e32 v6, v15, v6, vcc
	s_mov_b64 vcc, s[4:5]
	v_cndmask_b32_sdwa v12, v15, v12, vcc dst_sel:DWORD dst_unused:UNUSED_PAD src0_sel:DWORD src1_sel:WORD_1
.LBB21_26:                              ;   in Loop: Header=BB21_20 Depth=1
	s_mov_b64 s[4:5], 0
.LBB21_27:                              ;   in Loop: Header=BB21_20 Depth=1
	s_andn2_b64 vcc, exec, s[4:5]
	s_cbranch_vccnz .LBB21_29
; %bb.28:                               ;   in Loop: Header=BB21_20 Depth=1
	v_lshl_add_u64 v[12:13], s[12:13], 0, v[0:1]
	global_load_dwordx2 v[12:13], v[12:13], off
	v_lshlrev_b32_e32 v6, 16, v8
	v_lshlrev_b32_e32 v21, 16, v9
	;; [unrolled: 1-line block ×3, first 2 shown]
	v_mul_f32_e32 v6, v4, v6
	v_pk_mul_f32 v[20:21], v[4:5], v[20:21]
	v_and_b32_e32 v11, 0xffff0000, v9
	v_mul_f32_e32 v11, v4, v11
	s_waitcnt vmcnt(0)
	v_lshlrev_b32_e32 v19, 16, v12
	v_lshlrev_b32_e32 v23, 16, v13
	v_and_b32_e32 v22, 0xffff0000, v12
	v_and_b32_e32 v24, 0xffff0000, v13
	v_mul_f32_e32 v6, v6, v19
	v_pk_mul_f32 v[12:13], v[20:21], v[22:23]
	v_bfe_u32 v19, v6, 16, 1
	v_and_b32_sdwa v20, v13, v16 dst_sel:DWORD dst_unused:UNUSED_PAD src0_sel:WORD_1 src1_sel:DWORD
	v_cmp_o_f32_e32 vcc, v13, v13
	v_add3_u32 v19, v6, v19, s21
	v_add3_u32 v13, v13, v20, s21
	v_and_b32_sdwa v21, v12, v16 dst_sel:DWORD dst_unused:UNUSED_PAD src0_sel:WORD_1 src1_sel:DWORD
	v_cmp_o_f32_e64 s[4:5], v12, v12
	v_lshrrev_b32_e32 v19, 16, v19
	v_cndmask_b32_sdwa v13, v15, v13, vcc dst_sel:DWORD dst_unused:UNUSED_PAD src0_sel:DWORD src1_sel:WORD_1
	v_cmp_o_f32_e32 vcc, v6, v6
	v_add3_u32 v12, v12, v21, s21
	s_nop 0
	v_cndmask_b32_e32 v6, v15, v19, vcc
	s_mov_b64 vcc, s[4:5]
	v_cndmask_b32_sdwa v12, v15, v12, vcc dst_sel:DWORD dst_unused:UNUSED_PAD src0_sel:DWORD src1_sel:WORD_1
	v_mul_f32_e32 v19, v11, v24
.LBB21_29:                              ;   in Loop: Header=BB21_20 Depth=1
	s_mov_b64 s[4:5], 0
.LBB21_30:                              ;   in Loop: Header=BB21_20 Depth=1
	s_andn2_b64 vcc, exec, s[4:5]
	s_cbranch_vccnz .LBB21_19
; %bb.31:                               ;   in Loop: Header=BB21_20 Depth=1
	v_lshl_add_u64 v[12:13], s[12:13], 0, v[0:1]
	global_load_dwordx2 v[12:13], v[12:13], off
	v_lshlrev_b32_e32 v6, 16, v8
	v_lshlrev_b32_e32 v11, 16, v9
	;; [unrolled: 1-line block ×3, first 2 shown]
	v_and_b32_e32 v19, 0xffff0000, v9
	v_mul_f32_e32 v6, v4, v6
	v_pk_mul_f32 v[8:9], v[4:5], v[10:11]
	v_mul_f32_e32 v19, v4, v19
	s_waitcnt vmcnt(0)
	v_lshlrev_b32_e32 v20, 16, v12
	v_lshlrev_b32_e32 v11, 16, v13
	v_and_b32_e32 v10, 0xffff0000, v12
	v_mul_f32_e32 v6, v6, v20
	v_pk_mul_f32 v[8:9], v[8:9], v[10:11]
	v_bfe_u32 v10, v6, 16, 1
	v_and_b32_sdwa v11, v9, v16 dst_sel:DWORD dst_unused:UNUSED_PAD src0_sel:WORD_1 src1_sel:DWORD
	v_cmp_o_f32_e32 vcc, v9, v9
	v_add3_u32 v10, v6, v10, s21
	v_add3_u32 v9, v9, v11, s21
	v_and_b32_e32 v21, 0xffff0000, v13
	v_and_b32_sdwa v12, v8, v16 dst_sel:DWORD dst_unused:UNUSED_PAD src0_sel:WORD_1 src1_sel:DWORD
	v_cmp_o_f32_e64 s[4:5], v8, v8
	v_lshrrev_b32_e32 v10, 16, v10
	v_cndmask_b32_sdwa v13, v15, v9, vcc dst_sel:DWORD dst_unused:UNUSED_PAD src0_sel:DWORD src1_sel:WORD_1
	v_cmp_o_f32_e32 vcc, v6, v6
	v_add3_u32 v8, v8, v12, s21
	v_mul_f32_e32 v19, v19, v21
	v_cndmask_b32_e32 v6, v15, v10, vcc
	s_mov_b64 vcc, s[4:5]
	v_cndmask_b32_sdwa v12, v15, v8, vcc dst_sel:DWORD dst_unused:UNUSED_PAD src0_sel:DWORD src1_sel:WORD_1
	s_branch .LBB21_19
.LBB21_32:
	s_or_b64 exec, exec, s[6:7]
	v_cmp_eq_u32_e32 vcc, 0, v14
	s_and_saveexec_b64 s[0:1], vcc
	s_cbranch_execz .LBB21_34
; %bb.33:
	s_lshl_b64 s[0:1], s[2:3], 2
	s_waitcnt lgkmcnt(0)
	s_add_u32 s0, s8, s0
	s_addc_u32 s1, s9, s1
	v_mov_b32_e32 v0, 0
	global_store_dword v0, v4, s[0:1]
.LBB21_34:
	s_endpgm
	.section	.rodata,"a",@progbits
	.p2align	6, 0x0
	.amdhsa_kernel _ZN2at6native12_GLOBAL__N_128vectorized_layer_norm_kernelIN3c108BFloat16EfLb1EEEviT0_PKT_S8_S8_PS5_S9_PS6_
		.amdhsa_group_segment_fixed_size 0
		.amdhsa_private_segment_fixed_size 0
		.amdhsa_kernarg_size 312
		.amdhsa_user_sgpr_count 2
		.amdhsa_user_sgpr_dispatch_ptr 0
		.amdhsa_user_sgpr_queue_ptr 0
		.amdhsa_user_sgpr_kernarg_segment_ptr 1
		.amdhsa_user_sgpr_dispatch_id 0
		.amdhsa_user_sgpr_kernarg_preload_length 0
		.amdhsa_user_sgpr_kernarg_preload_offset 0
		.amdhsa_user_sgpr_private_segment_size 0
		.amdhsa_uses_dynamic_stack 0
		.amdhsa_enable_private_segment 0
		.amdhsa_system_sgpr_workgroup_id_x 1
		.amdhsa_system_sgpr_workgroup_id_y 0
		.amdhsa_system_sgpr_workgroup_id_z 0
		.amdhsa_system_sgpr_workgroup_info 0
		.amdhsa_system_vgpr_workitem_id 1
		.amdhsa_next_free_vgpr 25
		.amdhsa_next_free_sgpr 29
		.amdhsa_accum_offset 28
		.amdhsa_reserve_vcc 1
		.amdhsa_float_round_mode_32 0
		.amdhsa_float_round_mode_16_64 0
		.amdhsa_float_denorm_mode_32 3
		.amdhsa_float_denorm_mode_16_64 3
		.amdhsa_dx10_clamp 1
		.amdhsa_ieee_mode 1
		.amdhsa_fp16_overflow 0
		.amdhsa_tg_split 0
		.amdhsa_exception_fp_ieee_invalid_op 0
		.amdhsa_exception_fp_denorm_src 0
		.amdhsa_exception_fp_ieee_div_zero 0
		.amdhsa_exception_fp_ieee_overflow 0
		.amdhsa_exception_fp_ieee_underflow 0
		.amdhsa_exception_fp_ieee_inexact 0
		.amdhsa_exception_int_div_zero 0
	.end_amdhsa_kernel
	.section	.text._ZN2at6native12_GLOBAL__N_128vectorized_layer_norm_kernelIN3c108BFloat16EfLb1EEEviT0_PKT_S8_S8_PS5_S9_PS6_,"axG",@progbits,_ZN2at6native12_GLOBAL__N_128vectorized_layer_norm_kernelIN3c108BFloat16EfLb1EEEviT0_PKT_S8_S8_PS5_S9_PS6_,comdat
.Lfunc_end21:
	.size	_ZN2at6native12_GLOBAL__N_128vectorized_layer_norm_kernelIN3c108BFloat16EfLb1EEEviT0_PKT_S8_S8_PS5_S9_PS6_, .Lfunc_end21-_ZN2at6native12_GLOBAL__N_128vectorized_layer_norm_kernelIN3c108BFloat16EfLb1EEEviT0_PKT_S8_S8_PS5_S9_PS6_
                                        ; -- End function
	.set _ZN2at6native12_GLOBAL__N_128vectorized_layer_norm_kernelIN3c108BFloat16EfLb1EEEviT0_PKT_S8_S8_PS5_S9_PS6_.num_vgpr, 25
	.set _ZN2at6native12_GLOBAL__N_128vectorized_layer_norm_kernelIN3c108BFloat16EfLb1EEEviT0_PKT_S8_S8_PS5_S9_PS6_.num_agpr, 0
	.set _ZN2at6native12_GLOBAL__N_128vectorized_layer_norm_kernelIN3c108BFloat16EfLb1EEEviT0_PKT_S8_S8_PS5_S9_PS6_.numbered_sgpr, 29
	.set _ZN2at6native12_GLOBAL__N_128vectorized_layer_norm_kernelIN3c108BFloat16EfLb1EEEviT0_PKT_S8_S8_PS5_S9_PS6_.num_named_barrier, 0
	.set _ZN2at6native12_GLOBAL__N_128vectorized_layer_norm_kernelIN3c108BFloat16EfLb1EEEviT0_PKT_S8_S8_PS5_S9_PS6_.private_seg_size, 0
	.set _ZN2at6native12_GLOBAL__N_128vectorized_layer_norm_kernelIN3c108BFloat16EfLb1EEEviT0_PKT_S8_S8_PS5_S9_PS6_.uses_vcc, 1
	.set _ZN2at6native12_GLOBAL__N_128vectorized_layer_norm_kernelIN3c108BFloat16EfLb1EEEviT0_PKT_S8_S8_PS5_S9_PS6_.uses_flat_scratch, 0
	.set _ZN2at6native12_GLOBAL__N_128vectorized_layer_norm_kernelIN3c108BFloat16EfLb1EEEviT0_PKT_S8_S8_PS5_S9_PS6_.has_dyn_sized_stack, 0
	.set _ZN2at6native12_GLOBAL__N_128vectorized_layer_norm_kernelIN3c108BFloat16EfLb1EEEviT0_PKT_S8_S8_PS5_S9_PS6_.has_recursion, 0
	.set _ZN2at6native12_GLOBAL__N_128vectorized_layer_norm_kernelIN3c108BFloat16EfLb1EEEviT0_PKT_S8_S8_PS5_S9_PS6_.has_indirect_call, 0
	.section	.AMDGPU.csdata,"",@progbits
; Kernel info:
; codeLenInByte = 2072
; TotalNumSgprs: 35
; NumVgprs: 25
; NumAgprs: 0
; TotalNumVgprs: 25
; ScratchSize: 0
; MemoryBound: 0
; FloatMode: 240
; IeeeMode: 1
; LDSByteSize: 0 bytes/workgroup (compile time only)
; SGPRBlocks: 4
; VGPRBlocks: 3
; NumSGPRsForWavesPerEU: 35
; NumVGPRsForWavesPerEU: 25
; AccumOffset: 28
; Occupancy: 8
; WaveLimiterHint : 0
; COMPUTE_PGM_RSRC2:SCRATCH_EN: 0
; COMPUTE_PGM_RSRC2:USER_SGPR: 2
; COMPUTE_PGM_RSRC2:TRAP_HANDLER: 0
; COMPUTE_PGM_RSRC2:TGID_X_EN: 1
; COMPUTE_PGM_RSRC2:TGID_Y_EN: 0
; COMPUTE_PGM_RSRC2:TGID_Z_EN: 0
; COMPUTE_PGM_RSRC2:TIDIG_COMP_CNT: 1
; COMPUTE_PGM_RSRC3_GFX90A:ACCUM_OFFSET: 6
; COMPUTE_PGM_RSRC3_GFX90A:TG_SPLIT: 0
	.section	.text._ZN2at6native12_GLOBAL__N_124RowwiseMomentsCUDAKernelIN3c108BFloat16EfLb1EEEvlT0_PKT_PS5_S9_,"axG",@progbits,_ZN2at6native12_GLOBAL__N_124RowwiseMomentsCUDAKernelIN3c108BFloat16EfLb1EEEvlT0_PKT_PS5_S9_,comdat
	.globl	_ZN2at6native12_GLOBAL__N_124RowwiseMomentsCUDAKernelIN3c108BFloat16EfLb1EEEvlT0_PKT_PS5_S9_ ; -- Begin function _ZN2at6native12_GLOBAL__N_124RowwiseMomentsCUDAKernelIN3c108BFloat16EfLb1EEEvlT0_PKT_PS5_S9_
	.p2align	8
	.type	_ZN2at6native12_GLOBAL__N_124RowwiseMomentsCUDAKernelIN3c108BFloat16EfLb1EEEvlT0_PKT_PS5_S9_,@function
_ZN2at6native12_GLOBAL__N_124RowwiseMomentsCUDAKernelIN3c108BFloat16EfLb1EEEvlT0_PKT_PS5_S9_: ; @_ZN2at6native12_GLOBAL__N_124RowwiseMomentsCUDAKernelIN3c108BFloat16EfLb1EEEvlT0_PKT_PS5_S9_
; %bb.0:
	s_load_dwordx2 s[4:5], s[0:1], 0x0
	v_mov_b32_e32 v1, 0
	s_mov_b32 s3, 0
	v_mov_b32_e32 v2, v1
	v_mov_b32_e32 v3, v1
	s_waitcnt lgkmcnt(0)
	v_cmp_gt_i64_e32 vcc, s[4:5], v[0:1]
	v_mov_b64_e32 v[6:7], 0
	s_and_saveexec_b64 s[6:7], vcc
	s_cbranch_execz .LBB22_4
; %bb.1:
	s_load_dword s8, s[0:1], 0x34
	s_load_dwordx2 s[10:11], s[0:1], 0x10
	s_mul_i32 s12, s5, s2
	s_mul_hi_u32 s13, s4, s2
	s_add_i32 s13, s13, s12
	s_mul_i32 s12, s4, s2
	s_waitcnt lgkmcnt(0)
	s_and_b32 s8, s8, 0xffff
	s_lshl_b64 s[12:13], s[12:13], 1
	s_add_u32 s10, s10, s12
	v_lshlrev_b32_e32 v2, 1, v0
	v_mov_b32_e32 v3, v1
	s_addc_u32 s11, s11, s13
	s_mov_b32 s9, s3
	v_lshl_add_u64 v[4:5], s[10:11], 0, v[2:3]
	s_lshl_b32 s10, s8, 1
	s_mov_b32 s11, s3
	s_mov_b64 s[12:13], 0
	v_mov_b64_e32 v[8:9], v[0:1]
	s_mov_b64 s[14:15], 0
.LBB22_2:                               ; =>This Inner Loop Header: Depth=1
	global_load_ushort v2, v[4:5], off
	s_add_u32 s14, s14, 1
	s_addc_u32 s15, s15, 0
	s_flbit_i32_b32 s16, s15
	s_min_u32 s18, s16, 32
	s_lshl_b64 s[16:17], s[14:15], s18
	s_min_u32 s16, s16, 1
	s_or_b32 s16, s17, s16
	v_cvt_f32_u32_e32 v10, s16
	s_sub_i32 s18, 32, s18
	v_lshl_add_u64 v[8:9], v[8:9], 0, s[8:9]
	v_cmp_le_i64_e32 vcc, s[4:5], v[8:9]
	v_ldexp_f32 v10, v10, s18
	s_or_b64 s[12:13], vcc, s[12:13]
	v_lshl_add_u64 v[4:5], v[4:5], 0, s[10:11]
	v_mov_b64_e32 v[6:7], s[14:15]
	s_waitcnt vmcnt(0)
	v_lshlrev_b32_e32 v2, 16, v2
	v_sub_f32_e32 v11, v2, v3
	v_div_scale_f32 v12, s[16:17], v10, v10, v11
	v_rcp_f32_e32 v13, v12
	v_div_scale_f32 v14, vcc, v11, v10, v11
	v_fma_f32 v15, -v12, v13, 1.0
	v_fmac_f32_e32 v13, v15, v13
	v_mul_f32_e32 v15, v14, v13
	v_fma_f32 v16, -v12, v15, v14
	v_fmac_f32_e32 v15, v16, v13
	v_fma_f32 v12, -v12, v15, v14
	v_div_fmas_f32 v12, v12, v13, v15
	v_div_fixup_f32 v12, v12, v10, v11
	v_add_f32_e32 v3, v3, v12
	v_sub_f32_e32 v2, v2, v3
	v_fmac_f32_e32 v1, v11, v2
	s_andn2_b64 exec, exec, s[12:13]
	s_cbranch_execnz .LBB22_2
; %bb.3:
	s_or_b64 exec, exec, s[12:13]
	v_mov_b32_e32 v2, v1
	v_mov_b32_e32 v1, v10
.LBB22_4:
	s_or_b64 exec, exec, s[6:7]
	v_mbcnt_lo_u32_b32 v4, -1, 0
	v_mbcnt_hi_u32_b32 v14, -1, v4
	v_mov_b32_e32 v4, 0x80
	v_lshl_or_b32 v10, v14, 2, v4
	ds_bpermute_b32 v5, v10, v3
	ds_bpermute_b32 v4, v10, v2
	;; [unrolled: 1-line block ×5, first 2 shown]
	v_cmp_neq_f32_e32 vcc, 0, v1
	s_and_saveexec_b64 s[4:5], vcc
	s_cbranch_execz .LBB22_8
; %bb.5:
	s_waitcnt lgkmcnt(0)
	v_cmp_neq_f32_e32 vcc, 0, v11
	s_and_saveexec_b64 s[6:7], vcc
	s_cbranch_execz .LBB22_7
; %bb.6:
	v_add_f32_e32 v9, v1, v11
	v_div_scale_f32 v8, s[8:9], v9, v9, v11
	v_rcp_f32_e32 v12, v8
	v_pk_add_f32 v[6:7], v[4:5], v[2:3] neg_lo:[0,1] neg_hi:[0,1]
	v_pk_add_f32 v[4:5], v[2:3], v[4:5]
	v_mul_f32_e32 v2, v7, v7
	v_fma_f32 v6, -v8, v12, 1.0
	v_fmac_f32_e32 v12, v6, v12
	v_div_scale_f32 v6, vcc, v11, v9, v11
	v_mul_f32_e32 v13, v6, v12
	v_fma_f32 v15, -v8, v13, v6
	v_fmac_f32_e32 v13, v15, v12
	v_fma_f32 v6, -v8, v13, v6
	v_div_fmas_f32 v6, v6, v12, v13
	v_div_fixup_f32 v8, v6, v9, v11
	v_mul_f32_e32 v6, v1, v2
	v_mov_b32_e32 v5, v3
	v_pk_fma_f32 v[2:3], v[6:7], v[8:9], v[4:5] op_sel_hi:[1,0,1]
	v_mov_b64_e32 v[6:7], -1
	v_mov_b32_e32 v1, v9
.LBB22_7:
	s_or_b64 exec, exec, s[6:7]
	v_mov_b32_e32 v11, v1
	v_mov_b64_e32 v[8:9], v[6:7]
	v_mov_b64_e32 v[4:5], v[2:3]
.LBB22_8:
	s_or_b64 exec, exec, s[4:5]
	v_and_b32_e32 v15, 63, v14
	v_cmp_gt_u32_e32 vcc, 48, v15
	s_nop 1
	v_cndmask_b32_e64 v1, 0, 16, vcc
	v_add_lshl_u32 v1, v1, v14, 2
	s_waitcnt lgkmcnt(4)
	ds_bpermute_b32 v3, v1, v5
	s_waitcnt lgkmcnt(4)
	ds_bpermute_b32 v2, v1, v4
	;; [unrolled: 2-line block ×5, first 2 shown]
	v_cmp_neq_f32_e32 vcc, 0, v11
	s_and_saveexec_b64 s[4:5], vcc
	s_cbranch_execz .LBB22_12
; %bb.9:
	s_waitcnt lgkmcnt(0)
	v_cmp_neq_f32_e32 vcc, 0, v12
	s_and_saveexec_b64 s[6:7], vcc
	s_cbranch_execz .LBB22_11
; %bb.10:
	v_add_f32_e32 v13, v11, v12
	v_div_scale_f32 v8, s[8:9], v13, v13, v12
	v_rcp_f32_e32 v9, v8
	v_pk_add_f32 v[6:7], v[2:3], v[4:5] neg_lo:[0,1] neg_hi:[0,1]
	v_pk_add_f32 v[2:3], v[4:5], v[2:3]
	v_fma_f32 v6, -v8, v9, 1.0
	v_fmac_f32_e32 v9, v6, v9
	v_div_scale_f32 v6, vcc, v12, v13, v12
	v_mul_f32_e32 v16, v6, v9
	v_fma_f32 v17, -v8, v16, v6
	v_fmac_f32_e32 v16, v17, v9
	v_fma_f32 v6, -v8, v16, v6
	v_div_fmas_f32 v6, v6, v9, v16
	v_mul_f32_e32 v3, v7, v7
	v_div_fixup_f32 v8, v6, v13, v12
	v_mul_f32_e32 v6, v11, v3
	v_mov_b32_e32 v3, v5
	v_pk_fma_f32 v[4:5], v[6:7], v[8:9], v[2:3] op_sel_hi:[1,0,1]
	v_mov_b64_e32 v[8:9], -1
	v_mov_b32_e32 v11, v13
.LBB22_11:
	s_or_b64 exec, exec, s[6:7]
	v_mov_b32_e32 v12, v11
	v_mov_b64_e32 v[6:7], v[8:9]
	v_mov_b64_e32 v[2:3], v[4:5]
.LBB22_12:
	s_or_b64 exec, exec, s[4:5]
	v_cmp_gt_u32_e32 vcc, 56, v15
	s_nop 1
	v_cndmask_b32_e64 v4, 0, 8, vcc
	v_add_lshl_u32 v11, v4, v14, 2
	s_waitcnt lgkmcnt(4)
	ds_bpermute_b32 v5, v11, v3
	s_waitcnt lgkmcnt(4)
	ds_bpermute_b32 v4, v11, v2
	;; [unrolled: 2-line block ×5, first 2 shown]
	v_cmp_neq_f32_e32 vcc, 0, v12
	s_and_saveexec_b64 s[4:5], vcc
	s_cbranch_execz .LBB22_16
; %bb.13:
	s_waitcnt lgkmcnt(0)
	v_cmp_neq_f32_e32 vcc, 0, v13
	s_and_saveexec_b64 s[6:7], vcc
	s_cbranch_execz .LBB22_15
; %bb.14:
	v_add_f32_e32 v9, v12, v13
	v_div_scale_f32 v8, s[8:9], v9, v9, v13
	v_rcp_f32_e32 v16, v8
	v_pk_add_f32 v[6:7], v[4:5], v[2:3] neg_lo:[0,1] neg_hi:[0,1]
	v_pk_add_f32 v[4:5], v[2:3], v[4:5]
	v_mul_f32_e32 v2, v7, v7
	v_fma_f32 v6, -v8, v16, 1.0
	v_fmac_f32_e32 v16, v6, v16
	v_div_scale_f32 v6, vcc, v13, v9, v13
	v_mul_f32_e32 v17, v6, v16
	v_fma_f32 v18, -v8, v17, v6
	v_fmac_f32_e32 v17, v18, v16
	v_fma_f32 v6, -v8, v17, v6
	v_div_fmas_f32 v6, v6, v16, v17
	v_div_fixup_f32 v8, v6, v9, v13
	v_mul_f32_e32 v6, v12, v2
	v_mov_b32_e32 v5, v3
	v_pk_fma_f32 v[2:3], v[6:7], v[8:9], v[4:5] op_sel_hi:[1,0,1]
	v_mov_b64_e32 v[6:7], -1
	v_mov_b32_e32 v12, v9
.LBB22_15:
	s_or_b64 exec, exec, s[6:7]
	v_mov_b32_e32 v13, v12
	v_mov_b64_e32 v[8:9], v[6:7]
	v_mov_b64_e32 v[4:5], v[2:3]
.LBB22_16:
	s_or_b64 exec, exec, s[4:5]
	v_cmp_gt_u32_e32 vcc, 60, v15
	s_nop 1
	v_cndmask_b32_e64 v2, 0, 4, vcc
	v_add_lshl_u32 v12, v2, v14, 2
	s_waitcnt lgkmcnt(4)
	ds_bpermute_b32 v3, v12, v5
	s_waitcnt lgkmcnt(4)
	ds_bpermute_b32 v2, v12, v4
	;; [unrolled: 2-line block ×5, first 2 shown]
	v_cmp_neq_f32_e32 vcc, 0, v13
	s_and_saveexec_b64 s[4:5], vcc
	s_cbranch_execz .LBB22_20
; %bb.17:
	s_waitcnt lgkmcnt(0)
	v_cmp_neq_f32_e32 vcc, 0, v16
	s_and_saveexec_b64 s[6:7], vcc
	s_cbranch_execz .LBB22_19
; %bb.18:
	v_add_f32_e32 v17, v13, v16
	v_div_scale_f32 v8, s[8:9], v17, v17, v16
	v_rcp_f32_e32 v9, v8
	v_pk_add_f32 v[6:7], v[2:3], v[4:5] neg_lo:[0,1] neg_hi:[0,1]
	v_pk_add_f32 v[2:3], v[4:5], v[2:3]
	v_fma_f32 v6, -v8, v9, 1.0
	v_fmac_f32_e32 v9, v6, v9
	v_div_scale_f32 v6, vcc, v16, v17, v16
	v_mul_f32_e32 v18, v6, v9
	v_fma_f32 v19, -v8, v18, v6
	v_fmac_f32_e32 v18, v19, v9
	v_fma_f32 v6, -v8, v18, v6
	v_div_fmas_f32 v6, v6, v9, v18
	v_mul_f32_e32 v3, v7, v7
	v_div_fixup_f32 v8, v6, v17, v16
	v_mul_f32_e32 v6, v13, v3
	v_mov_b32_e32 v3, v5
	v_pk_fma_f32 v[4:5], v[6:7], v[8:9], v[2:3] op_sel_hi:[1,0,1]
	v_mov_b64_e32 v[8:9], -1
	v_mov_b32_e32 v13, v17
.LBB22_19:
	s_or_b64 exec, exec, s[6:7]
	v_mov_b32_e32 v16, v13
	v_mov_b64_e32 v[6:7], v[8:9]
	v_mov_b64_e32 v[2:3], v[4:5]
.LBB22_20:
	s_or_b64 exec, exec, s[4:5]
	v_cmp_gt_u32_e32 vcc, 62, v15
	s_nop 1
	v_cndmask_b32_e64 v4, 0, 2, vcc
	v_add_lshl_u32 v13, v4, v14, 2
	s_waitcnt lgkmcnt(4)
	ds_bpermute_b32 v5, v13, v3
	s_waitcnt lgkmcnt(4)
	ds_bpermute_b32 v4, v13, v2
	;; [unrolled: 2-line block ×5, first 2 shown]
	v_cmp_neq_f32_e32 vcc, 0, v16
	s_and_saveexec_b64 s[4:5], vcc
	s_cbranch_execz .LBB22_24
; %bb.21:
	s_waitcnt lgkmcnt(0)
	v_cmp_neq_f32_e32 vcc, 0, v17
	s_and_saveexec_b64 s[6:7], vcc
	s_cbranch_execz .LBB22_23
; %bb.22:
	v_add_f32_e32 v9, v16, v17
	v_div_scale_f32 v8, s[8:9], v9, v9, v17
	v_rcp_f32_e32 v18, v8
	v_pk_add_f32 v[6:7], v[4:5], v[2:3] neg_lo:[0,1] neg_hi:[0,1]
	v_pk_add_f32 v[4:5], v[2:3], v[4:5]
	v_mul_f32_e32 v2, v7, v7
	v_fma_f32 v6, -v8, v18, 1.0
	v_fmac_f32_e32 v18, v6, v18
	v_div_scale_f32 v6, vcc, v17, v9, v17
	v_mul_f32_e32 v19, v6, v18
	v_fma_f32 v20, -v8, v19, v6
	v_fmac_f32_e32 v19, v20, v18
	v_fma_f32 v6, -v8, v19, v6
	v_div_fmas_f32 v6, v6, v18, v19
	v_div_fixup_f32 v8, v6, v9, v17
	v_mul_f32_e32 v6, v16, v2
	v_mov_b32_e32 v5, v3
	v_pk_fma_f32 v[2:3], v[6:7], v[8:9], v[4:5] op_sel_hi:[1,0,1]
	v_mov_b64_e32 v[6:7], -1
	v_mov_b32_e32 v16, v9
.LBB22_23:
	s_or_b64 exec, exec, s[6:7]
	v_mov_b32_e32 v17, v16
	v_mov_b64_e32 v[8:9], v[6:7]
	v_mov_b64_e32 v[4:5], v[2:3]
.LBB22_24:
	s_or_b64 exec, exec, s[4:5]
	v_cmp_ne_u32_e32 vcc, 63, v15
	s_nop 1
	v_addc_co_u32_e32 v2, vcc, 0, v14, vcc
	v_lshlrev_b32_e32 v14, 2, v2
	s_waitcnt lgkmcnt(4)
	ds_bpermute_b32 v3, v14, v5
	s_waitcnt lgkmcnt(4)
	ds_bpermute_b32 v2, v14, v4
	;; [unrolled: 2-line block ×5, first 2 shown]
	v_cmp_neq_f32_e32 vcc, 0, v17
	s_and_saveexec_b64 s[4:5], vcc
	s_cbranch_execz .LBB22_28
; %bb.25:
	s_waitcnt lgkmcnt(0)
	v_cmp_neq_f32_e32 vcc, 0, v15
	s_and_saveexec_b64 s[6:7], vcc
	s_cbranch_execz .LBB22_27
; %bb.26:
	v_add_f32_e32 v16, v17, v15
	v_div_scale_f32 v8, s[8:9], v16, v16, v15
	v_rcp_f32_e32 v9, v8
	v_pk_add_f32 v[6:7], v[2:3], v[4:5] neg_lo:[0,1] neg_hi:[0,1]
	v_pk_add_f32 v[2:3], v[4:5], v[2:3]
	v_fma_f32 v6, -v8, v9, 1.0
	v_fmac_f32_e32 v9, v6, v9
	v_div_scale_f32 v6, vcc, v15, v16, v15
	v_mul_f32_e32 v18, v6, v9
	v_fma_f32 v19, -v8, v18, v6
	v_fmac_f32_e32 v18, v19, v9
	v_fma_f32 v6, -v8, v18, v6
	v_div_fmas_f32 v6, v6, v9, v18
	v_mul_f32_e32 v3, v7, v7
	v_div_fixup_f32 v8, v6, v16, v15
	v_mul_f32_e32 v6, v17, v3
	v_mov_b32_e32 v3, v5
	v_pk_fma_f32 v[4:5], v[6:7], v[8:9], v[2:3] op_sel_hi:[1,0,1]
	v_mov_b64_e32 v[8:9], -1
	v_mov_b32_e32 v17, v16
.LBB22_27:
	s_or_b64 exec, exec, s[6:7]
	v_mov_b32_e32 v15, v17
	v_mov_b64_e32 v[6:7], v[8:9]
	v_mov_b64_e32 v[2:3], v[4:5]
.LBB22_28:
	s_or_b64 exec, exec, s[4:5]
	v_and_b32_e32 v4, 63, v0
	v_cmp_eq_u32_e32 vcc, 0, v4
	s_waitcnt lgkmcnt(0)
	s_barrier
	s_and_saveexec_b64 s[4:5], vcc
	s_cbranch_execz .LBB22_30
; %bb.29:
	v_lshrrev_b32_e32 v5, 6, v0
	v_mul_u32_u24_e32 v5, 24, v5
	v_pk_mov_b32 v[2:3], v[2:3], v[2:3] op_sel:[1,0]
	ds_write2_b64 v5, v[2:3], v[6:7] offset1:1
	ds_write_b32 v5, v15 offset:16
.LBB22_30:
	s_or_b64 exec, exec, s[4:5]
	s_waitcnt lgkmcnt(0)
	s_barrier
	s_load_dword s4, s[0:1], 0x34
	v_mul_u32_u24_e32 v4, 24, v4
	v_mov_b32_e32 v2, 0
	v_mov_b32_e32 v3, 0
	s_waitcnt lgkmcnt(0)
	s_bfe_u32 s4, s4, 0xa0006
	v_cmp_gt_u32_e32 vcc, s4, v0
	s_and_saveexec_b64 s[4:5], vcc
	s_cbranch_execnz .LBB22_36
; %bb.31:
	s_or_b64 exec, exec, s[4:5]
	s_and_saveexec_b64 s[4:5], vcc
	s_cbranch_execnz .LBB22_37
.LBB22_32:
	s_or_b64 exec, exec, s[4:5]
	v_mov_b32_e32 v6, 0
	s_and_saveexec_b64 s[4:5], vcc
	s_cbranch_execnz .LBB22_38
.LBB22_33:
	s_or_b64 exec, exec, s[4:5]
	v_cmp_gt_u32_e32 vcc, 64, v0
	s_and_saveexec_b64 s[4:5], vcc
	s_cbranch_execnz .LBB22_39
.LBB22_34:
	s_or_b64 exec, exec, s[4:5]
	v_cmp_eq_u32_e32 vcc, 0, v0
	s_and_saveexec_b64 s[4:5], vcc
	s_cbranch_execnz .LBB22_64
.LBB22_35:
	s_endpgm
.LBB22_36:
	ds_read_b32 v3, v4
	s_or_b64 exec, exec, s[4:5]
	s_and_saveexec_b64 s[4:5], vcc
	s_cbranch_execz .LBB22_32
.LBB22_37:
	ds_read_b32 v2, v4 offset:4
	s_or_b64 exec, exec, s[4:5]
	v_mov_b32_e32 v6, 0
	s_and_saveexec_b64 s[4:5], vcc
	s_cbranch_execz .LBB22_33
.LBB22_38:
	ds_read_b32 v6, v4 offset:16
	s_or_b64 exec, exec, s[4:5]
	v_cmp_gt_u32_e32 vcc, 64, v0
	s_and_saveexec_b64 s[4:5], vcc
	s_cbranch_execz .LBB22_34
.LBB22_39:
	s_waitcnt lgkmcnt(0)
	ds_bpermute_b32 v5, v10, v3
	ds_bpermute_b32 v4, v10, v2
	ds_bpermute_b32 v7, v10, v6
	v_cmp_neq_f32_e32 vcc, 0, v6
	s_and_saveexec_b64 s[6:7], vcc
	s_cbranch_execz .LBB22_43
; %bb.40:
	s_waitcnt lgkmcnt(0)
	v_cmp_neq_f32_e32 vcc, 0, v7
	s_and_saveexec_b64 s[8:9], vcc
	s_cbranch_execz .LBB22_42
; %bb.41:
	v_add_f32_e32 v10, v6, v7
	v_div_scale_f32 v9, s[10:11], v10, v10, v7
	v_rcp_f32_e32 v15, v9
	v_add_f32_e32 v8, v2, v4
	v_pk_add_f32 v[4:5], v[4:5], v[2:3] neg_lo:[0,1] neg_hi:[0,1]
	v_fma_f32 v2, -v9, v15, 1.0
	v_fmac_f32_e32 v15, v2, v15
	v_div_scale_f32 v2, vcc, v7, v10, v7
	v_mul_f32_e32 v4, v2, v15
	v_fma_f32 v16, -v9, v4, v2
	v_fmac_f32_e32 v4, v16, v15
	v_fma_f32 v2, -v9, v4, v2
	v_div_fmas_f32 v2, v2, v15, v4
	v_div_fixup_f32 v4, v2, v10, v7
	v_mul_f32_e32 v2, v5, v5
	v_mul_f32_e32 v6, v6, v2
	v_mov_b32_e32 v7, v4
	v_mov_b32_e32 v9, v3
	v_pk_fma_f32 v[2:3], v[4:5], v[6:7], v[8:9]
	v_mov_b32_e32 v6, v10
.LBB22_42:
	s_or_b64 exec, exec, s[8:9]
	v_mov_b32_e32 v7, v6
	v_mov_b64_e32 v[4:5], v[2:3]
.LBB22_43:
	s_or_b64 exec, exec, s[6:7]
	s_waitcnt lgkmcnt(2)
	ds_bpermute_b32 v3, v1, v5
	s_waitcnt lgkmcnt(2)
	ds_bpermute_b32 v2, v1, v4
	;; [unrolled: 2-line block ×3, first 2 shown]
	v_cmp_neq_f32_e32 vcc, 0, v7
	s_and_saveexec_b64 s[6:7], vcc
	s_cbranch_execz .LBB22_47
; %bb.44:
	s_waitcnt lgkmcnt(0)
	v_cmp_neq_f32_e32 vcc, 0, v1
	s_and_saveexec_b64 s[8:9], vcc
	s_cbranch_execz .LBB22_46
; %bb.45:
	v_add_f32_e32 v10, v7, v1
	v_div_scale_f32 v6, s[10:11], v10, v10, v1
	v_rcp_f32_e32 v15, v6
	v_pk_add_f32 v[8:9], v[2:3], v[4:5] neg_lo:[0,1] neg_hi:[0,1]
	v_pk_add_f32 v[2:3], v[4:5], v[2:3]
	v_fma_f32 v8, -v6, v15, 1.0
	v_fmac_f32_e32 v15, v8, v15
	v_div_scale_f32 v8, vcc, v1, v10, v1
	v_mul_f32_e32 v16, v8, v15
	v_fma_f32 v17, -v6, v16, v8
	v_fmac_f32_e32 v16, v17, v15
	v_fma_f32 v6, -v6, v16, v8
	v_div_fmas_f32 v6, v6, v15, v16
	v_div_fixup_f32 v6, v6, v10, v1
	v_mul_f32_e32 v1, v9, v9
	v_mul_f32_e32 v8, v7, v1
	v_mov_b32_e32 v3, v5
	v_pk_fma_f32 v[4:5], v[8:9], v[6:7], v[2:3] op_sel_hi:[1,0,1]
	v_mov_b32_e32 v7, v10
.LBB22_46:
	s_or_b64 exec, exec, s[8:9]
	v_mov_b32_e32 v1, v7
	v_mov_b64_e32 v[2:3], v[4:5]
.LBB22_47:
	s_or_b64 exec, exec, s[6:7]
	s_waitcnt lgkmcnt(2)
	ds_bpermute_b32 v5, v11, v3
	s_waitcnt lgkmcnt(2)
	ds_bpermute_b32 v4, v11, v2
	;; [unrolled: 2-line block ×3, first 2 shown]
	v_cmp_neq_f32_e32 vcc, 0, v1
	s_and_saveexec_b64 s[6:7], vcc
	s_cbranch_execz .LBB22_51
; %bb.48:
	s_waitcnt lgkmcnt(0)
	v_cmp_neq_f32_e32 vcc, 0, v6
	s_and_saveexec_b64 s[8:9], vcc
	s_cbranch_execz .LBB22_50
; %bb.49:
	v_add_f32_e32 v7, v1, v6
	v_div_scale_f32 v10, s[10:11], v7, v7, v6
	v_rcp_f32_e32 v11, v10
	v_pk_add_f32 v[8:9], v[4:5], v[2:3] neg_lo:[0,1] neg_hi:[0,1]
	v_pk_add_f32 v[4:5], v[2:3], v[4:5]
	v_mul_f32_e32 v2, v9, v9
	v_fma_f32 v8, -v10, v11, 1.0
	v_fmac_f32_e32 v11, v8, v11
	v_div_scale_f32 v8, vcc, v6, v7, v6
	v_mul_f32_e32 v15, v8, v11
	v_fma_f32 v16, -v10, v15, v8
	v_fmac_f32_e32 v15, v16, v11
	v_fma_f32 v8, -v10, v15, v8
	v_div_fmas_f32 v8, v8, v11, v15
	v_div_fixup_f32 v6, v8, v7, v6
	v_mul_f32_e32 v8, v1, v2
	v_mov_b32_e32 v5, v3
	v_pk_fma_f32 v[2:3], v[8:9], v[6:7], v[4:5] op_sel_hi:[1,0,1]
	v_mov_b32_e32 v1, v7
.LBB22_50:
	s_or_b64 exec, exec, s[8:9]
	v_mov_b32_e32 v6, v1
	v_mov_b64_e32 v[4:5], v[2:3]
.LBB22_51:
	s_or_b64 exec, exec, s[6:7]
	s_waitcnt lgkmcnt(2)
	ds_bpermute_b32 v3, v12, v5
	s_waitcnt lgkmcnt(2)
	ds_bpermute_b32 v2, v12, v4
	;; [unrolled: 2-line block ×3, first 2 shown]
	v_cmp_neq_f32_e32 vcc, 0, v6
	s_and_saveexec_b64 s[6:7], vcc
	s_cbranch_execz .LBB22_55
; %bb.52:
	s_waitcnt lgkmcnt(0)
	v_cmp_neq_f32_e32 vcc, 0, v7
	s_and_saveexec_b64 s[8:9], vcc
	s_cbranch_execz .LBB22_54
; %bb.53:
	v_add_f32_e32 v1, v6, v7
	v_div_scale_f32 v10, s[10:11], v1, v1, v7
	v_rcp_f32_e32 v11, v10
	v_pk_add_f32 v[8:9], v[2:3], v[4:5] neg_lo:[0,1] neg_hi:[0,1]
	v_pk_add_f32 v[2:3], v[4:5], v[2:3]
	v_fma_f32 v8, -v10, v11, 1.0
	v_fmac_f32_e32 v11, v8, v11
	v_div_scale_f32 v8, vcc, v7, v1, v7
	v_mul_f32_e32 v12, v8, v11
	v_fma_f32 v15, -v10, v12, v8
	v_fmac_f32_e32 v12, v15, v11
	v_fma_f32 v8, -v10, v12, v8
	v_div_fmas_f32 v8, v8, v11, v12
	v_mul_f32_e32 v3, v9, v9
	v_div_fixup_f32 v10, v8, v1, v7
	v_mul_f32_e32 v8, v6, v3
	v_mov_b32_e32 v3, v5
	v_pk_fma_f32 v[4:5], v[8:9], v[10:11], v[2:3] op_sel_hi:[1,0,1]
	v_mov_b32_e32 v6, v1
.LBB22_54:
	s_or_b64 exec, exec, s[8:9]
	v_mov_b32_e32 v7, v6
	v_mov_b64_e32 v[2:3], v[4:5]
.LBB22_55:
	s_or_b64 exec, exec, s[6:7]
	s_waitcnt lgkmcnt(2)
	ds_bpermute_b32 v5, v13, v3
	s_waitcnt lgkmcnt(2)
	ds_bpermute_b32 v4, v13, v2
	;; [unrolled: 2-line block ×3, first 2 shown]
	v_cmp_neq_f32_e32 vcc, 0, v7
	s_and_saveexec_b64 s[6:7], vcc
	s_cbranch_execz .LBB22_59
; %bb.56:
	s_waitcnt lgkmcnt(0)
	v_cmp_neq_f32_e32 vcc, 0, v1
	s_and_saveexec_b64 s[8:9], vcc
	s_cbranch_execz .LBB22_58
; %bb.57:
	v_add_f32_e32 v10, v7, v1
	v_div_scale_f32 v6, s[10:11], v10, v10, v1
	v_rcp_f32_e32 v11, v6
	v_pk_add_f32 v[8:9], v[4:5], v[2:3] neg_lo:[0,1] neg_hi:[0,1]
	v_pk_add_f32 v[4:5], v[2:3], v[4:5]
	v_fma_f32 v8, -v6, v11, 1.0
	v_fmac_f32_e32 v11, v8, v11
	v_div_scale_f32 v8, vcc, v1, v10, v1
	v_mul_f32_e32 v12, v8, v11
	v_fma_f32 v13, -v6, v12, v8
	v_fmac_f32_e32 v12, v13, v11
	v_fma_f32 v6, -v6, v12, v8
	v_div_fmas_f32 v6, v6, v11, v12
	v_div_fixup_f32 v6, v6, v10, v1
	v_mul_f32_e32 v1, v9, v9
	v_mul_f32_e32 v8, v7, v1
	v_mov_b32_e32 v5, v3
	v_pk_fma_f32 v[2:3], v[8:9], v[6:7], v[4:5] op_sel_hi:[1,0,1]
	v_mov_b32_e32 v7, v10
.LBB22_58:
	s_or_b64 exec, exec, s[8:9]
	v_mov_b32_e32 v1, v7
	v_mov_b64_e32 v[4:5], v[2:3]
.LBB22_59:
	s_or_b64 exec, exec, s[6:7]
	s_waitcnt lgkmcnt(2)
	ds_bpermute_b32 v3, v14, v5
	s_waitcnt lgkmcnt(2)
	ds_bpermute_b32 v2, v14, v4
	;; [unrolled: 2-line block ×3, first 2 shown]
	v_cmp_neq_f32_e32 vcc, 0, v1
	s_and_saveexec_b64 s[6:7], vcc
	s_cbranch_execz .LBB22_63
; %bb.60:
	s_waitcnt lgkmcnt(0)
	v_cmp_neq_f32_e32 vcc, 0, v6
	s_and_saveexec_b64 s[8:9], vcc
	s_cbranch_execz .LBB22_62
; %bb.61:
	v_add_f32_e32 v7, v1, v6
	v_div_scale_f32 v10, s[10:11], v7, v7, v6
	v_rcp_f32_e32 v11, v10
	v_pk_add_f32 v[8:9], v[2:3], v[4:5] neg_lo:[0,1] neg_hi:[0,1]
	v_pk_add_f32 v[2:3], v[4:5], v[2:3]
	v_fma_f32 v8, -v10, v11, 1.0
	v_fmac_f32_e32 v11, v8, v11
	v_div_scale_f32 v8, vcc, v6, v7, v6
	v_mul_f32_e32 v12, v8, v11
	v_fma_f32 v13, -v10, v12, v8
	v_fmac_f32_e32 v12, v13, v11
	v_fma_f32 v8, -v10, v12, v8
	v_div_fmas_f32 v8, v8, v11, v12
	v_mul_f32_e32 v3, v9, v9
	v_div_fixup_f32 v6, v8, v7, v6
	v_mul_f32_e32 v8, v1, v3
	v_mov_b32_e32 v3, v5
	v_pk_fma_f32 v[4:5], v[8:9], v[6:7], v[2:3] op_sel_hi:[1,0,1]
	v_mov_b32_e32 v1, v7
.LBB22_62:
	s_or_b64 exec, exec, s[8:9]
	v_mov_b64_e32 v[2:3], v[4:5]
	v_mov_b32_e32 v6, v1
.LBB22_63:
	s_or_b64 exec, exec, s[6:7]
	s_or_b64 exec, exec, s[4:5]
	v_cmp_eq_u32_e32 vcc, 0, v0
	s_and_saveexec_b64 s[4:5], vcc
	s_cbranch_execz .LBB22_35
.LBB22_64:
	s_waitcnt lgkmcnt(0)
	v_max_f32_e32 v0, v6, v6
	v_max_f32_e32 v0, 0, v0
	v_div_scale_f32 v1, s[4:5], v0, v0, v2
	v_rcp_f32_e32 v4, v1
	s_load_dword s6, s[0:1], 0x8
	s_load_dwordx2 s[4:5], s[0:1], 0x20
	s_mov_b32 s0, 0x800000
	v_fma_f32 v5, -v1, v4, 1.0
	v_fmac_f32_e32 v4, v5, v4
	v_div_scale_f32 v5, vcc, v2, v0, v2
	v_mul_f32_e32 v6, v5, v4
	v_fma_f32 v7, -v1, v6, v5
	v_fmac_f32_e32 v6, v7, v4
	v_fma_f32 v1, -v1, v6, v5
	v_div_fmas_f32 v1, v1, v4, v6
	v_div_fixup_f32 v0, v1, v0, v2
	v_fmac_f32_e32 v0, v3, v3
	s_waitcnt lgkmcnt(0)
	v_add_f32_e32 v0, s6, v0
	v_mul_f32_e32 v1, 0x4b800000, v0
	v_cmp_gt_f32_e32 vcc, s0, v0
	s_lshl_b64 s[0:1], s[2:3], 2
	s_add_u32 s0, s4, s0
	v_cndmask_b32_e32 v0, v0, v1, vcc
	v_rsq_f32_e32 v0, v0
	s_addc_u32 s1, s5, s1
	v_mul_f32_e32 v1, 0x45800000, v0
	v_cndmask_b32_e32 v0, v0, v1, vcc
	v_mov_b32_e32 v1, 0
	global_store_dword v1, v0, s[0:1]
	s_endpgm
	.section	.rodata,"a",@progbits
	.p2align	6, 0x0
	.amdhsa_kernel _ZN2at6native12_GLOBAL__N_124RowwiseMomentsCUDAKernelIN3c108BFloat16EfLb1EEEvlT0_PKT_PS5_S9_
		.amdhsa_group_segment_fixed_size 1536
		.amdhsa_private_segment_fixed_size 0
		.amdhsa_kernarg_size 296
		.amdhsa_user_sgpr_count 2
		.amdhsa_user_sgpr_dispatch_ptr 0
		.amdhsa_user_sgpr_queue_ptr 0
		.amdhsa_user_sgpr_kernarg_segment_ptr 1
		.amdhsa_user_sgpr_dispatch_id 0
		.amdhsa_user_sgpr_kernarg_preload_length 0
		.amdhsa_user_sgpr_kernarg_preload_offset 0
		.amdhsa_user_sgpr_private_segment_size 0
		.amdhsa_uses_dynamic_stack 0
		.amdhsa_enable_private_segment 0
		.amdhsa_system_sgpr_workgroup_id_x 1
		.amdhsa_system_sgpr_workgroup_id_y 0
		.amdhsa_system_sgpr_workgroup_id_z 0
		.amdhsa_system_sgpr_workgroup_info 0
		.amdhsa_system_vgpr_workitem_id 0
		.amdhsa_next_free_vgpr 21
		.amdhsa_next_free_sgpr 19
		.amdhsa_accum_offset 24
		.amdhsa_reserve_vcc 1
		.amdhsa_float_round_mode_32 0
		.amdhsa_float_round_mode_16_64 0
		.amdhsa_float_denorm_mode_32 3
		.amdhsa_float_denorm_mode_16_64 3
		.amdhsa_dx10_clamp 1
		.amdhsa_ieee_mode 1
		.amdhsa_fp16_overflow 0
		.amdhsa_tg_split 0
		.amdhsa_exception_fp_ieee_invalid_op 0
		.amdhsa_exception_fp_denorm_src 0
		.amdhsa_exception_fp_ieee_div_zero 0
		.amdhsa_exception_fp_ieee_overflow 0
		.amdhsa_exception_fp_ieee_underflow 0
		.amdhsa_exception_fp_ieee_inexact 0
		.amdhsa_exception_int_div_zero 0
	.end_amdhsa_kernel
	.section	.text._ZN2at6native12_GLOBAL__N_124RowwiseMomentsCUDAKernelIN3c108BFloat16EfLb1EEEvlT0_PKT_PS5_S9_,"axG",@progbits,_ZN2at6native12_GLOBAL__N_124RowwiseMomentsCUDAKernelIN3c108BFloat16EfLb1EEEvlT0_PKT_PS5_S9_,comdat
.Lfunc_end22:
	.size	_ZN2at6native12_GLOBAL__N_124RowwiseMomentsCUDAKernelIN3c108BFloat16EfLb1EEEvlT0_PKT_PS5_S9_, .Lfunc_end22-_ZN2at6native12_GLOBAL__N_124RowwiseMomentsCUDAKernelIN3c108BFloat16EfLb1EEEvlT0_PKT_PS5_S9_
                                        ; -- End function
	.set _ZN2at6native12_GLOBAL__N_124RowwiseMomentsCUDAKernelIN3c108BFloat16EfLb1EEEvlT0_PKT_PS5_S9_.num_vgpr, 21
	.set _ZN2at6native12_GLOBAL__N_124RowwiseMomentsCUDAKernelIN3c108BFloat16EfLb1EEEvlT0_PKT_PS5_S9_.num_agpr, 0
	.set _ZN2at6native12_GLOBAL__N_124RowwiseMomentsCUDAKernelIN3c108BFloat16EfLb1EEEvlT0_PKT_PS5_S9_.numbered_sgpr, 19
	.set _ZN2at6native12_GLOBAL__N_124RowwiseMomentsCUDAKernelIN3c108BFloat16EfLb1EEEvlT0_PKT_PS5_S9_.num_named_barrier, 0
	.set _ZN2at6native12_GLOBAL__N_124RowwiseMomentsCUDAKernelIN3c108BFloat16EfLb1EEEvlT0_PKT_PS5_S9_.private_seg_size, 0
	.set _ZN2at6native12_GLOBAL__N_124RowwiseMomentsCUDAKernelIN3c108BFloat16EfLb1EEEvlT0_PKT_PS5_S9_.uses_vcc, 1
	.set _ZN2at6native12_GLOBAL__N_124RowwiseMomentsCUDAKernelIN3c108BFloat16EfLb1EEEvlT0_PKT_PS5_S9_.uses_flat_scratch, 0
	.set _ZN2at6native12_GLOBAL__N_124RowwiseMomentsCUDAKernelIN3c108BFloat16EfLb1EEEvlT0_PKT_PS5_S9_.has_dyn_sized_stack, 0
	.set _ZN2at6native12_GLOBAL__N_124RowwiseMomentsCUDAKernelIN3c108BFloat16EfLb1EEEvlT0_PKT_PS5_S9_.has_recursion, 0
	.set _ZN2at6native12_GLOBAL__N_124RowwiseMomentsCUDAKernelIN3c108BFloat16EfLb1EEEvlT0_PKT_PS5_S9_.has_indirect_call, 0
	.section	.AMDGPU.csdata,"",@progbits
; Kernel info:
; codeLenInByte = 3444
; TotalNumSgprs: 25
; NumVgprs: 21
; NumAgprs: 0
; TotalNumVgprs: 21
; ScratchSize: 0
; MemoryBound: 0
; FloatMode: 240
; IeeeMode: 1
; LDSByteSize: 1536 bytes/workgroup (compile time only)
; SGPRBlocks: 3
; VGPRBlocks: 2
; NumSGPRsForWavesPerEU: 25
; NumVGPRsForWavesPerEU: 21
; AccumOffset: 24
; Occupancy: 8
; WaveLimiterHint : 0
; COMPUTE_PGM_RSRC2:SCRATCH_EN: 0
; COMPUTE_PGM_RSRC2:USER_SGPR: 2
; COMPUTE_PGM_RSRC2:TRAP_HANDLER: 0
; COMPUTE_PGM_RSRC2:TGID_X_EN: 1
; COMPUTE_PGM_RSRC2:TGID_Y_EN: 0
; COMPUTE_PGM_RSRC2:TGID_Z_EN: 0
; COMPUTE_PGM_RSRC2:TIDIG_COMP_CNT: 0
; COMPUTE_PGM_RSRC3_GFX90A:ACCUM_OFFSET: 5
; COMPUTE_PGM_RSRC3_GFX90A:TG_SPLIT: 0
	.section	.text._ZN2at6native12_GLOBAL__N_126LayerNormForwardCUDAKernelIN3c108BFloat16EfLb1EEEvlPKT_PKT0_SA_S7_S7_PS5_,"axG",@progbits,_ZN2at6native12_GLOBAL__N_126LayerNormForwardCUDAKernelIN3c108BFloat16EfLb1EEEvlPKT_PKT0_SA_S7_S7_PS5_,comdat
	.globl	_ZN2at6native12_GLOBAL__N_126LayerNormForwardCUDAKernelIN3c108BFloat16EfLb1EEEvlPKT_PKT0_SA_S7_S7_PS5_ ; -- Begin function _ZN2at6native12_GLOBAL__N_126LayerNormForwardCUDAKernelIN3c108BFloat16EfLb1EEEvlPKT_PKT0_SA_S7_S7_PS5_
	.p2align	8
	.type	_ZN2at6native12_GLOBAL__N_126LayerNormForwardCUDAKernelIN3c108BFloat16EfLb1EEEvlPKT_PKT0_SA_S7_S7_PS5_,@function
_ZN2at6native12_GLOBAL__N_126LayerNormForwardCUDAKernelIN3c108BFloat16EfLb1EEEvlPKT_PKT0_SA_S7_S7_PS5_: ; @_ZN2at6native12_GLOBAL__N_126LayerNormForwardCUDAKernelIN3c108BFloat16EfLb1EEEvlPKT_PKT0_SA_S7_S7_PS5_
; %bb.0:
	s_load_dwordx4 s[4:7], s[0:1], 0x0
	v_mov_b32_e32 v1, 0
	s_waitcnt lgkmcnt(0)
	v_cmp_gt_i64_e32 vcc, s[4:5], v[0:1]
	s_and_saveexec_b64 s[8:9], vcc
	s_cbranch_execz .LBB23_6
; %bb.1:
	s_load_dwordx4 s[8:11], s[0:1], 0x18
	s_load_dwordx2 s[14:15], s[0:1], 0x30
	s_load_dword s18, s[0:1], 0x44
	s_mov_b32 s3, 0
	s_mov_b64 s[12:13], 0
	s_waitcnt lgkmcnt(0)
	s_cmp_lg_u64 s[10:11], 0
	s_cselect_b64 s[0:1], -1, 0
	s_lshl_b64 s[16:17], s[2:3], 2
	s_add_u32 s8, s8, s16
	s_addc_u32 s9, s9, s17
	s_load_dword s16, s[8:9], 0x0
	s_and_b32 s8, s18, 0xffff
	s_mul_i32 s17, s5, s2
	s_mul_hi_u32 s18, s4, s2
	s_add_i32 s19, s18, s17
	s_mul_i32 s18, s4, s2
	s_lshl_b64 s[18:19], s[18:19], 1
	s_add_u32 s6, s6, s18
	s_addc_u32 s7, s7, s19
	s_lshl_b32 s2, s8, 1
	s_add_u32 s14, s14, s18
	v_cndmask_b32_e64 v4, 0, 1, s[0:1]
	s_mov_b32 s9, s3
	v_lshlrev_b32_e32 v2, 1, v0
	v_mov_b32_e32 v3, v1
	s_addc_u32 s15, s15, s19
	v_cmp_ne_u32_e64 s[0:1], 1, v4
	s_movk_i32 s17, 0x7fff
	v_mov_b32_e32 v4, 0x7fc0
	s_branch .LBB23_4
.LBB23_2:                               ;   in Loop: Header=BB23_4 Depth=1
	v_lshl_add_u64 v[6:7], s[10:11], 0, v[2:3]
	global_load_ushort v5, v[6:7], off
	s_waitcnt vmcnt(0)
	v_lshlrev_b32_e32 v5, 16, v5
.LBB23_3:                               ;   in Loop: Header=BB23_4 Depth=1
	v_lshl_add_u64 v[6:7], s[6:7], 0, v[2:3]
	global_load_ushort v8, v[6:7], off
	v_lshl_add_u64 v[0:1], v[0:1], 0, s[8:9]
	v_cmp_le_i64_e32 vcc, s[4:5], v[0:1]
	s_or_b64 s[12:13], vcc, s[12:13]
	v_lshl_add_u64 v[6:7], s[14:15], 0, v[2:3]
	v_lshl_add_u64 v[2:3], v[2:3], 0, s[2:3]
	s_waitcnt vmcnt(0)
	v_lshlrev_b32_e32 v8, 16, v8
	s_waitcnt lgkmcnt(0)
	v_mul_f32_e32 v8, s16, v8
	v_mul_f32_e32 v5, v5, v8
	v_bfe_u32 v8, v5, 16, 1
	v_cmp_o_f32_e32 vcc, v5, v5
	v_add3_u32 v5, v5, v8, s17
	s_nop 0
	v_cndmask_b32_sdwa v5, v4, v5, vcc dst_sel:DWORD dst_unused:UNUSED_PAD src0_sel:DWORD src1_sel:WORD_1
	global_store_short v[6:7], v5, off
	s_andn2_b64 exec, exec, s[12:13]
	s_cbranch_execz .LBB23_6
.LBB23_4:                               ; =>This Inner Loop Header: Depth=1
	s_and_b64 vcc, exec, s[0:1]
	s_cbranch_vccz .LBB23_2
; %bb.5:                                ;   in Loop: Header=BB23_4 Depth=1
	v_mov_b32_e32 v5, 1.0
	s_branch .LBB23_3
.LBB23_6:
	s_endpgm
	.section	.rodata,"a",@progbits
	.p2align	6, 0x0
	.amdhsa_kernel _ZN2at6native12_GLOBAL__N_126LayerNormForwardCUDAKernelIN3c108BFloat16EfLb1EEEvlPKT_PKT0_SA_S7_S7_PS5_
		.amdhsa_group_segment_fixed_size 0
		.amdhsa_private_segment_fixed_size 0
		.amdhsa_kernarg_size 312
		.amdhsa_user_sgpr_count 2
		.amdhsa_user_sgpr_dispatch_ptr 0
		.amdhsa_user_sgpr_queue_ptr 0
		.amdhsa_user_sgpr_kernarg_segment_ptr 1
		.amdhsa_user_sgpr_dispatch_id 0
		.amdhsa_user_sgpr_kernarg_preload_length 0
		.amdhsa_user_sgpr_kernarg_preload_offset 0
		.amdhsa_user_sgpr_private_segment_size 0
		.amdhsa_uses_dynamic_stack 0
		.amdhsa_enable_private_segment 0
		.amdhsa_system_sgpr_workgroup_id_x 1
		.amdhsa_system_sgpr_workgroup_id_y 0
		.amdhsa_system_sgpr_workgroup_id_z 0
		.amdhsa_system_sgpr_workgroup_info 0
		.amdhsa_system_vgpr_workitem_id 0
		.amdhsa_next_free_vgpr 9
		.amdhsa_next_free_sgpr 20
		.amdhsa_accum_offset 12
		.amdhsa_reserve_vcc 1
		.amdhsa_float_round_mode_32 0
		.amdhsa_float_round_mode_16_64 0
		.amdhsa_float_denorm_mode_32 3
		.amdhsa_float_denorm_mode_16_64 3
		.amdhsa_dx10_clamp 1
		.amdhsa_ieee_mode 1
		.amdhsa_fp16_overflow 0
		.amdhsa_tg_split 0
		.amdhsa_exception_fp_ieee_invalid_op 0
		.amdhsa_exception_fp_denorm_src 0
		.amdhsa_exception_fp_ieee_div_zero 0
		.amdhsa_exception_fp_ieee_overflow 0
		.amdhsa_exception_fp_ieee_underflow 0
		.amdhsa_exception_fp_ieee_inexact 0
		.amdhsa_exception_int_div_zero 0
	.end_amdhsa_kernel
	.section	.text._ZN2at6native12_GLOBAL__N_126LayerNormForwardCUDAKernelIN3c108BFloat16EfLb1EEEvlPKT_PKT0_SA_S7_S7_PS5_,"axG",@progbits,_ZN2at6native12_GLOBAL__N_126LayerNormForwardCUDAKernelIN3c108BFloat16EfLb1EEEvlPKT_PKT0_SA_S7_S7_PS5_,comdat
.Lfunc_end23:
	.size	_ZN2at6native12_GLOBAL__N_126LayerNormForwardCUDAKernelIN3c108BFloat16EfLb1EEEvlPKT_PKT0_SA_S7_S7_PS5_, .Lfunc_end23-_ZN2at6native12_GLOBAL__N_126LayerNormForwardCUDAKernelIN3c108BFloat16EfLb1EEEvlPKT_PKT0_SA_S7_S7_PS5_
                                        ; -- End function
	.set _ZN2at6native12_GLOBAL__N_126LayerNormForwardCUDAKernelIN3c108BFloat16EfLb1EEEvlPKT_PKT0_SA_S7_S7_PS5_.num_vgpr, 9
	.set _ZN2at6native12_GLOBAL__N_126LayerNormForwardCUDAKernelIN3c108BFloat16EfLb1EEEvlPKT_PKT0_SA_S7_S7_PS5_.num_agpr, 0
	.set _ZN2at6native12_GLOBAL__N_126LayerNormForwardCUDAKernelIN3c108BFloat16EfLb1EEEvlPKT_PKT0_SA_S7_S7_PS5_.numbered_sgpr, 20
	.set _ZN2at6native12_GLOBAL__N_126LayerNormForwardCUDAKernelIN3c108BFloat16EfLb1EEEvlPKT_PKT0_SA_S7_S7_PS5_.num_named_barrier, 0
	.set _ZN2at6native12_GLOBAL__N_126LayerNormForwardCUDAKernelIN3c108BFloat16EfLb1EEEvlPKT_PKT0_SA_S7_S7_PS5_.private_seg_size, 0
	.set _ZN2at6native12_GLOBAL__N_126LayerNormForwardCUDAKernelIN3c108BFloat16EfLb1EEEvlPKT_PKT0_SA_S7_S7_PS5_.uses_vcc, 1
	.set _ZN2at6native12_GLOBAL__N_126LayerNormForwardCUDAKernelIN3c108BFloat16EfLb1EEEvlPKT_PKT0_SA_S7_S7_PS5_.uses_flat_scratch, 0
	.set _ZN2at6native12_GLOBAL__N_126LayerNormForwardCUDAKernelIN3c108BFloat16EfLb1EEEvlPKT_PKT0_SA_S7_S7_PS5_.has_dyn_sized_stack, 0
	.set _ZN2at6native12_GLOBAL__N_126LayerNormForwardCUDAKernelIN3c108BFloat16EfLb1EEEvlPKT_PKT0_SA_S7_S7_PS5_.has_recursion, 0
	.set _ZN2at6native12_GLOBAL__N_126LayerNormForwardCUDAKernelIN3c108BFloat16EfLb1EEEvlPKT_PKT0_SA_S7_S7_PS5_.has_indirect_call, 0
	.section	.AMDGPU.csdata,"",@progbits
; Kernel info:
; codeLenInByte = 344
; TotalNumSgprs: 26
; NumVgprs: 9
; NumAgprs: 0
; TotalNumVgprs: 9
; ScratchSize: 0
; MemoryBound: 0
; FloatMode: 240
; IeeeMode: 1
; LDSByteSize: 0 bytes/workgroup (compile time only)
; SGPRBlocks: 3
; VGPRBlocks: 1
; NumSGPRsForWavesPerEU: 26
; NumVGPRsForWavesPerEU: 9
; AccumOffset: 12
; Occupancy: 8
; WaveLimiterHint : 0
; COMPUTE_PGM_RSRC2:SCRATCH_EN: 0
; COMPUTE_PGM_RSRC2:USER_SGPR: 2
; COMPUTE_PGM_RSRC2:TRAP_HANDLER: 0
; COMPUTE_PGM_RSRC2:TGID_X_EN: 1
; COMPUTE_PGM_RSRC2:TGID_Y_EN: 0
; COMPUTE_PGM_RSRC2:TGID_Z_EN: 0
; COMPUTE_PGM_RSRC2:TIDIG_COMP_CNT: 0
; COMPUTE_PGM_RSRC3_GFX90A:ACCUM_OFFSET: 2
; COMPUTE_PGM_RSRC3_GFX90A:TG_SPLIT: 0
	.section	.text._ZN2at6native12_GLOBAL__N_118cuComputeGradInputIddLb0EEEvPKT_S5_llPKT0_S8_S5_PS3_,"axG",@progbits,_ZN2at6native12_GLOBAL__N_118cuComputeGradInputIddLb0EEEvPKT_S5_llPKT0_S8_S5_PS3_,comdat
	.globl	_ZN2at6native12_GLOBAL__N_118cuComputeGradInputIddLb0EEEvPKT_S5_llPKT0_S8_S5_PS3_ ; -- Begin function _ZN2at6native12_GLOBAL__N_118cuComputeGradInputIddLb0EEEvPKT_S5_llPKT0_S8_S5_PS3_
	.p2align	8
	.type	_ZN2at6native12_GLOBAL__N_118cuComputeGradInputIddLb0EEEvPKT_S5_llPKT0_S8_S5_PS3_,@function
_ZN2at6native12_GLOBAL__N_118cuComputeGradInputIddLb0EEEvPKT_S5_llPKT0_S8_S5_PS3_: ; @_ZN2at6native12_GLOBAL__N_118cuComputeGradInputIddLb0EEEvPKT_S5_llPKT0_S8_S5_PS3_
; %bb.0:
	s_load_dwordx4 s[24:27], s[0:1], 0x10
	s_mov_b32 s14, s3
	s_ashr_i32 s15, s3, 31
	v_mov_b64_e32 v[2:3], s[14:15]
	s_waitcnt lgkmcnt(0)
	v_cmp_le_i64_e32 vcc, s[24:25], v[2:3]
	s_cbranch_vccnz .LBB24_49
; %bb.1:
	v_and_b32_e32 v20, 0x3ff, v0
	v_bfe_u32 v21, v0, 10, 10
	v_cvt_f64_i32_e32 v[0:1], s27
	v_ldexp_f64 v[0:1], v[0:1], 32
	v_cvt_f64_u32_e32 v[2:3], s26
	v_add_f64 v[6:7], v[0:1], v[2:3]
	s_load_dword s2, s[0:1], 0x4c
	s_load_dword s33, s[0:1], 0x44
	s_load_dwordx4 s[28:31], s[0:1], 0x0
	s_load_dwordx8 s[16:23], s[0:1], 0x20
	v_div_scale_f64 v[0:1], s[0:1], v[6:7], v[6:7], 1.0
	v_rcp_f64_e32 v[2:3], v[0:1]
	s_waitcnt lgkmcnt(0)
	s_lshr_b32 s50, s2, 16
	s_and_b32 s51, s2, 0xffff
	s_cmp_lg_u64 s[20:21], 0
	v_fma_f64 v[8:9], -v[0:1], v[2:3], 1.0
	v_fmac_f64_e32 v[2:3], v[2:3], v[8:9]
	v_fma_f64 v[8:9], -v[0:1], v[2:3], 1.0
	v_fmac_f64_e32 v[2:3], v[2:3], v[8:9]
	v_div_scale_f64 v[8:9], vcc, 1.0, v[6:7], 1.0
	v_mul_f64 v[10:11], v[8:9], v[2:3]
	s_cselect_b64 s[6:7], -1, 0
	s_cmp_gt_u32 s51, 1
	v_fma_f64 v[0:1], -v[0:1], v[10:11], v[8:9]
	s_mul_i32 s34, s50, s51
	v_mad_u32_u24 v4, v21, s51, v20
	s_cselect_b64 s[36:37], -1, 0
	s_cmp_gt_u32 s50, 1
	v_div_fmas_f64 v[0:1], v[0:1], v[2:3], v[10:11]
	s_cselect_b64 s[38:39], -1, 0
	v_div_fixup_f64 v[8:9], v[0:1], v[6:7], 1.0
	v_add_u32_e32 v0, s34, v4
	s_ashr_i32 s35, s34, 31
	v_ashrrev_i32_e32 v1, 31, v0
	v_mov_b32_e32 v2, s35
	v_subrev_co_u32_e32 v10, vcc, s34, v0
	v_cndmask_b32_e64 v0, 0, 1, s[6:7]
	v_cmp_gt_i64_e64 s[6:7], s[26:27], 0
	v_lshlrev_b32_e32 v12, 4, v4
	v_lshlrev_b32_e32 v13, 4, v20
	v_mov_b32_e32 v5, 0
	v_subb_co_u32_e32 v11, vcc, v1, v2, vcc
	v_cndmask_b32_e64 v1, 0, 1, s[6:7]
	v_cmp_ne_u32_e64 s[6:7], 1, v0
	v_mbcnt_lo_u32_b32 v0, -1, 0
	v_cmp_eq_u32_e64 s[0:1], 0, v21
	v_cmp_ne_u32_e64 s[2:3], 0, v21
	v_cmp_gt_i64_e64 s[4:5], s[26:27], v[4:5]
	v_add_u32_e32 v22, 0, v12
	v_cmp_ne_u32_e64 s[8:9], 1, v1
	v_mbcnt_hi_u32_b32 v23, -1, v0
	v_add_u32_e32 v24, 0, v13
	s_branch .LBB24_4
.LBB24_2:                               ;   in Loop: Header=BB24_4 Depth=1
	s_or_b64 exec, exec, s[12:13]
.LBB24_3:                               ;   in Loop: Header=BB24_4 Depth=1
	s_add_i32 s14, s33, s14
	s_ashr_i32 s15, s14, 31
	v_mov_b64_e32 v[0:1], s[14:15]
	v_cmp_le_i64_e32 vcc, s[24:25], v[0:1]
	s_barrier
	s_cbranch_vccnz .LBB24_49
.LBB24_4:                               ; =>This Loop Header: Depth=1
                                        ;     Child Loop BB24_8 Depth 2
                                        ;     Child Loop BB24_20 Depth 2
                                        ;     Child Loop BB24_27 Depth 2
                                        ;     Child Loop BB24_29 Depth 2
                                        ;     Child Loop BB24_43 Depth 2
                                        ;     Child Loop BB24_48 Depth 2
	s_mul_i32 s10, s14, s27
	s_mul_hi_u32 s11, s14, s26
	s_add_i32 s10, s11, s10
	s_mul_i32 s11, s15, s26
	s_add_i32 s11, s10, s11
	s_lshl_b64 s[12:13], s[14:15], 3
	s_add_u32 s40, s16, s12
	s_addc_u32 s41, s17, s13
	s_add_u32 s12, s18, s12
	s_mul_i32 s10, s14, s26
	s_addc_u32 s13, s19, s13
	s_load_dwordx2 s[40:41], s[40:41], 0x0
	s_lshl_b64 s[48:49], s[10:11], 3
	s_load_dwordx2 s[42:43], s[12:13], 0x0
	s_add_u32 s44, s30, s48
	s_addc_u32 s45, s31, s49
	s_add_u32 s46, s28, s48
	s_addc_u32 s47, s29, s49
	s_and_b64 vcc, exec, s[6:7]
	s_cbranch_vccnz .LBB24_14
; %bb.5:                                ;   in Loop: Header=BB24_4 Depth=1
	s_and_b64 vcc, exec, s[8:9]
	s_cbranch_vccnz .LBB24_15
; %bb.6:                                ;   in Loop: Header=BB24_4 Depth=1
	v_mov_b64_e32 v[0:1], 0
	s_mov_b32 s12, 0
	v_mov_b64_e32 v[2:3], v[0:1]
	s_branch .LBB24_8
.LBB24_7:                               ;   in Loop: Header=BB24_8 Depth=2
	s_or_b64 exec, exec, s[10:11]
	s_waitcnt vmcnt(0)
	v_mul_f64 v[14:15], v[12:13], v[18:19]
	v_fmac_f64_e32 v[0:1], v[12:13], v[18:19]
	s_waitcnt lgkmcnt(0)
	v_add_f64 v[12:13], v[16:17], -s[40:41]
	s_add_i32 s12, s12, s34
	v_mul_f64 v[12:13], v[12:13], v[14:15]
	s_ashr_i32 s10, s12, 31
	v_fmac_f64_e32 v[2:3], s[42:43], v[12:13]
	v_mov_b32_e32 v12, s12
	v_mov_b32_e32 v13, s10
	v_cmp_le_i64_e32 vcc, s[26:27], v[12:13]
	s_cbranch_vccnz .LBB24_16
.LBB24_8:                               ;   Parent Loop BB24_4 Depth=1
                                        ; =>  This Inner Loop Header: Depth=2
	v_add_u32_e32 v14, s12, v4
	v_ashrrev_i32_e32 v15, 31, v14
	v_cmp_gt_i64_e32 vcc, s[26:27], v[14:15]
	v_mov_b64_e32 v[12:13], 0
	s_and_saveexec_b64 s[10:11], vcc
	s_cbranch_execz .LBB24_10
; %bb.9:                                ;   in Loop: Header=BB24_8 Depth=2
	v_lshl_add_u64 v[12:13], v[14:15], 3, s[20:21]
	global_load_dwordx2 v[12:13], v[12:13], off
.LBB24_10:                              ;   in Loop: Header=BB24_8 Depth=2
	s_or_b64 exec, exec, s[10:11]
	v_mov_b64_e32 v[18:19], 0
	v_mov_b64_e32 v[16:17], 0
	s_and_saveexec_b64 s[10:11], vcc
	s_cbranch_execz .LBB24_12
; %bb.11:                               ;   in Loop: Header=BB24_8 Depth=2
	v_lshl_add_u64 v[16:17], v[14:15], 3, s[44:45]
	global_load_dwordx2 v[16:17], v[16:17], off
.LBB24_12:                              ;   in Loop: Header=BB24_8 Depth=2
	s_or_b64 exec, exec, s[10:11]
	s_and_saveexec_b64 s[10:11], vcc
	s_cbranch_execz .LBB24_7
; %bb.13:                               ;   in Loop: Header=BB24_8 Depth=2
	v_lshl_add_u64 v[14:15], v[14:15], 3, s[46:47]
	global_load_dwordx2 v[18:19], v[14:15], off
	s_branch .LBB24_7
.LBB24_14:                              ;   in Loop: Header=BB24_4 Depth=1
                                        ; implicit-def: $vgpr0_vgpr1
	s_branch .LBB24_17
.LBB24_15:                              ;   in Loop: Header=BB24_4 Depth=1
	v_mov_b64_e32 v[0:1], 0
	v_mov_b64_e32 v[2:3], v[0:1]
.LBB24_16:                              ;   in Loop: Header=BB24_4 Depth=1
	s_cbranch_execnz .LBB24_25
.LBB24_17:                              ;   in Loop: Header=BB24_4 Depth=1
	s_and_b64 vcc, exec, s[8:9]
	s_cbranch_vccnz .LBB24_24
; %bb.18:                               ;   in Loop: Header=BB24_4 Depth=1
	v_mov_b64_e32 v[0:1], 0
	s_mov_b32 s12, 0
	v_mov_b64_e32 v[2:3], v[0:1]
	s_branch .LBB24_20
.LBB24_19:                              ;   in Loop: Header=BB24_20 Depth=2
	s_or_b64 exec, exec, s[10:11]
	s_waitcnt vmcnt(0) lgkmcnt(0)
	v_add_f64 v[12:13], v[14:15], -s[40:41]
	s_add_i32 s12, s12, s34
	v_mul_f64 v[12:13], v[12:13], v[16:17]
	s_ashr_i32 s10, s12, 31
	v_fmac_f64_e32 v[2:3], s[42:43], v[12:13]
	v_mov_b32_e32 v12, s12
	v_mov_b32_e32 v13, s10
	v_cmp_le_i64_e32 vcc, s[26:27], v[12:13]
	v_add_f64 v[0:1], v[0:1], v[16:17]
	s_cbranch_vccnz .LBB24_25
.LBB24_20:                              ;   Parent Loop BB24_4 Depth=1
                                        ; =>  This Inner Loop Header: Depth=2
	v_add_u32_e32 v12, s12, v4
	v_ashrrev_i32_e32 v13, 31, v12
	v_cmp_gt_i64_e32 vcc, s[26:27], v[12:13]
	v_mov_b64_e32 v[14:15], 0
	s_and_saveexec_b64 s[10:11], vcc
	s_cbranch_execz .LBB24_22
; %bb.21:                               ;   in Loop: Header=BB24_20 Depth=2
	v_lshl_add_u64 v[14:15], v[12:13], 3, s[44:45]
	global_load_dwordx2 v[14:15], v[14:15], off
.LBB24_22:                              ;   in Loop: Header=BB24_20 Depth=2
	s_or_b64 exec, exec, s[10:11]
	v_mov_b64_e32 v[16:17], 0
	s_and_saveexec_b64 s[10:11], vcc
	s_cbranch_execz .LBB24_19
; %bb.23:                               ;   in Loop: Header=BB24_20 Depth=2
	v_lshl_add_u64 v[12:13], v[12:13], 3, s[46:47]
	global_load_dwordx2 v[16:17], v[12:13], off
	s_branch .LBB24_19
.LBB24_24:                              ;   in Loop: Header=BB24_4 Depth=1
	v_mov_b64_e32 v[0:1], 0
	v_mov_b64_e32 v[2:3], v[0:1]
.LBB24_25:                              ;   in Loop: Header=BB24_4 Depth=1
	s_andn2_b64 vcc, exec, s[36:37]
	s_cbranch_vccnz .LBB24_28
; %bb.26:                               ;   in Loop: Header=BB24_4 Depth=1
	v_and_b32_e32 v12, 64, v23
	v_add_u32_e32 v12, 64, v12
	s_mov_b32 s10, s51
.LBB24_27:                              ;   Parent Loop BB24_4 Depth=1
                                        ; =>  This Inner Loop Header: Depth=2
	s_lshr_b32 s11, s10, 1
	v_xor_b32_e32 v13, s11, v23
	v_cmp_lt_i32_e32 vcc, v13, v12
	s_cmp_lt_u32 s10, 4
	s_mov_b32 s10, s11
	v_cndmask_b32_e32 v13, v23, v13, vcc
	v_lshlrev_b32_e32 v13, 2, v13
	ds_bpermute_b32 v14, v13, v0
	ds_bpermute_b32 v15, v13, v1
	;; [unrolled: 1-line block ×4, first 2 shown]
	s_waitcnt lgkmcnt(0)
	v_add_f64 v[0:1], v[0:1], v[14:15]
	v_add_f64 v[2:3], v[2:3], v[16:17]
	s_cbranch_scc0 .LBB24_27
.LBB24_28:                              ;   in Loop: Header=BB24_4 Depth=1
	s_andn2_b64 vcc, exec, s[38:39]
	s_mov_b32 s15, s50
	s_cbranch_vccnz .LBB24_40
.LBB24_29:                              ;   Parent Loop BB24_4 Depth=1
                                        ; =>  This Inner Loop Header: Depth=2
	s_lshr_b32 s52, s15, 1
	s_and_b32 s12, s15, 0xfffe
	v_cmp_le_u32_e64 s[10:11], s52, v21
	v_cmp_gt_u32_e64 s[12:13], s12, v21
	v_cmp_gt_u32_e32 vcc, s52, v21
	s_and_b64 s[12:13], s[10:11], s[12:13]
	s_and_saveexec_b64 s[10:11], s[12:13]
; %bb.30:                               ;   in Loop: Header=BB24_29 Depth=2
	v_subrev_u32_e32 v12, s52, v21
	v_mad_u32_u24 v12, v12, s51, v20
	v_lshl_add_u32 v12, v12, 4, 0
	ds_write2_b64 v12, v[0:1], v[2:3] offset1:1
; %bb.31:                               ;   in Loop: Header=BB24_29 Depth=2
	s_or_b64 exec, exec, s[10:11]
	s_waitcnt lgkmcnt(0)
	s_barrier
	s_and_saveexec_b64 s[10:11], vcc
	s_cbranch_execz .LBB24_33
; %bb.32:                               ;   in Loop: Header=BB24_29 Depth=2
	ds_read2_b64 v[12:15], v22 offset1:1
	s_waitcnt lgkmcnt(0)
	v_add_f64 v[0:1], v[0:1], v[12:13]
	v_add_f64 v[2:3], v[2:3], v[14:15]
.LBB24_33:                              ;   in Loop: Header=BB24_29 Depth=2
	s_or_b64 exec, exec, s[10:11]
	s_cmp_lt_u32 s15, 4
	s_barrier
	s_cbranch_scc1 .LBB24_35
; %bb.34:                               ;   in Loop: Header=BB24_29 Depth=2
	s_mov_b32 s15, s52
	s_branch .LBB24_29
.LBB24_35:                              ;   in Loop: Header=BB24_4 Depth=1
	s_and_saveexec_b64 s[10:11], s[0:1]
; %bb.36:                               ;   in Loop: Header=BB24_4 Depth=1
	ds_write2_b64 v24, v[0:1], v[2:3] offset1:1
; %bb.37:                               ;   in Loop: Header=BB24_4 Depth=1
	s_or_b64 exec, exec, s[10:11]
	s_waitcnt lgkmcnt(0)
	s_barrier
	s_and_saveexec_b64 s[10:11], s[2:3]
; %bb.38:                               ;   in Loop: Header=BB24_4 Depth=1
	ds_read2_b64 v[0:3], v24 offset1:1
; %bb.39:                               ;   in Loop: Header=BB24_4 Depth=1
	s_or_b64 exec, exec, s[10:11]
.LBB24_40:                              ;   in Loop: Header=BB24_4 Depth=1
	s_add_u32 s10, s22, s48
	s_addc_u32 s11, s23, s49
	s_and_b64 vcc, exec, s[6:7]
	s_waitcnt lgkmcnt(0)
	v_mul_f64 v[12:13], v[8:9], s[42:43]
	s_cbranch_vccnz .LBB24_45
; %bb.41:                               ;   in Loop: Header=BB24_4 Depth=1
	s_and_saveexec_b64 s[12:13], s[4:5]
	s_cbranch_execz .LBB24_44
; %bb.42:                               ;   in Loop: Header=BB24_4 Depth=1
	s_mov_b64 s[48:49], 0
	v_mov_b64_e32 v[14:15], v[10:11]
	v_mov_b64_e32 v[16:17], v[4:5]
.LBB24_43:                              ;   Parent Loop BB24_4 Depth=1
                                        ; =>  This Inner Loop Header: Depth=2
	v_lshlrev_b64 v[16:17], 3, v[16:17]
	v_lshl_add_u64 v[18:19], s[44:45], 0, v[16:17]
	v_lshl_add_u64 v[26:27], s[46:47], 0, v[16:17]
	;; [unrolled: 1-line block ×3, first 2 shown]
	global_load_dwordx2 v[26:27], v[26:27], off
	s_nop 0
	global_load_dwordx2 v[18:19], v[18:19], off
	s_nop 0
	global_load_dwordx2 v[28:29], v[28:29], off
	v_lshl_add_u64 v[14:15], v[14:15], 0, s[34:35]
	v_cmp_le_i64_e32 vcc, s[26:27], v[14:15]
	v_lshl_add_u64 v[30:31], s[10:11], 0, v[16:17]
	v_ashrrev_i32_e32 v17, 31, v14
	v_mov_b32_e32 v16, v14
	s_or_b64 s[48:49], vcc, s[48:49]
	s_waitcnt vmcnt(2)
	v_mul_f64 v[26:27], v[26:27], v[6:7]
	s_waitcnt vmcnt(1)
	v_add_f64 v[18:19], v[18:19], -s[40:41]
	s_waitcnt vmcnt(0)
	v_fma_f64 v[26:27], v[26:27], v[28:29], -v[0:1]
	v_mul_f64 v[18:19], s[42:43], v[18:19]
	v_fma_f64 v[18:19], -v[2:3], v[18:19], v[26:27]
	v_mul_f64 v[18:19], v[12:13], v[18:19]
	global_store_dwordx2 v[30:31], v[18:19], off
	s_andn2_b64 exec, exec, s[48:49]
	s_cbranch_execnz .LBB24_43
.LBB24_44:                              ;   in Loop: Header=BB24_4 Depth=1
	s_or_b64 exec, exec, s[12:13]
	s_cbranch_execnz .LBB24_3
	s_branch .LBB24_46
.LBB24_45:                              ;   in Loop: Header=BB24_4 Depth=1
.LBB24_46:                              ;   in Loop: Header=BB24_4 Depth=1
	s_and_saveexec_b64 s[12:13], s[4:5]
	s_cbranch_execz .LBB24_2
; %bb.47:                               ;   in Loop: Header=BB24_4 Depth=1
	s_mov_b64 s[48:49], 0
	v_mov_b64_e32 v[14:15], v[10:11]
	v_mov_b64_e32 v[16:17], v[4:5]
.LBB24_48:                              ;   Parent Loop BB24_4 Depth=1
                                        ; =>  This Inner Loop Header: Depth=2
	v_lshlrev_b64 v[16:17], 3, v[16:17]
	v_lshl_add_u64 v[18:19], s[44:45], 0, v[16:17]
	v_lshl_add_u64 v[26:27], s[46:47], 0, v[16:17]
	global_load_dwordx2 v[18:19], v[18:19], off
	s_nop 0
	global_load_dwordx2 v[26:27], v[26:27], off
	v_lshl_add_u64 v[14:15], v[14:15], 0, s[34:35]
	v_cmp_le_i64_e32 vcc, s[26:27], v[14:15]
	v_lshl_add_u64 v[28:29], s[10:11], 0, v[16:17]
	v_ashrrev_i32_e32 v17, 31, v14
	v_mov_b32_e32 v16, v14
	s_or_b64 s[48:49], vcc, s[48:49]
	s_waitcnt vmcnt(1)
	v_add_f64 v[18:19], v[18:19], -s[40:41]
	s_waitcnt vmcnt(0)
	v_fma_f64 v[26:27], v[26:27], v[6:7], -v[0:1]
	v_mul_f64 v[18:19], s[42:43], v[18:19]
	v_fma_f64 v[18:19], -v[2:3], v[18:19], v[26:27]
	v_mul_f64 v[18:19], v[12:13], v[18:19]
	global_store_dwordx2 v[28:29], v[18:19], off
	s_andn2_b64 exec, exec, s[48:49]
	s_cbranch_execnz .LBB24_48
	s_branch .LBB24_2
.LBB24_49:
	s_endpgm
	.section	.rodata,"a",@progbits
	.p2align	6, 0x0
	.amdhsa_kernel _ZN2at6native12_GLOBAL__N_118cuComputeGradInputIddLb0EEEvPKT_S5_llPKT0_S8_S5_PS3_
		.amdhsa_group_segment_fixed_size 0
		.amdhsa_private_segment_fixed_size 0
		.amdhsa_kernarg_size 320
		.amdhsa_user_sgpr_count 2
		.amdhsa_user_sgpr_dispatch_ptr 0
		.amdhsa_user_sgpr_queue_ptr 0
		.amdhsa_user_sgpr_kernarg_segment_ptr 1
		.amdhsa_user_sgpr_dispatch_id 0
		.amdhsa_user_sgpr_kernarg_preload_length 0
		.amdhsa_user_sgpr_kernarg_preload_offset 0
		.amdhsa_user_sgpr_private_segment_size 0
		.amdhsa_uses_dynamic_stack 0
		.amdhsa_enable_private_segment 0
		.amdhsa_system_sgpr_workgroup_id_x 1
		.amdhsa_system_sgpr_workgroup_id_y 1
		.amdhsa_system_sgpr_workgroup_id_z 0
		.amdhsa_system_sgpr_workgroup_info 0
		.amdhsa_system_vgpr_workitem_id 1
		.amdhsa_next_free_vgpr 32
		.amdhsa_next_free_sgpr 53
		.amdhsa_accum_offset 32
		.amdhsa_reserve_vcc 1
		.amdhsa_float_round_mode_32 0
		.amdhsa_float_round_mode_16_64 0
		.amdhsa_float_denorm_mode_32 3
		.amdhsa_float_denorm_mode_16_64 3
		.amdhsa_dx10_clamp 1
		.amdhsa_ieee_mode 1
		.amdhsa_fp16_overflow 0
		.amdhsa_tg_split 0
		.amdhsa_exception_fp_ieee_invalid_op 0
		.amdhsa_exception_fp_denorm_src 0
		.amdhsa_exception_fp_ieee_div_zero 0
		.amdhsa_exception_fp_ieee_overflow 0
		.amdhsa_exception_fp_ieee_underflow 0
		.amdhsa_exception_fp_ieee_inexact 0
		.amdhsa_exception_int_div_zero 0
	.end_amdhsa_kernel
	.section	.text._ZN2at6native12_GLOBAL__N_118cuComputeGradInputIddLb0EEEvPKT_S5_llPKT0_S8_S5_PS3_,"axG",@progbits,_ZN2at6native12_GLOBAL__N_118cuComputeGradInputIddLb0EEEvPKT_S5_llPKT0_S8_S5_PS3_,comdat
.Lfunc_end24:
	.size	_ZN2at6native12_GLOBAL__N_118cuComputeGradInputIddLb0EEEvPKT_S5_llPKT0_S8_S5_PS3_, .Lfunc_end24-_ZN2at6native12_GLOBAL__N_118cuComputeGradInputIddLb0EEEvPKT_S5_llPKT0_S8_S5_PS3_
                                        ; -- End function
	.set _ZN2at6native12_GLOBAL__N_118cuComputeGradInputIddLb0EEEvPKT_S5_llPKT0_S8_S5_PS3_.num_vgpr, 32
	.set _ZN2at6native12_GLOBAL__N_118cuComputeGradInputIddLb0EEEvPKT_S5_llPKT0_S8_S5_PS3_.num_agpr, 0
	.set _ZN2at6native12_GLOBAL__N_118cuComputeGradInputIddLb0EEEvPKT_S5_llPKT0_S8_S5_PS3_.numbered_sgpr, 53
	.set _ZN2at6native12_GLOBAL__N_118cuComputeGradInputIddLb0EEEvPKT_S5_llPKT0_S8_S5_PS3_.num_named_barrier, 0
	.set _ZN2at6native12_GLOBAL__N_118cuComputeGradInputIddLb0EEEvPKT_S5_llPKT0_S8_S5_PS3_.private_seg_size, 0
	.set _ZN2at6native12_GLOBAL__N_118cuComputeGradInputIddLb0EEEvPKT_S5_llPKT0_S8_S5_PS3_.uses_vcc, 1
	.set _ZN2at6native12_GLOBAL__N_118cuComputeGradInputIddLb0EEEvPKT_S5_llPKT0_S8_S5_PS3_.uses_flat_scratch, 0
	.set _ZN2at6native12_GLOBAL__N_118cuComputeGradInputIddLb0EEEvPKT_S5_llPKT0_S8_S5_PS3_.has_dyn_sized_stack, 0
	.set _ZN2at6native12_GLOBAL__N_118cuComputeGradInputIddLb0EEEvPKT_S5_llPKT0_S8_S5_PS3_.has_recursion, 0
	.set _ZN2at6native12_GLOBAL__N_118cuComputeGradInputIddLb0EEEvPKT_S5_llPKT0_S8_S5_PS3_.has_indirect_call, 0
	.section	.AMDGPU.csdata,"",@progbits
; Kernel info:
; codeLenInByte = 1556
; TotalNumSgprs: 59
; NumVgprs: 32
; NumAgprs: 0
; TotalNumVgprs: 32
; ScratchSize: 0
; MemoryBound: 0
; FloatMode: 240
; IeeeMode: 1
; LDSByteSize: 0 bytes/workgroup (compile time only)
; SGPRBlocks: 7
; VGPRBlocks: 3
; NumSGPRsForWavesPerEU: 59
; NumVGPRsForWavesPerEU: 32
; AccumOffset: 32
; Occupancy: 8
; WaveLimiterHint : 0
; COMPUTE_PGM_RSRC2:SCRATCH_EN: 0
; COMPUTE_PGM_RSRC2:USER_SGPR: 2
; COMPUTE_PGM_RSRC2:TRAP_HANDLER: 0
; COMPUTE_PGM_RSRC2:TGID_X_EN: 1
; COMPUTE_PGM_RSRC2:TGID_Y_EN: 1
; COMPUTE_PGM_RSRC2:TGID_Z_EN: 0
; COMPUTE_PGM_RSRC2:TIDIG_COMP_CNT: 1
; COMPUTE_PGM_RSRC3_GFX90A:ACCUM_OFFSET: 7
; COMPUTE_PGM_RSRC3_GFX90A:TG_SPLIT: 0
	.section	.text._ZN2at6native12_GLOBAL__N_128layer_norm_grad_input_kernelIddLb0EEEvPKT_S5_PKT0_S8_S5_PS3_i,"axG",@progbits,_ZN2at6native12_GLOBAL__N_128layer_norm_grad_input_kernelIddLb0EEEvPKT_S5_PKT0_S8_S5_PS3_i,comdat
	.globl	_ZN2at6native12_GLOBAL__N_128layer_norm_grad_input_kernelIddLb0EEEvPKT_S5_PKT0_S8_S5_PS3_i ; -- Begin function _ZN2at6native12_GLOBAL__N_128layer_norm_grad_input_kernelIddLb0EEEvPKT_S5_PKT0_S8_S5_PS3_i
	.p2align	8
	.type	_ZN2at6native12_GLOBAL__N_128layer_norm_grad_input_kernelIddLb0EEEvPKT_S5_PKT0_S8_S5_PS3_i,@function
_ZN2at6native12_GLOBAL__N_128layer_norm_grad_input_kernelIddLb0EEEvPKT_S5_PKT0_S8_S5_PS3_i: ; @_ZN2at6native12_GLOBAL__N_128layer_norm_grad_input_kernelIddLb0EEEvPKT_S5_PKT0_S8_S5_PS3_i
; %bb.0:
	s_load_dword s28, s[0:1], 0x30
	s_load_dwordx2 s[12:13], s[0:1], 0x20
	s_load_dwordx8 s[4:11], s[0:1], 0x0
	s_mov_b32 s3, 0
	v_lshlrev_b32_e32 v6, 2, v0
	s_waitcnt lgkmcnt(0)
	s_ashr_i32 s14, s28, 31
	s_mul_hi_u32 s15, s28, s2
	s_mul_i32 s14, s14, s2
	s_add_i32 s21, s15, s14
	s_mul_i32 s20, s28, s2
	s_lshl_b64 s[2:3], s[2:3], 3
	s_add_u32 s8, s8, s2
	s_addc_u32 s9, s9, s3
	s_add_u32 s2, s10, s2
	s_addc_u32 s3, s11, s3
	s_load_dwordx2 s[8:9], s[8:9], 0x0
	s_lshl_b64 s[18:19], s[20:21], 3
	s_load_dwordx2 s[10:11], s[2:3], 0x0
	s_add_u32 s14, s6, s18
	s_addc_u32 s15, s7, s19
	s_add_u32 s16, s4, s18
	v_or_b32_e32 v1, 3, v6
	s_addc_u32 s17, s5, s19
	v_cmp_gt_u32_e32 vcc, s28, v1
	v_mov_b64_e32 v[4:5], 0
	v_mov_b64_e32 v[2:3], 0
	s_and_saveexec_b64 s[22:23], vcc
	s_cbranch_execz .LBB25_12
; %bb.1:
	s_load_dword s2, s[0:1], 0x44
	s_cmp_lg_u64 s[12:13], 0
	s_cselect_b64 s[26:27], -1, 0
	v_cndmask_b32_e64 v1, 0, 1, s[26:27]
	s_mov_b64 s[24:25], 0
	s_waitcnt lgkmcnt(0)
	s_and_b32 s2, s2, 0xffff
	v_mov_b64_e32 v[4:5], 0
	s_lshl_b32 s29, s2, 2
	v_mov_b32_e32 v7, 0
	v_cmp_ne_u32_e64 s[2:3], 1, v1
	v_mov_b64_e32 v[2:3], 0
	s_branch .LBB25_3
.LBB25_2:                               ;   in Loop: Header=BB25_3 Depth=1
	global_load_dwordx2 v[30:31], v[24:25], off offset:24
	global_load_dwordx2 v[34:35], v[20:21], off offset:24
	s_waitcnt vmcnt(6)
	v_mul_f64 v[20:21], v[12:13], v[22:23]
	v_fmac_f64_e32 v[4:5], v[12:13], v[22:23]
	v_add_f64 v[12:13], v[18:19], -s[8:9]
	s_waitcnt vmcnt(4)
	v_mul_f64 v[18:19], v[8:9], v[16:17]
	v_add_f64 v[22:23], v[28:29], -s[8:9]
	v_mul_f64 v[12:13], v[12:13], v[20:21]
	v_fmac_f64_e32 v[4:5], v[8:9], v[16:17]
	s_waitcnt vmcnt(2)
	v_mul_f64 v[24:25], v[14:15], v[26:27]
	v_add_f64 v[28:29], v[32:33], -s[8:9]
	v_add_u32_e32 v6, s29, v6
	v_mul_f64 v[8:9], v[22:23], v[18:19]
	v_fmac_f64_e32 v[2:3], s[10:11], v[12:13]
	v_fmac_f64_e32 v[4:5], v[14:15], v[26:27]
	v_mul_f64 v[16:17], v[28:29], v[24:25]
	v_add_u32_e32 v1, 3, v6
	v_fmac_f64_e32 v[2:3], s[10:11], v[8:9]
	v_cmp_le_u32_e32 vcc, s28, v1
	v_fmac_f64_e32 v[2:3], s[10:11], v[16:17]
	s_or_b64 s[24:25], vcc, s[24:25]
	s_waitcnt vmcnt(1)
	v_mul_f64 v[8:9], v[10:11], v[30:31]
	v_fmac_f64_e32 v[4:5], v[10:11], v[30:31]
	s_waitcnt vmcnt(0)
	v_add_f64 v[10:11], v[34:35], -s[8:9]
	v_mul_f64 v[8:9], v[10:11], v[8:9]
	v_fmac_f64_e32 v[2:3], s[10:11], v[8:9]
	s_andn2_b64 exec, exec, s[24:25]
	s_cbranch_execz .LBB25_11
.LBB25_3:                               ; =>This Inner Loop Header: Depth=1
	v_mov_b64_e32 v[8:9], 1.0
	s_and_b64 vcc, exec, s[26:27]
	v_lshl_add_u64 v[30:31], v[6:7], 3, s[12:13]
	v_mov_b64_e32 v[12:13], 1.0
	s_cbranch_vccz .LBB25_5
; %bb.4:                                ;   in Loop: Header=BB25_3 Depth=1
	global_load_dwordx2 v[12:13], v[30:31], off
.LBB25_5:                               ;   in Loop: Header=BB25_3 Depth=1
	v_lshlrev_b64 v[10:11], 3, v[6:7]
	v_lshl_add_u64 v[20:21], s[14:15], 0, v[10:11]
	v_lshl_add_u64 v[24:25], s[16:17], 0, v[10:11]
	global_load_dwordx2 v[18:19], v[20:21], off
	global_load_dwordx2 v[22:23], v[24:25], off
	s_and_b64 vcc, exec, s[2:3]
	s_cbranch_vccnz .LBB25_7
; %bb.6:                                ;   in Loop: Header=BB25_3 Depth=1
	global_load_dwordx2 v[8:9], v[30:31], off offset:8
.LBB25_7:                               ;   in Loop: Header=BB25_3 Depth=1
	global_load_dwordx2 v[28:29], v[20:21], off offset:8
	global_load_dwordx2 v[16:17], v[24:25], off offset:8
	v_mov_b64_e32 v[10:11], 1.0
	s_and_b64 vcc, exec, s[2:3]
	v_mov_b64_e32 v[14:15], 1.0
	s_cbranch_vccnz .LBB25_9
; %bb.8:                                ;   in Loop: Header=BB25_3 Depth=1
	global_load_dwordx2 v[14:15], v[30:31], off offset:16
.LBB25_9:                               ;   in Loop: Header=BB25_3 Depth=1
	global_load_dwordx2 v[32:33], v[20:21], off offset:16
	global_load_dwordx2 v[26:27], v[24:25], off offset:16
	s_and_b64 vcc, exec, s[2:3]
	s_cbranch_vccnz .LBB25_2
; %bb.10:                               ;   in Loop: Header=BB25_3 Depth=1
	global_load_dwordx2 v[10:11], v[30:31], off offset:24
	s_branch .LBB25_2
.LBB25_11:
	s_or_b64 exec, exec, s[24:25]
.LBB25_12:
	s_or_b64 exec, exec, s[22:23]
	v_cmp_gt_u32_e32 vcc, s28, v6
	s_and_saveexec_b64 s[22:23], vcc
	s_cbranch_execz .LBB25_19
; %bb.13:
	s_cmp_lg_u64 s[12:13], 0
	v_mov_b32_e32 v7, 0
	v_lshlrev_b64 v[10:11], 3, v[6:7]
	s_cselect_b64 s[2:3], -1, 0
	v_lshl_add_u64 v[12:13], s[20:21], 3, v[10:11]
	v_cndmask_b32_e64 v1, 0, 1, s[2:3]
	s_mov_b64 s[24:25], 0
	v_lshl_add_u64 v[8:9], s[12:13], 0, v[10:11]
	v_lshl_add_u64 v[10:11], s[6:7], 0, v[12:13]
	;; [unrolled: 1-line block ×3, first 2 shown]
	v_cmp_ne_u32_e64 s[2:3], 1, v1
	s_branch .LBB25_16
.LBB25_14:                              ;   in Loop: Header=BB25_16 Depth=1
	global_load_dwordx2 v[14:15], v[8:9], off
.LBB25_15:                              ;   in Loop: Header=BB25_16 Depth=1
	global_load_dwordx2 v[16:17], v[12:13], off
	global_load_dwordx2 v[18:19], v[10:11], off
	v_add_u32_e32 v6, 1, v6
	v_cmp_le_u32_e32 vcc, s28, v6
	v_lshl_add_u64 v[8:9], v[8:9], 0, 8
	v_lshl_add_u64 v[10:11], v[10:11], 0, 8
	s_or_b64 s[24:25], vcc, s[24:25]
	v_lshl_add_u64 v[12:13], v[12:13], 0, 8
	s_waitcnt vmcnt(1)
	v_mul_f64 v[20:21], v[14:15], v[16:17]
	v_fmac_f64_e32 v[4:5], v[14:15], v[16:17]
	s_waitcnt vmcnt(0) lgkmcnt(0)
	v_add_f64 v[14:15], v[18:19], -s[8:9]
	v_mul_f64 v[14:15], v[14:15], v[20:21]
	v_fmac_f64_e32 v[2:3], s[10:11], v[14:15]
	s_andn2_b64 exec, exec, s[24:25]
	s_cbranch_execz .LBB25_18
.LBB25_16:                              ; =>This Inner Loop Header: Depth=1
	s_and_b64 vcc, exec, s[2:3]
	s_cbranch_vccz .LBB25_14
; %bb.17:                               ;   in Loop: Header=BB25_16 Depth=1
	v_mov_b64_e32 v[14:15], 1.0
	s_branch .LBB25_15
.LBB25_18:
	s_or_b64 exec, exec, s[24:25]
.LBB25_19:
	s_or_b64 exec, exec, s[22:23]
	v_mbcnt_lo_u32_b32 v1, -1, 0
	v_mbcnt_hi_u32_b32 v12, -1, v1
	v_mov_b32_e32 v1, 0x80
	v_lshl_or_b32 v1, v12, 2, v1
	ds_bpermute_b32 v6, v1, v4
	ds_bpermute_b32 v7, v1, v5
	v_and_b32_e32 v13, 63, v12
	v_cmp_gt_u32_e32 vcc, 48, v13
	v_and_b32_e32 v14, 63, v0
	s_waitcnt lgkmcnt(0)
	v_add_f64 v[4:5], v[4:5], v[6:7]
	v_cndmask_b32_e64 v6, 0, 16, vcc
	v_add_lshl_u32 v8, v6, v12, 2
	ds_bpermute_b32 v6, v8, v4
	ds_bpermute_b32 v7, v8, v5
	v_cmp_gt_u32_e32 vcc, 56, v13
	s_barrier
	s_waitcnt lgkmcnt(0)
	v_add_f64 v[4:5], v[4:5], v[6:7]
	v_cndmask_b32_e64 v6, 0, 8, vcc
	v_add_lshl_u32 v9, v6, v12, 2
	ds_bpermute_b32 v6, v9, v4
	ds_bpermute_b32 v7, v9, v5
	v_cmp_gt_u32_e32 vcc, 60, v13
	s_waitcnt lgkmcnt(0)
	v_add_f64 v[4:5], v[4:5], v[6:7]
	v_cndmask_b32_e64 v6, 0, 4, vcc
	v_add_lshl_u32 v10, v6, v12, 2
	ds_bpermute_b32 v6, v10, v4
	ds_bpermute_b32 v7, v10, v5
	v_cmp_gt_u32_e32 vcc, 62, v13
	s_waitcnt lgkmcnt(0)
	v_add_f64 v[4:5], v[4:5], v[6:7]
	v_cndmask_b32_e64 v6, 0, 2, vcc
	v_add_lshl_u32 v11, v6, v12, 2
	ds_bpermute_b32 v6, v11, v4
	ds_bpermute_b32 v7, v11, v5
	v_cmp_ne_u32_e32 vcc, 63, v13
	v_lshrrev_b32_e32 v13, 3, v0
	s_waitcnt lgkmcnt(0)
	v_add_f64 v[4:5], v[4:5], v[6:7]
	v_addc_co_u32_e32 v6, vcc, 0, v12, vcc
	v_lshlrev_b32_e32 v12, 2, v6
	ds_bpermute_b32 v6, v12, v4
	ds_bpermute_b32 v7, v12, v5
	v_cmp_eq_u32_e32 vcc, 0, v14
	s_and_saveexec_b64 s[2:3], vcc
	s_cbranch_execz .LBB25_21
; %bb.20:
	v_add_u32_e32 v15, 0, v13
	s_waitcnt lgkmcnt(0)
	v_add_f64 v[4:5], v[4:5], v[6:7]
	ds_write_b64 v15, v[4:5]
.LBB25_21:
	s_or_b64 exec, exec, s[2:3]
	s_waitcnt lgkmcnt(0)
	s_barrier
	s_load_dword s20, s[0:1], 0x44
	v_mov_b64_e32 v[4:5], 0
	v_lshl_add_u32 v14, v14, 3, 0
	s_waitcnt lgkmcnt(0)
	s_bfe_u32 s2, s20, 0xa0006
	v_cmp_gt_u32_e64 s[2:3], s2, v0
	s_and_saveexec_b64 s[4:5], s[2:3]
; %bb.22:
	ds_read_b64 v[4:5], v14
; %bb.23:
	s_or_b64 exec, exec, s[4:5]
	v_cmp_gt_u32_e64 s[4:5], 64, v0
	s_and_saveexec_b64 s[6:7], s[4:5]
	s_cbranch_execz .LBB25_25
; %bb.24:
	s_waitcnt lgkmcnt(0)
	ds_bpermute_b32 v6, v1, v4
	ds_bpermute_b32 v7, v1, v5
	s_waitcnt lgkmcnt(0)
	v_add_f64 v[4:5], v[4:5], v[6:7]
	ds_bpermute_b32 v6, v8, v4
	ds_bpermute_b32 v7, v8, v5
	s_waitcnt lgkmcnt(0)
	v_add_f64 v[4:5], v[4:5], v[6:7]
	;; [unrolled: 4-line block ×6, first 2 shown]
.LBB25_25:
	s_or_b64 exec, exec, s[6:7]
	ds_bpermute_b32 v6, v1, v2
	ds_bpermute_b32 v7, v1, v3
	s_waitcnt lgkmcnt(0)
	s_barrier
	v_add_f64 v[2:3], v[2:3], v[6:7]
	ds_bpermute_b32 v6, v8, v2
	ds_bpermute_b32 v7, v8, v3
	s_waitcnt lgkmcnt(0)
	v_add_f64 v[2:3], v[2:3], v[6:7]
	ds_bpermute_b32 v6, v9, v2
	ds_bpermute_b32 v7, v9, v3
	s_waitcnt lgkmcnt(0)
	;; [unrolled: 4-line block ×4, first 2 shown]
	v_add_f64 v[2:3], v[2:3], v[6:7]
	ds_bpermute_b32 v6, v12, v2
	ds_bpermute_b32 v7, v12, v3
	s_and_saveexec_b64 s[6:7], vcc
	s_cbranch_execz .LBB25_27
; %bb.26:
	v_add_u32_e32 v13, 0, v13
	s_waitcnt lgkmcnt(0)
	v_add_f64 v[2:3], v[2:3], v[6:7]
	ds_write_b64 v13, v[2:3]
.LBB25_27:
	s_or_b64 exec, exec, s[6:7]
	v_mov_b64_e32 v[2:3], 0
	s_waitcnt lgkmcnt(0)
	s_barrier
	s_and_saveexec_b64 s[6:7], s[2:3]
	s_cbranch_execnz .LBB25_38
; %bb.28:
	s_or_b64 exec, exec, s[6:7]
	s_and_saveexec_b64 s[2:3], s[4:5]
	s_cbranch_execnz .LBB25_39
.LBB25_29:
	s_or_b64 exec, exec, s[2:3]
	v_cmp_eq_u32_e32 vcc, 0, v0
	s_and_saveexec_b64 s[2:3], vcc
	s_cbranch_execz .LBB25_31
.LBB25_30:
	v_mov_b32_e32 v1, 0
	s_waitcnt lgkmcnt(0)
	ds_write2_b64 v1, v[4:5], v[2:3] offset1:1
.LBB25_31:
	s_or_b64 exec, exec, s[2:3]
	v_cmp_gt_i32_e32 vcc, s28, v0
	s_waitcnt lgkmcnt(0)
	s_barrier
	s_and_saveexec_b64 s[2:3], vcc
	s_cbranch_execz .LBB25_37
; %bb.32:
	v_cvt_f64_i32_e32 v[6:7], s28
	v_div_scale_f64 v[8:9], s[2:3], v[6:7], v[6:7], 1.0
	v_rcp_f64_e32 v[10:11], v[8:9]
	s_load_dwordx2 s[0:1], s[0:1], 0x28
	s_and_b32 s6, 0xffff, s20
	v_mov_b32_e32 v1, 0
	v_fma_f64 v[12:13], -v[8:9], v[10:11], 1.0
	v_fmac_f64_e32 v[10:11], v[10:11], v[12:13]
	v_fma_f64 v[12:13], -v[8:9], v[10:11], 1.0
	v_fmac_f64_e32 v[10:11], v[10:11], v[12:13]
	v_div_scale_f64 v[12:13], vcc, 1.0, v[6:7], 1.0
	s_waitcnt lgkmcnt(0)
	s_add_u32 s2, s0, s18
	ds_read2_b64 v[2:5], v1 offset1:1
	v_mul_f64 v[14:15], v[12:13], v[10:11]
	s_addc_u32 s3, s1, s19
	v_fma_f64 v[8:9], -v[8:9], v[14:15], v[12:13]
	s_cmp_lg_u64 s[12:13], 0
	v_div_fmas_f64 v[8:9], v[8:9], v[10:11], v[14:15]
	s_cselect_b64 s[0:1], -1, 0
	v_div_fixup_f64 v[8:9], v[8:9], v[6:7], 1.0
	v_cndmask_b32_e64 v1, 0, 1, s[0:1]
	v_mul_f64 v[8:9], v[8:9], s[10:11]
	s_mov_b64 s[4:5], 0
	v_cmp_ne_u32_e64 s[0:1], 1, v1
	s_branch .LBB25_35
.LBB25_33:                              ;   in Loop: Header=BB25_35 Depth=1
	v_lshl_add_u64 v[14:15], v[0:1], 3, s[12:13]
	global_load_dwordx2 v[14:15], v[14:15], off
.LBB25_34:                              ;   in Loop: Header=BB25_35 Depth=1
	s_waitcnt vmcnt(1)
	v_add_f64 v[12:13], v[12:13], -s[8:9]
	v_mul_f64 v[12:13], s[10:11], v[12:13]
	s_waitcnt vmcnt(0)
	v_mul_f64 v[14:15], v[14:15], v[6:7]
	s_waitcnt lgkmcnt(0)
	v_mul_f64 v[12:13], v[4:5], v[12:13]
	v_fma_f64 v[10:11], v[10:11], v[14:15], -v[12:13]
	v_lshl_add_u64 v[12:13], v[0:1], 3, s[2:3]
	v_add_u32_e32 v0, s6, v0
	v_add_f64 v[10:11], v[10:11], -v[2:3]
	v_cmp_le_i32_e32 vcc, s28, v0
	v_mul_f64 v[10:11], v[8:9], v[10:11]
	s_or_b64 s[4:5], vcc, s[4:5]
	global_store_dwordx2 v[12:13], v[10:11], off
	s_andn2_b64 exec, exec, s[4:5]
	s_cbranch_execz .LBB25_37
.LBB25_35:                              ; =>This Inner Loop Header: Depth=1
	v_ashrrev_i32_e32 v1, 31, v0
	v_lshlrev_b64 v[10:11], 3, v[0:1]
	v_lshl_add_u64 v[12:13], s[14:15], 0, v[10:11]
	v_lshl_add_u64 v[10:11], s[16:17], 0, v[10:11]
	global_load_dwordx2 v[12:13], v[12:13], off
	s_and_b64 vcc, exec, s[0:1]
	global_load_dwordx2 v[10:11], v[10:11], off
	s_cbranch_vccz .LBB25_33
; %bb.36:                               ;   in Loop: Header=BB25_35 Depth=1
	v_mov_b64_e32 v[14:15], 1.0
	s_branch .LBB25_34
.LBB25_37:
	s_endpgm
.LBB25_38:
	ds_read_b64 v[2:3], v14
	s_or_b64 exec, exec, s[6:7]
	s_and_saveexec_b64 s[2:3], s[4:5]
	s_cbranch_execz .LBB25_29
.LBB25_39:
	s_waitcnt lgkmcnt(0)
	ds_bpermute_b32 v6, v1, v2
	ds_bpermute_b32 v7, v1, v3
	s_waitcnt lgkmcnt(0)
	v_add_f64 v[2:3], v[2:3], v[6:7]
	ds_bpermute_b32 v6, v8, v2
	ds_bpermute_b32 v7, v8, v3
	s_waitcnt lgkmcnt(0)
	v_add_f64 v[2:3], v[2:3], v[6:7]
	;; [unrolled: 4-line block ×6, first 2 shown]
	s_or_b64 exec, exec, s[2:3]
	v_cmp_eq_u32_e32 vcc, 0, v0
	s_and_saveexec_b64 s[2:3], vcc
	s_cbranch_execnz .LBB25_30
	s_branch .LBB25_31
	.section	.rodata,"a",@progbits
	.p2align	6, 0x0
	.amdhsa_kernel _ZN2at6native12_GLOBAL__N_128layer_norm_grad_input_kernelIddLb0EEEvPKT_S5_PKT0_S8_S5_PS3_i
		.amdhsa_group_segment_fixed_size 0
		.amdhsa_private_segment_fixed_size 0
		.amdhsa_kernarg_size 312
		.amdhsa_user_sgpr_count 2
		.amdhsa_user_sgpr_dispatch_ptr 0
		.amdhsa_user_sgpr_queue_ptr 0
		.amdhsa_user_sgpr_kernarg_segment_ptr 1
		.amdhsa_user_sgpr_dispatch_id 0
		.amdhsa_user_sgpr_kernarg_preload_length 0
		.amdhsa_user_sgpr_kernarg_preload_offset 0
		.amdhsa_user_sgpr_private_segment_size 0
		.amdhsa_uses_dynamic_stack 0
		.amdhsa_enable_private_segment 0
		.amdhsa_system_sgpr_workgroup_id_x 1
		.amdhsa_system_sgpr_workgroup_id_y 0
		.amdhsa_system_sgpr_workgroup_id_z 0
		.amdhsa_system_sgpr_workgroup_info 0
		.amdhsa_system_vgpr_workitem_id 0
		.amdhsa_next_free_vgpr 36
		.amdhsa_next_free_sgpr 30
		.amdhsa_accum_offset 36
		.amdhsa_reserve_vcc 1
		.amdhsa_float_round_mode_32 0
		.amdhsa_float_round_mode_16_64 0
		.amdhsa_float_denorm_mode_32 3
		.amdhsa_float_denorm_mode_16_64 3
		.amdhsa_dx10_clamp 1
		.amdhsa_ieee_mode 1
		.amdhsa_fp16_overflow 0
		.amdhsa_tg_split 0
		.amdhsa_exception_fp_ieee_invalid_op 0
		.amdhsa_exception_fp_denorm_src 0
		.amdhsa_exception_fp_ieee_div_zero 0
		.amdhsa_exception_fp_ieee_overflow 0
		.amdhsa_exception_fp_ieee_underflow 0
		.amdhsa_exception_fp_ieee_inexact 0
		.amdhsa_exception_int_div_zero 0
	.end_amdhsa_kernel
	.section	.text._ZN2at6native12_GLOBAL__N_128layer_norm_grad_input_kernelIddLb0EEEvPKT_S5_PKT0_S8_S5_PS3_i,"axG",@progbits,_ZN2at6native12_GLOBAL__N_128layer_norm_grad_input_kernelIddLb0EEEvPKT_S5_PKT0_S8_S5_PS3_i,comdat
.Lfunc_end25:
	.size	_ZN2at6native12_GLOBAL__N_128layer_norm_grad_input_kernelIddLb0EEEvPKT_S5_PKT0_S8_S5_PS3_i, .Lfunc_end25-_ZN2at6native12_GLOBAL__N_128layer_norm_grad_input_kernelIddLb0EEEvPKT_S5_PKT0_S8_S5_PS3_i
                                        ; -- End function
	.set _ZN2at6native12_GLOBAL__N_128layer_norm_grad_input_kernelIddLb0EEEvPKT_S5_PKT0_S8_S5_PS3_i.num_vgpr, 36
	.set _ZN2at6native12_GLOBAL__N_128layer_norm_grad_input_kernelIddLb0EEEvPKT_S5_PKT0_S8_S5_PS3_i.num_agpr, 0
	.set _ZN2at6native12_GLOBAL__N_128layer_norm_grad_input_kernelIddLb0EEEvPKT_S5_PKT0_S8_S5_PS3_i.numbered_sgpr, 30
	.set _ZN2at6native12_GLOBAL__N_128layer_norm_grad_input_kernelIddLb0EEEvPKT_S5_PKT0_S8_S5_PS3_i.num_named_barrier, 0
	.set _ZN2at6native12_GLOBAL__N_128layer_norm_grad_input_kernelIddLb0EEEvPKT_S5_PKT0_S8_S5_PS3_i.private_seg_size, 0
	.set _ZN2at6native12_GLOBAL__N_128layer_norm_grad_input_kernelIddLb0EEEvPKT_S5_PKT0_S8_S5_PS3_i.uses_vcc, 1
	.set _ZN2at6native12_GLOBAL__N_128layer_norm_grad_input_kernelIddLb0EEEvPKT_S5_PKT0_S8_S5_PS3_i.uses_flat_scratch, 0
	.set _ZN2at6native12_GLOBAL__N_128layer_norm_grad_input_kernelIddLb0EEEvPKT_S5_PKT0_S8_S5_PS3_i.has_dyn_sized_stack, 0
	.set _ZN2at6native12_GLOBAL__N_128layer_norm_grad_input_kernelIddLb0EEEvPKT_S5_PKT0_S8_S5_PS3_i.has_recursion, 0
	.set _ZN2at6native12_GLOBAL__N_128layer_norm_grad_input_kernelIddLb0EEEvPKT_S5_PKT0_S8_S5_PS3_i.has_indirect_call, 0
	.section	.AMDGPU.csdata,"",@progbits
; Kernel info:
; codeLenInByte = 2216
; TotalNumSgprs: 36
; NumVgprs: 36
; NumAgprs: 0
; TotalNumVgprs: 36
; ScratchSize: 0
; MemoryBound: 0
; FloatMode: 240
; IeeeMode: 1
; LDSByteSize: 0 bytes/workgroup (compile time only)
; SGPRBlocks: 4
; VGPRBlocks: 4
; NumSGPRsForWavesPerEU: 36
; NumVGPRsForWavesPerEU: 36
; AccumOffset: 36
; Occupancy: 8
; WaveLimiterHint : 0
; COMPUTE_PGM_RSRC2:SCRATCH_EN: 0
; COMPUTE_PGM_RSRC2:USER_SGPR: 2
; COMPUTE_PGM_RSRC2:TRAP_HANDLER: 0
; COMPUTE_PGM_RSRC2:TGID_X_EN: 1
; COMPUTE_PGM_RSRC2:TGID_Y_EN: 0
; COMPUTE_PGM_RSRC2:TGID_Z_EN: 0
; COMPUTE_PGM_RSRC2:TIDIG_COMP_CNT: 0
; COMPUTE_PGM_RSRC3_GFX90A:ACCUM_OFFSET: 8
; COMPUTE_PGM_RSRC3_GFX90A:TG_SPLIT: 0
	.section	.text._ZN2at6native12_GLOBAL__N_133GammaBetaBackwardSimpleCUDAKernelIddLb0EEEvllPKT_S5_PKT0_S8_PS3_S9_,"axG",@progbits,_ZN2at6native12_GLOBAL__N_133GammaBetaBackwardSimpleCUDAKernelIddLb0EEEvllPKT_S5_PKT0_S8_PS3_S9_,comdat
	.globl	_ZN2at6native12_GLOBAL__N_133GammaBetaBackwardSimpleCUDAKernelIddLb0EEEvllPKT_S5_PKT0_S8_PS3_S9_ ; -- Begin function _ZN2at6native12_GLOBAL__N_133GammaBetaBackwardSimpleCUDAKernelIddLb0EEEvllPKT_S5_PKT0_S8_PS3_S9_
	.p2align	8
	.type	_ZN2at6native12_GLOBAL__N_133GammaBetaBackwardSimpleCUDAKernelIddLb0EEEvllPKT_S5_PKT0_S8_PS3_S9_,@function
_ZN2at6native12_GLOBAL__N_133GammaBetaBackwardSimpleCUDAKernelIddLb0EEEvllPKT_S5_PKT0_S8_PS3_S9_: ; @_ZN2at6native12_GLOBAL__N_133GammaBetaBackwardSimpleCUDAKernelIddLb0EEEvllPKT_S5_PKT0_S8_PS3_S9_
; %bb.0:
	s_load_dword s3, s[0:1], 0x4c
	s_load_dwordx16 s[4:19], s[0:1], 0x0
	v_mov_b32_e32 v1, 0
	v_mov_b32_e32 v2, s2
	s_waitcnt lgkmcnt(0)
	s_and_b32 s0, s3, 0xffff
	v_mad_u64_u32 v[0:1], s[0:1], s0, v2, v[0:1]
	v_cmp_gt_i64_e32 vcc, s[6:7], v[0:1]
	s_and_saveexec_b64 s[0:1], vcc
	s_cbranch_execz .LBB26_14
; %bb.1:
	v_cmp_lt_i64_e64 s[0:1], s[4:5], 1
	s_and_b64 vcc, exec, s[0:1]
	s_cbranch_vccnz .LBB26_9
; %bb.2:
	s_cmp_lg_u64 s[16:17], 0
	s_cselect_b64 s[0:1], -1, 0
	s_cmp_lg_u64 s[18:19], 0
	s_cselect_b64 s[2:3], -1, 0
	v_cndmask_b32_e64 v4, 0, 1, s[0:1]
	v_cmp_ne_u32_e64 s[0:1], 1, v4
	v_cndmask_b32_e64 v4, 0, 1, s[2:3]
	v_lshlrev_b64 v[6:7], 3, v[0:1]
	s_lshl_b64 s[6:7], s[6:7], 3
	v_mov_b64_e32 v[2:3], 0
	v_cmp_ne_u32_e64 s[2:3], 1, v4
	v_mov_b64_e32 v[4:5], 0
	s_branch .LBB26_5
.LBB26_3:                               ;   in Loop: Header=BB26_5 Depth=1
	global_load_dwordx2 v[8:9], v[8:9], off
.LBB26_4:                               ;   in Loop: Header=BB26_5 Depth=1
	s_add_u32 s4, s4, -1
	s_addc_u32 s5, s5, -1
	s_add_u32 s14, s14, 8
	s_addc_u32 s15, s15, 0
	s_add_u32 s12, s12, 8
	s_addc_u32 s13, s13, 0
	v_add_f64 v[2:3], v[2:3], v[10:11]
	s_waitcnt vmcnt(0)
	v_add_f64 v[4:5], v[4:5], v[8:9]
	s_cmp_eq_u64 s[4:5], 0
	v_lshl_add_u64 v[6:7], v[6:7], 0, s[6:7]
	s_cbranch_scc1 .LBB26_10
.LBB26_5:                               ; =>This Inner Loop Header: Depth=1
	s_and_b64 vcc, exec, s[0:1]
	v_lshl_add_u64 v[8:9], s[8:9], 0, v[6:7]
	v_mov_b64_e32 v[10:11], 0
	s_cbranch_vccnz .LBB26_7
; %bb.6:                                ;   in Loop: Header=BB26_5 Depth=1
	v_lshl_add_u64 v[10:11], s[10:11], 0, v[6:7]
	global_load_dwordx2 v[12:13], v[10:11], off
	global_load_dwordx2 v[14:15], v[8:9], off
	s_load_dwordx2 s[20:21], s[12:13], 0x0
	s_load_dwordx2 s[22:23], s[14:15], 0x0
	s_waitcnt vmcnt(1) lgkmcnt(0)
	v_add_f64 v[10:11], v[12:13], -s[20:21]
	s_waitcnt vmcnt(0)
	v_mul_f64 v[10:11], v[14:15], v[10:11]
	v_mul_f64 v[10:11], s[22:23], v[10:11]
.LBB26_7:                               ;   in Loop: Header=BB26_5 Depth=1
	s_and_b64 vcc, exec, s[2:3]
	s_cbranch_vccz .LBB26_3
; %bb.8:                                ;   in Loop: Header=BB26_5 Depth=1
	v_mov_b64_e32 v[8:9], 0
	s_branch .LBB26_4
.LBB26_9:
	v_mov_b64_e32 v[2:3], 0
	v_mov_b64_e32 v[4:5], 0
.LBB26_10:
	s_cmp_lg_u64 s[16:17], 0
	s_cbranch_scc0 .LBB26_12
; %bb.11:
	v_lshl_add_u64 v[6:7], v[0:1], 3, s[16:17]
	global_store_dwordx2 v[6:7], v[2:3], off
.LBB26_12:
	s_cmp_eq_u64 s[18:19], 0
	s_cbranch_scc1 .LBB26_14
; %bb.13:
	v_lshl_add_u64 v[0:1], v[0:1], 3, s[18:19]
	global_store_dwordx2 v[0:1], v[4:5], off
.LBB26_14:
	s_endpgm
	.section	.rodata,"a",@progbits
	.p2align	6, 0x0
	.amdhsa_kernel _ZN2at6native12_GLOBAL__N_133GammaBetaBackwardSimpleCUDAKernelIddLb0EEEvllPKT_S5_PKT0_S8_PS3_S9_
		.amdhsa_group_segment_fixed_size 0
		.amdhsa_private_segment_fixed_size 0
		.amdhsa_kernarg_size 320
		.amdhsa_user_sgpr_count 2
		.amdhsa_user_sgpr_dispatch_ptr 0
		.amdhsa_user_sgpr_queue_ptr 0
		.amdhsa_user_sgpr_kernarg_segment_ptr 1
		.amdhsa_user_sgpr_dispatch_id 0
		.amdhsa_user_sgpr_kernarg_preload_length 0
		.amdhsa_user_sgpr_kernarg_preload_offset 0
		.amdhsa_user_sgpr_private_segment_size 0
		.amdhsa_uses_dynamic_stack 0
		.amdhsa_enable_private_segment 0
		.amdhsa_system_sgpr_workgroup_id_x 1
		.amdhsa_system_sgpr_workgroup_id_y 0
		.amdhsa_system_sgpr_workgroup_id_z 0
		.amdhsa_system_sgpr_workgroup_info 0
		.amdhsa_system_vgpr_workitem_id 0
		.amdhsa_next_free_vgpr 16
		.amdhsa_next_free_sgpr 24
		.amdhsa_accum_offset 16
		.amdhsa_reserve_vcc 1
		.amdhsa_float_round_mode_32 0
		.amdhsa_float_round_mode_16_64 0
		.amdhsa_float_denorm_mode_32 3
		.amdhsa_float_denorm_mode_16_64 3
		.amdhsa_dx10_clamp 1
		.amdhsa_ieee_mode 1
		.amdhsa_fp16_overflow 0
		.amdhsa_tg_split 0
		.amdhsa_exception_fp_ieee_invalid_op 0
		.amdhsa_exception_fp_denorm_src 0
		.amdhsa_exception_fp_ieee_div_zero 0
		.amdhsa_exception_fp_ieee_overflow 0
		.amdhsa_exception_fp_ieee_underflow 0
		.amdhsa_exception_fp_ieee_inexact 0
		.amdhsa_exception_int_div_zero 0
	.end_amdhsa_kernel
	.section	.text._ZN2at6native12_GLOBAL__N_133GammaBetaBackwardSimpleCUDAKernelIddLb0EEEvllPKT_S5_PKT0_S8_PS3_S9_,"axG",@progbits,_ZN2at6native12_GLOBAL__N_133GammaBetaBackwardSimpleCUDAKernelIddLb0EEEvllPKT_S5_PKT0_S8_PS3_S9_,comdat
.Lfunc_end26:
	.size	_ZN2at6native12_GLOBAL__N_133GammaBetaBackwardSimpleCUDAKernelIddLb0EEEvllPKT_S5_PKT0_S8_PS3_S9_, .Lfunc_end26-_ZN2at6native12_GLOBAL__N_133GammaBetaBackwardSimpleCUDAKernelIddLb0EEEvllPKT_S5_PKT0_S8_PS3_S9_
                                        ; -- End function
	.set _ZN2at6native12_GLOBAL__N_133GammaBetaBackwardSimpleCUDAKernelIddLb0EEEvllPKT_S5_PKT0_S8_PS3_S9_.num_vgpr, 16
	.set _ZN2at6native12_GLOBAL__N_133GammaBetaBackwardSimpleCUDAKernelIddLb0EEEvllPKT_S5_PKT0_S8_PS3_S9_.num_agpr, 0
	.set _ZN2at6native12_GLOBAL__N_133GammaBetaBackwardSimpleCUDAKernelIddLb0EEEvllPKT_S5_PKT0_S8_PS3_S9_.numbered_sgpr, 24
	.set _ZN2at6native12_GLOBAL__N_133GammaBetaBackwardSimpleCUDAKernelIddLb0EEEvllPKT_S5_PKT0_S8_PS3_S9_.num_named_barrier, 0
	.set _ZN2at6native12_GLOBAL__N_133GammaBetaBackwardSimpleCUDAKernelIddLb0EEEvllPKT_S5_PKT0_S8_PS3_S9_.private_seg_size, 0
	.set _ZN2at6native12_GLOBAL__N_133GammaBetaBackwardSimpleCUDAKernelIddLb0EEEvllPKT_S5_PKT0_S8_PS3_S9_.uses_vcc, 1
	.set _ZN2at6native12_GLOBAL__N_133GammaBetaBackwardSimpleCUDAKernelIddLb0EEEvllPKT_S5_PKT0_S8_PS3_S9_.uses_flat_scratch, 0
	.set _ZN2at6native12_GLOBAL__N_133GammaBetaBackwardSimpleCUDAKernelIddLb0EEEvllPKT_S5_PKT0_S8_PS3_S9_.has_dyn_sized_stack, 0
	.set _ZN2at6native12_GLOBAL__N_133GammaBetaBackwardSimpleCUDAKernelIddLb0EEEvllPKT_S5_PKT0_S8_PS3_S9_.has_recursion, 0
	.set _ZN2at6native12_GLOBAL__N_133GammaBetaBackwardSimpleCUDAKernelIddLb0EEEvllPKT_S5_PKT0_S8_PS3_S9_.has_indirect_call, 0
	.section	.AMDGPU.csdata,"",@progbits
; Kernel info:
; codeLenInByte = 380
; TotalNumSgprs: 30
; NumVgprs: 16
; NumAgprs: 0
; TotalNumVgprs: 16
; ScratchSize: 0
; MemoryBound: 1
; FloatMode: 240
; IeeeMode: 1
; LDSByteSize: 0 bytes/workgroup (compile time only)
; SGPRBlocks: 3
; VGPRBlocks: 1
; NumSGPRsForWavesPerEU: 30
; NumVGPRsForWavesPerEU: 16
; AccumOffset: 16
; Occupancy: 8
; WaveLimiterHint : 0
; COMPUTE_PGM_RSRC2:SCRATCH_EN: 0
; COMPUTE_PGM_RSRC2:USER_SGPR: 2
; COMPUTE_PGM_RSRC2:TRAP_HANDLER: 0
; COMPUTE_PGM_RSRC2:TGID_X_EN: 1
; COMPUTE_PGM_RSRC2:TGID_Y_EN: 0
; COMPUTE_PGM_RSRC2:TGID_Z_EN: 0
; COMPUTE_PGM_RSRC2:TIDIG_COMP_CNT: 0
; COMPUTE_PGM_RSRC3_GFX90A:ACCUM_OFFSET: 3
; COMPUTE_PGM_RSRC3_GFX90A:TG_SPLIT: 0
	.section	.text._ZN2at6native12_GLOBAL__N_135GammaBetaBackwardCUDAKernelTemplateIddLj64ELj1ELj32ELb1ELb1ELb0EEEvllPKT_S5_PKT0_S8_PS3_S9_,"axG",@progbits,_ZN2at6native12_GLOBAL__N_135GammaBetaBackwardCUDAKernelTemplateIddLj64ELj1ELj32ELb1ELb1ELb0EEEvllPKT_S5_PKT0_S8_PS3_S9_,comdat
	.globl	_ZN2at6native12_GLOBAL__N_135GammaBetaBackwardCUDAKernelTemplateIddLj64ELj1ELj32ELb1ELb1ELb0EEEvllPKT_S5_PKT0_S8_PS3_S9_ ; -- Begin function _ZN2at6native12_GLOBAL__N_135GammaBetaBackwardCUDAKernelTemplateIddLj64ELj1ELj32ELb1ELb1ELb0EEEvllPKT_S5_PKT0_S8_PS3_S9_
	.p2align	8
	.type	_ZN2at6native12_GLOBAL__N_135GammaBetaBackwardCUDAKernelTemplateIddLj64ELj1ELj32ELb1ELb1ELb0EEEvllPKT_S5_PKT0_S8_PS3_S9_,@function
_ZN2at6native12_GLOBAL__N_135GammaBetaBackwardCUDAKernelTemplateIddLj64ELj1ELj32ELb1ELb1ELb0EEEvllPKT_S5_PKT0_S8_PS3_S9_: ; @_ZN2at6native12_GLOBAL__N_135GammaBetaBackwardCUDAKernelTemplateIddLj64ELj1ELj32ELb1ELb1ELb0EEEvllPKT_S5_PKT0_S8_PS3_S9_
; %bb.0:
	s_load_dwordx4 s[16:19], s[0:1], 0x0
	s_lshl_b32 s6, s3, 5
	s_mov_b32 s7, 0
	v_mov_b64_e32 v[2:3], s[6:7]
	s_mov_b32 s4, s3
	s_waitcnt lgkmcnt(0)
	v_cmp_gt_i64_e32 vcc, s[16:17], v[2:3]
	v_bfe_u32 v1, v0, 10, 10
	s_cbranch_vccnz .LBB27_2
; %bb.1:
	s_add_u32 s24, s0, 64
	s_addc_u32 s25, s1, 0
	s_mov_b64 s[8:9], 0
	v_bfe_u32 v4, v0, 10, 10
	s_branch .LBB27_3
.LBB27_2:
	s_mov_b64 s[8:9], -1
                                        ; implicit-def: $sgpr24_sgpr25
                                        ; implicit-def: $vgpr4
.LBB27_3:
	s_load_dwordx4 s[20:23], s[0:1], 0x30
	v_and_b32_e32 v0, 0x3ff, v0
	v_mov_b64_e32 v[10:11], 0
	s_andn2_b64 vcc, exec, s[8:9]
	v_mov_b64_e32 v[2:3], 0
	s_cbranch_vccnz .LBB27_11
; %bb.4:
	s_load_dword s3, s[0:1], 0x4c
	s_load_dword s5, s[0:1], 0x44
	s_load_dwordx8 s[8:15], s[0:1], 0x10
	s_add_u32 s24, s0, 64
	s_addc_u32 s25, s1, 0
	s_waitcnt lgkmcnt(0)
	s_and_b32 s0, s3, 0xffff
	v_mad_u32_u24 v2, v1, s0, v0
	v_lshlrev_b32_e32 v4, 5, v1
	v_mov_b32_e32 v5, 0
	v_mbcnt_lo_u32_b32 v6, -1, 0
	v_and_b32_e32 v2, 63, v2
	v_mov_b32_e32 v3, v5
	v_mbcnt_hi_u32_b32 v6, -1, v6
	s_lshl_b32 s26, s5, 5
	v_lshl_add_u64 v[10:11], v[4:5], 0, s[6:7]
	v_cmp_gt_u32_e64 s[0:1], 32, v2
	v_lshl_add_u32 v8, s2, 6, v0
	v_mov_b32_e32 v9, v5
	v_lshlrev_b32_e32 v6, 2, v6
	v_lshl_add_u64 v[4:5], v[10:11], 0, v[2:3]
	v_mul_lo_u32 v12, s19, v10
	v_mul_lo_u32 v11, s18, v11
	v_mad_u64_u32 v[2:3], s[30:31], s18, v10, 0
	s_mul_i32 s3, s19, s26
	s_mul_hi_u32 s5, s18, s26
	s_mov_b32 s27, 0
	v_and_b32_e32 v64, 0x100, v6
	v_add3_u32 v3, v3, v11, v12
	v_lshlrev_b64 v[8:9], 3, v[8:9]
	s_add_i32 s31, s5, s3
	s_mul_i32 s30, s18, s26
	v_or_b32_e32 v65, 4, v64
	v_or_b32_e32 v66, 8, v64
	;; [unrolled: 1-line block ×31, first 2 shown]
	v_lshlrev_b64 v[6:7], 3, v[4:5]
	s_lshl_b64 s[28:29], s[26:27], 3
	v_lshl_add_u64 v[8:9], v[2:3], 3, v[8:9]
	s_lshl_b64 s[30:31], s[30:31], 3
	s_lshl_b64 s[34:35], s[18:19], 3
	v_mov_b64_e32 v[2:3], 0
	v_mov_b64_e32 v[10:11], 0
	s_branch .LBB27_7
.LBB27_5:                               ;   in Loop: Header=BB27_7 Depth=1
	s_or_b64 exec, exec, s[38:39]
.LBB27_6:                               ;   in Loop: Header=BB27_7 Depth=1
	s_or_b64 exec, exec, s[36:37]
	v_lshl_add_u64 v[18:19], s[10:11], 0, v[8:9]
	v_lshl_add_u64 v[22:23], v[18:19], 0, s[34:35]
	global_load_dwordx2 v[40:41], v[18:19], off
	v_lshl_add_u64 v[20:21], s[8:9], 0, v[8:9]
	global_load_dwordx2 v[42:43], v[22:23], off
	;; [unrolled: 2-line block ×3, first 2 shown]
	v_lshl_add_u64 v[20:21], v[20:21], 0, s[34:35]
	v_lshl_add_u64 v[26:27], v[22:23], 0, s[34:35]
	global_load_dwordx2 v[18:19], v[20:21], off
	global_load_dwordx2 v[44:45], v[22:23], off
	v_lshl_add_u64 v[24:25], v[20:21], 0, s[34:35]
	global_load_dwordx2 v[46:47], v[26:27], off
	v_lshl_add_u64 v[26:27], v[26:27], 0, s[34:35]
	;; [unrolled: 2-line block ×5, first 2 shown]
	global_load_dwordx2 v[50:51], v[26:27], off
	global_load_dwordx2 v[24:25], v[28:29], off
	v_lshl_add_u64 v[30:31], v[26:27], 0, s[34:35]
	v_lshl_add_u64 v[28:29], v[28:29], 0, s[34:35]
	global_load_dwordx2 v[52:53], v[30:31], off
	global_load_dwordx2 v[26:27], v[28:29], off
	v_lshl_add_u64 v[32:33], v[28:29], 0, s[34:35]
	global_load_dwordx2 v[28:29], v[32:33], off
	v_lshl_add_u64 v[34:35], v[30:31], 0, s[34:35]
	;; [unrolled: 2-line block ×4, first 2 shown]
	v_lshl_add_u64 v[36:37], v[32:33], 0, s[34:35]
	global_load_dwordx2 v[62:63], v[34:35], off
	global_load_dwordx2 v[32:33], v[36:37], off
	v_lshl_add_u64 v[38:39], v[34:35], 0, s[34:35]
	global_load_dwordx2 v[106:107], v[38:39], off
	v_lshl_add_u64 v[36:37], v[36:37], 0, s[34:35]
	global_load_dwordx2 v[34:35], v[36:37], off
	v_lshl_add_u64 v[38:39], v[38:39], 0, s[34:35]
	v_lshl_add_u64 v[116:117], v[36:37], 0, s[34:35]
	global_load_dwordx2 v[118:119], v[38:39], off
	global_load_dwordx2 v[36:37], v[116:117], off
	s_waitcnt vmcnt(23)
	ds_bpermute_b32 v56, v64, v14
	ds_bpermute_b32 v57, v64, v15
	;; [unrolled: 1-line block ×4, first 2 shown]
	s_waitcnt vmcnt(22)
	ds_bpermute_b32 v58, v64, v12
	ds_bpermute_b32 v59, v64, v13
	;; [unrolled: 1-line block ×19, first 2 shown]
	v_lshl_add_u64 v[122:123], v[38:39], 0, s[34:35]
	ds_bpermute_b32 v121, v70, v15
	ds_bpermute_b32 v114, v69, v12
	;; [unrolled: 1-line block ×3, first 2 shown]
	v_lshl_add_u64 v[116:117], v[116:117], 0, s[34:35]
	global_load_dwordx2 v[124:125], v[122:123], off
	global_load_dwordx2 v[38:39], v[116:117], off
	s_add_u32 s6, s6, s26
	s_addc_u32 s7, s7, 0
	v_lshl_add_u64 v[6:7], v[6:7], 0, s[28:29]
	v_lshl_add_u64 v[4:5], v[4:5], 0, s[26:27]
	;; [unrolled: 1-line block ×3, first 2 shown]
	s_waitcnt vmcnt(23) lgkmcnt(14)
	v_add_f64 v[40:41], v[40:41], -v[56:57]
	ds_bpermute_b32 v56, v72, v12
	s_waitcnt vmcnt(22)
	v_add_f64 v[42:43], v[42:43], -v[60:61]
	ds_bpermute_b32 v57, v72, v13
	s_waitcnt vmcnt(21)
	v_mul_f64 v[40:41], v[16:17], v[40:41]
	v_fmac_f64_e32 v[2:3], v[40:41], v[58:59]
	v_add_f64 v[10:11], v[10:11], v[16:17]
	s_waitcnt vmcnt(20)
	v_mul_f64 v[40:41], v[18:19], v[42:43]
	s_waitcnt vmcnt(19)
	v_add_f64 v[42:43], v[44:45], -v[98:99]
	v_fmac_f64_e32 v[2:3], v[40:41], v[96:97]
	v_add_f64 v[10:11], v[10:11], v[18:19]
	ds_bpermute_b32 v16, v94, v14
	s_waitcnt vmcnt(17)
	v_mul_f64 v[40:41], v[20:21], v[42:43]
	v_add_f64 v[42:43], v[46:47], -v[102:103]
	s_waitcnt lgkmcnt(14)
	v_fmac_f64_e32 v[2:3], v[40:41], v[100:101]
	v_add_f64 v[10:11], v[10:11], v[20:21]
	s_waitcnt vmcnt(15)
	v_mul_f64 v[40:41], v[22:23], v[42:43]
	s_waitcnt lgkmcnt(13)
	v_add_f64 v[42:43], v[48:49], -v[108:109]
	s_waitcnt vmcnt(14) lgkmcnt(11)
	v_add_f64 v[44:45], v[50:51], -v[112:113]
	v_lshl_add_u64 v[50:51], v[122:123], 0, s[34:35]
	s_waitcnt lgkmcnt(9)
	v_fmac_f64_e32 v[2:3], v[40:41], v[104:105]
	s_waitcnt vmcnt(13)
	v_mul_f64 v[40:41], v[24:25], v[42:43]
	ds_bpermute_b32 v42, v70, v12
	ds_bpermute_b32 v43, v70, v13
	;; [unrolled: 1-line block ×3, first 2 shown]
	global_load_dwordx2 v[58:59], v[50:51], off
	v_lshl_add_u64 v[50:51], v[50:51], 0, s[34:35]
	ds_bpermute_b32 v49, v71, v15
	global_load_dwordx2 v[60:61], v[50:51], off
	s_waitcnt lgkmcnt(11)
	v_fmac_f64_e32 v[2:3], v[40:41], v[110:111]
	s_waitcnt vmcnt(14) lgkmcnt(9)
	v_add_f64 v[46:47], v[52:53], -v[120:121]
	s_waitcnt vmcnt(13)
	v_mul_f64 v[44:45], v[26:27], v[44:45]
	v_lshl_add_u64 v[52:53], v[116:117], 0, s[34:35]
	s_waitcnt lgkmcnt(7)
	v_fmac_f64_e32 v[2:3], v[44:45], v[114:115]
	s_waitcnt vmcnt(12)
	v_mul_f64 v[44:45], v[28:29], v[46:47]
	global_load_dwordx2 v[40:41], v[52:53], off
	s_waitcnt lgkmcnt(2)
	v_fmac_f64_e32 v[2:3], v[44:45], v[42:43]
	s_waitcnt vmcnt(12) lgkmcnt(0)
	v_add_f64 v[46:47], v[54:55], -v[48:49]
	ds_bpermute_b32 v48, v71, v12
	ds_bpermute_b32 v49, v71, v13
	;; [unrolled: 1-line block ×4, first 2 shown]
	v_lshl_add_u64 v[44:45], v[52:53], 0, s[34:35]
	v_lshl_add_u64 v[50:51], v[50:51], 0, s[34:35]
	global_load_dwordx2 v[42:43], v[44:45], off
	global_load_dwordx2 v[96:97], v[50:51], off
	v_lshl_add_u64 v[52:53], v[44:45], 0, s[34:35]
	global_load_dwordx2 v[44:45], v[52:53], off
	s_waitcnt vmcnt(14)
	v_mul_f64 v[46:47], v[30:31], v[46:47]
	s_waitcnt lgkmcnt(2)
	v_fmac_f64_e32 v[2:3], v[46:47], v[48:49]
	s_waitcnt vmcnt(13) lgkmcnt(0)
	v_add_f64 v[46:47], v[62:63], -v[54:55]
	v_lshl_add_u64 v[50:51], v[50:51], 0, s[34:35]
	s_waitcnt vmcnt(12)
	v_mul_f64 v[46:47], v[32:33], v[46:47]
	ds_bpermute_b32 v48, v73, v14
	ds_bpermute_b32 v49, v73, v15
	global_load_dwordx2 v[98:99], v[50:51], off
	v_lshl_add_u64 v[52:53], v[52:53], 0, s[34:35]
	v_fmac_f64_e32 v[2:3], v[46:47], v[56:57]
	global_load_dwordx2 v[46:47], v[52:53], off
	v_lshl_add_u64 v[50:51], v[50:51], 0, s[34:35]
	global_load_dwordx2 v[100:101], v[50:51], off
	v_lshl_add_u64 v[52:53], v[52:53], 0, s[34:35]
	s_waitcnt vmcnt(14) lgkmcnt(0)
	v_add_f64 v[56:57], v[106:107], -v[48:49]
	global_load_dwordx2 v[48:49], v[52:53], off
	v_lshl_add_u64 v[102:103], v[50:51], 0, s[34:35]
	global_load_dwordx2 v[104:105], v[102:103], off
	v_lshl_add_u64 v[52:53], v[52:53], 0, s[34:35]
	ds_bpermute_b32 v54, v73, v12
	ds_bpermute_b32 v55, v73, v13
	global_load_dwordx2 v[50:51], v[52:53], off
	ds_bpermute_b32 v62, v74, v14
	ds_bpermute_b32 v63, v74, v15
	;; [unrolled: 1-line block ×4, first 2 shown]
	s_waitcnt vmcnt(16)
	v_mul_f64 v[56:57], v[34:35], v[56:57]
	s_waitcnt lgkmcnt(4)
	v_fmac_f64_e32 v[2:3], v[56:57], v[54:55]
	v_lshl_add_u64 v[56:57], v[102:103], 0, s[34:35]
	s_waitcnt vmcnt(15) lgkmcnt(2)
	v_add_f64 v[54:55], v[118:119], -v[62:63]
	global_load_dwordx2 v[102:103], v[56:57], off
	v_lshl_add_u64 v[62:63], v[52:53], 0, s[34:35]
	s_waitcnt vmcnt(15)
	v_mul_f64 v[54:55], v[36:37], v[54:55]
	global_load_dwordx2 v[52:53], v[62:63], off
	v_lshl_add_u64 v[56:57], v[56:57], 0, s[34:35]
	s_waitcnt lgkmcnt(0)
	v_fmac_f64_e32 v[2:3], v[54:55], v[106:107]
	global_load_dwordx2 v[106:107], v[56:57], off
	ds_bpermute_b32 v54, v75, v14
	ds_bpermute_b32 v55, v75, v15
	;; [unrolled: 1-line block ×8, first 2 shown]
	s_waitcnt vmcnt(16) lgkmcnt(6)
	v_add_f64 v[54:55], v[124:125], -v[54:55]
	v_lshl_add_u64 v[62:63], v[62:63], 0, s[34:35]
	s_waitcnt vmcnt(15)
	v_mul_f64 v[110:111], v[38:39], v[54:55]
	global_load_dwordx2 v[54:55], v[62:63], off
	v_lshl_add_u64 v[62:63], v[62:63], 0, s[34:35]
	ds_bpermute_b32 v114, v76, v12
	ds_bpermute_b32 v115, v76, v13
	v_lshl_add_u64 v[118:119], v[56:57], 0, s[34:35]
	global_load_dwordx2 v[56:57], v[62:63], off
	s_waitcnt lgkmcnt(6)
	v_fmac_f64_e32 v[2:3], v[110:111], v[108:109]
	global_load_dwordx2 v[120:121], v[118:119], off
	v_lshl_add_u64 v[118:119], v[118:119], 0, s[34:35]
	ds_bpermute_b32 v110, v77, v12
	ds_bpermute_b32 v111, v77, v13
	global_load_dwordx2 v[122:123], v[118:119], off
	s_waitcnt vmcnt(17) lgkmcnt(6)
	v_add_f64 v[108:109], v[60:61], -v[116:117]
	v_lshl_add_u64 v[60:61], v[62:63], 0, s[34:35]
	ds_bpermute_b32 v62, v78, v14
	ds_bpermute_b32 v63, v78, v15
	s_waitcnt lgkmcnt(6)
	v_add_f64 v[58:59], v[58:59], -v[112:113]
	v_lshl_add_u64 v[112:113], v[118:119], 0, s[34:35]
	ds_bpermute_b32 v118, v78, v12
	ds_bpermute_b32 v119, v78, v13
	s_waitcnt vmcnt(16)
	v_mul_f64 v[58:59], v[40:41], v[58:59]
	s_waitcnt lgkmcnt(6)
	v_fmac_f64_e32 v[2:3], v[58:59], v[114:115]
	v_lshl_add_u64 v[116:117], v[60:61], 0, s[34:35]
	global_load_dwordx2 v[58:59], v[60:61], off
	global_load_dwordx2 v[114:115], v[112:113], off
	ds_bpermute_b32 v124, v85, v14
	global_load_dwordx2 v[60:61], v[116:117], off
	ds_bpermute_b32 v125, v85, v15
	s_waitcnt vmcnt(18)
	v_mul_f64 v[108:109], v[42:43], v[108:109]
	s_waitcnt vmcnt(17) lgkmcnt(4)
	v_add_f64 v[62:63], v[96:97], -v[62:63]
	ds_bpermute_b32 v96, v79, v14
	ds_bpermute_b32 v97, v79, v15
	v_fmac_f64_e32 v[2:3], v[108:109], v[110:111]
	s_waitcnt vmcnt(16)
	v_mul_f64 v[62:63], v[44:45], v[62:63]
	s_waitcnt lgkmcnt(4)
	v_fmac_f64_e32 v[2:3], v[62:63], v[118:119]
	v_lshl_add_u64 v[108:109], v[112:113], 0, s[34:35]
	v_lshl_add_u64 v[112:113], v[116:117], 0, s[34:35]
	ds_bpermute_b32 v116, v79, v12
	ds_bpermute_b32 v117, v79, v13
	ds_bpermute_b32 v118, v80, v14
	ds_bpermute_b32 v119, v80, v15
	s_waitcnt vmcnt(15) lgkmcnt(4)
	v_add_f64 v[96:97], v[98:99], -v[96:97]
	s_waitcnt vmcnt(14)
	v_mul_f64 v[96:97], v[46:47], v[96:97]
	ds_bpermute_b32 v98, v80, v12
	ds_bpermute_b32 v99, v80, v13
	s_waitcnt lgkmcnt(4)
	v_fmac_f64_e32 v[2:3], v[96:97], v[116:117]
	s_waitcnt vmcnt(13) lgkmcnt(2)
	v_add_f64 v[96:97], v[100:101], -v[118:119]
	ds_bpermute_b32 v100, v81, v14
	ds_bpermute_b32 v101, v81, v15
	;; [unrolled: 1-line block ×4, first 2 shown]
	s_waitcnt vmcnt(12)
	v_mul_f64 v[96:97], v[48:49], v[96:97]
	s_waitcnt lgkmcnt(4)
	v_fmac_f64_e32 v[2:3], v[96:97], v[98:99]
	v_lshl_add_u64 v[98:99], v[108:109], 0, s[34:35]
	s_waitcnt vmcnt(11) lgkmcnt(2)
	v_add_f64 v[96:97], v[104:105], -v[100:101]
	global_load_dwordx2 v[100:101], v[98:99], off
	global_load_dwordx2 v[110:111], v[108:109], off
	s_waitcnt vmcnt(12)
	v_mul_f64 v[96:97], v[50:51], v[96:97]
	global_load_dwordx2 v[62:63], v[112:113], off
	s_waitcnt lgkmcnt(0)
	v_fmac_f64_e32 v[2:3], v[96:97], v[116:117]
	ds_bpermute_b32 v96, v82, v14
	ds_bpermute_b32 v97, v82, v15
	v_lshl_add_u64 v[112:113], v[112:113], 0, s[34:35]
	global_load_dwordx2 v[116:117], v[112:113], off
	ds_bpermute_b32 v104, v82, v12
	ds_bpermute_b32 v105, v82, v13
	ds_bpermute_b32 v108, v83, v14
	ds_bpermute_b32 v109, v83, v15
	s_waitcnt vmcnt(13) lgkmcnt(4)
	v_add_f64 v[96:97], v[102:103], -v[96:97]
	s_waitcnt vmcnt(12)
	v_mul_f64 v[96:97], v[52:53], v[96:97]
	v_lshl_add_u64 v[98:99], v[98:99], 0, s[34:35]
	s_waitcnt lgkmcnt(2)
	v_fmac_f64_e32 v[2:3], v[96:97], v[104:105]
	s_waitcnt vmcnt(11) lgkmcnt(0)
	v_add_f64 v[96:97], v[106:107], -v[108:109]
	global_load_dwordx2 v[104:105], v[98:99], off
	v_lshl_add_u64 v[106:107], v[112:113], 0, s[34:35]
	global_load_dwordx2 v[108:109], v[106:107], off
	ds_bpermute_b32 v102, v83, v12
	ds_bpermute_b32 v103, v83, v13
	;; [unrolled: 1-line block ×6, first 2 shown]
	s_waitcnt vmcnt(12)
	v_mul_f64 v[96:97], v[54:55], v[96:97]
	s_waitcnt lgkmcnt(4)
	v_fmac_f64_e32 v[2:3], v[96:97], v[102:103]
	v_lshl_add_u64 v[98:99], v[98:99], 0, s[34:35]
	global_load_dwordx2 v[102:103], v[98:99], off
	v_lshl_add_u64 v[106:107], v[106:107], 0, s[34:35]
	s_waitcnt vmcnt(11) lgkmcnt(2)
	v_add_f64 v[96:97], v[120:121], -v[112:113]
	ds_bpermute_b32 v112, v85, v12
	ds_bpermute_b32 v113, v85, v13
	v_mul_f64 v[96:97], v[56:57], v[96:97]
	s_waitcnt lgkmcnt(2)
	v_fmac_f64_e32 v[2:3], v[96:97], v[118:119]
	s_waitcnt vmcnt(10)
	v_add_f64 v[96:97], v[122:123], -v[124:125]
	ds_bpermute_b32 v118, v86, v14
	ds_bpermute_b32 v119, v86, v15
	global_load_dwordx2 v[120:121], v[106:107], off
	ds_bpermute_b32 v124, v88, v14
	ds_bpermute_b32 v125, v88, v15
	v_lshl_add_u64 v[98:99], v[98:99], 0, s[34:35]
	v_lshl_add_u64 v[106:107], v[106:107], 0, s[34:35]
	v_add_f64 v[10:11], v[10:11], v[22:23]
	v_add_f64 v[10:11], v[10:11], v[24:25]
	;; [unrolled: 1-line block ×3, first 2 shown]
	s_waitcnt vmcnt(10)
	v_mul_f64 v[96:97], v[58:59], v[96:97]
	s_waitcnt lgkmcnt(4)
	v_fmac_f64_e32 v[2:3], v[96:97], v[112:113]
	ds_bpermute_b32 v96, v86, v12
	ds_bpermute_b32 v97, v86, v13
	s_waitcnt vmcnt(9) lgkmcnt(4)
	v_add_f64 v[112:113], v[114:115], -v[118:119]
	s_waitcnt vmcnt(8)
	v_mul_f64 v[112:113], v[60:61], v[112:113]
	global_load_dwordx2 v[114:115], v[98:99], off
	global_load_dwordx2 v[118:119], v[106:107], off
	s_waitcnt lgkmcnt(0)
	v_fmac_f64_e32 v[2:3], v[112:113], v[96:97]
	ds_bpermute_b32 v96, v87, v14
	ds_bpermute_b32 v97, v87, v15
	;; [unrolled: 1-line block ×4, first 2 shown]
	v_lshl_add_u64 v[98:99], v[98:99], 0, s[34:35]
	global_load_dwordx2 v[122:123], v[98:99], off
	v_lshl_add_u64 v[98:99], v[98:99], 0, s[34:35]
	v_add_f64 v[10:11], v[10:11], v[28:29]
	v_add_f64 v[10:11], v[10:11], v[30:31]
	;; [unrolled: 1-line block ×16, first 2 shown]
	s_waitcnt vmcnt(10)
	v_add_f64 v[100:101], v[100:101], -v[124:125]
	ds_bpermute_b32 v124, v88, v12
	ds_bpermute_b32 v125, v88, v13
	s_waitcnt vmcnt(9) lgkmcnt(4)
	v_add_f64 v[96:97], v[110:111], -v[96:97]
	s_waitcnt vmcnt(8)
	v_mul_f64 v[96:97], v[62:63], v[96:97]
	s_waitcnt lgkmcnt(2)
	v_fmac_f64_e32 v[2:3], v[96:97], v[112:113]
	v_lshl_add_u64 v[96:97], v[106:107], 0, s[34:35]
	global_load_dwordx2 v[106:107], v[96:97], off
	s_waitcnt vmcnt(8)
	v_mul_f64 v[100:101], v[116:117], v[100:101]
	s_waitcnt lgkmcnt(0)
	v_fmac_f64_e32 v[2:3], v[100:101], v[124:125]
	ds_bpermute_b32 v100, v89, v14
	ds_bpermute_b32 v101, v89, v15
	;; [unrolled: 1-line block ×4, first 2 shown]
	global_load_dwordx2 v[110:111], v[98:99], off
	v_lshl_add_u64 v[96:97], v[96:97], 0, s[34:35]
	global_load_dwordx2 v[112:113], v[96:97], off
	v_lshl_add_u64 v[96:97], v[96:97], 0, s[34:35]
	s_waitcnt vmcnt(9) lgkmcnt(2)
	v_add_f64 v[100:101], v[104:105], -v[100:101]
	v_lshl_add_u64 v[98:99], v[98:99], 0, s[34:35]
	s_waitcnt vmcnt(8)
	v_mul_f64 v[100:101], v[108:109], v[100:101]
	s_waitcnt lgkmcnt(0)
	v_fmac_f64_e32 v[2:3], v[100:101], v[124:125]
	global_load_dwordx2 v[100:101], v[98:99], off
	global_load_dwordx2 v[104:105], v[96:97], off
	v_lshl_add_u64 v[96:97], v[96:97], 0, s[34:35]
	v_lshl_add_u64 v[98:99], v[98:99], 0, s[34:35]
	global_load_dwordx2 v[98:99], v[98:99], off
	s_nop 0
	global_load_dwordx2 v[96:97], v[96:97], off
	ds_bpermute_b32 v124, v90, v14
	ds_bpermute_b32 v125, v90, v15
	;; [unrolled: 1-line block ×3, first 2 shown]
	v_add_f64 v[10:11], v[10:11], v[60:61]
	v_add_f64 v[10:11], v[10:11], v[62:63]
	ds_bpermute_b32 v18, v94, v12
	s_waitcnt vmcnt(11) lgkmcnt(2)
	v_add_f64 v[102:103], v[102:103], -v[124:125]
	ds_bpermute_b32 v124, v90, v12
	ds_bpermute_b32 v125, v90, v13
	ds_bpermute_b32 v19, v94, v13
	v_add_f64 v[10:11], v[10:11], v[116:117]
	v_add_f64 v[10:11], v[10:11], v[108:109]
	s_waitcnt vmcnt(10)
	v_mul_f64 v[102:103], v[120:121], v[102:103]
	s_waitcnt lgkmcnt(1)
	v_fmac_f64_e32 v[2:3], v[102:103], v[124:125]
	ds_bpermute_b32 v102, v91, v14
	ds_bpermute_b32 v103, v91, v15
	;; [unrolled: 1-line block ×4, first 2 shown]
	v_add_f64 v[10:11], v[10:11], v[120:121]
	s_waitcnt vmcnt(9) lgkmcnt(2)
	v_add_f64 v[102:103], v[114:115], -v[102:103]
	ds_bpermute_b32 v114, v91, v12
	ds_bpermute_b32 v115, v91, v13
	s_waitcnt vmcnt(8)
	v_mul_f64 v[102:103], v[118:119], v[102:103]
	v_add_f64 v[10:11], v[10:11], v[118:119]
	s_waitcnt lgkmcnt(0)
	v_fmac_f64_e32 v[2:3], v[102:103], v[114:115]
	s_waitcnt vmcnt(7)
	v_add_f64 v[102:103], v[122:123], -v[124:125]
	ds_bpermute_b32 v114, v92, v12
	ds_bpermute_b32 v115, v92, v13
	;; [unrolled: 1-line block ×10, first 2 shown]
	s_waitcnt vmcnt(6)
	v_mul_f64 v[102:103], v[106:107], v[102:103]
	s_waitcnt lgkmcnt(8)
	v_fmac_f64_e32 v[2:3], v[102:103], v[114:115]
	v_add_f64 v[10:11], v[10:11], v[106:107]
	s_waitcnt vmcnt(5) lgkmcnt(6)
	v_add_f64 v[102:103], v[110:111], -v[122:123]
	s_waitcnt vmcnt(4)
	v_mul_f64 v[102:103], v[112:113], v[102:103]
	s_waitcnt lgkmcnt(4)
	v_fmac_f64_e32 v[2:3], v[102:103], v[124:125]
	v_add_f64 v[10:11], v[10:11], v[112:113]
	s_waitcnt vmcnt(3)
	v_add_f64 v[16:17], v[100:101], -v[16:17]
	s_waitcnt vmcnt(2)
	v_mul_f64 v[16:17], v[104:105], v[16:17]
	v_fmac_f64_e32 v[2:3], v[16:17], v[18:19]
	s_waitcnt vmcnt(1) lgkmcnt(2)
	v_add_f64 v[14:15], v[98:99], -v[14:15]
	s_waitcnt vmcnt(0)
	v_mul_f64 v[14:15], v[96:97], v[14:15]
	s_waitcnt lgkmcnt(0)
	v_fmac_f64_e32 v[2:3], v[14:15], v[12:13]
	v_mov_b64_e32 v[12:13], s[16:17]
	v_add_f64 v[10:11], v[10:11], v[104:105]
	v_cmp_lt_i64_e32 vcc, s[6:7], v[12:13]
	v_add_f64 v[10:11], v[10:11], v[96:97]
	s_cbranch_vccz .LBB27_10
.LBB27_7:                               ; =>This Inner Loop Header: Depth=1
	v_mov_b64_e32 v[12:13], 0
	v_mov_b64_e32 v[14:15], 0
	s_and_saveexec_b64 s[36:37], s[0:1]
	s_cbranch_execz .LBB27_6
; %bb.8:                                ;   in Loop: Header=BB27_7 Depth=1
	v_cmp_gt_i64_e32 vcc, s[16:17], v[4:5]
	v_mov_b64_e32 v[14:15], 0
	v_mov_b64_e32 v[12:13], 0
	s_and_saveexec_b64 s[38:39], vcc
	s_cbranch_execz .LBB27_5
; %bb.9:                                ;   in Loop: Header=BB27_7 Depth=1
	v_lshl_add_u64 v[18:19], s[12:13], 0, v[6:7]
	v_lshl_add_u64 v[16:17], s[14:15], 0, v[6:7]
	global_load_dwordx2 v[14:15], v[18:19], off
	global_load_dwordx2 v[12:13], v[16:17], off
	s_branch .LBB27_5
.LBB27_10:
	v_mov_b32_e32 v4, v1
.LBB27_11:
	s_load_dword s5, s[24:25], 0xc
	s_mov_b32 s3, 0
	v_mov_b32_e32 v1, 0
	s_lshl_b64 s[0:1], s[2:3], 6
	v_lshl_add_u64 v[6:7], s[0:1], 0, v[0:1]
	s_waitcnt lgkmcnt(0)
	s_lshr_b32 s0, s5, 16
	v_mov_b32_e32 v5, v1
	v_mov_b32_e32 v0, s4
	v_mad_u64_u32 v[0:1], s[0:1], s0, v0, v[4:5]
	s_cmp_eq_u64 s[20:21], 0
	v_mul_lo_u32 v1, v1, s18
	v_mul_lo_u32 v4, v0, s19
	s_cbranch_scc1 .LBB27_13
; %bb.12:
	v_mad_u64_u32 v[8:9], s[0:1], v0, s18, 0
	v_add3_u32 v9, v9, v4, v1
	v_lshl_add_u64 v[8:9], v[8:9], 3, s[20:21]
	v_lshl_add_u64 v[8:9], v[6:7], 3, v[8:9]
	global_store_dwordx2 v[8:9], v[2:3], off
.LBB27_13:
	s_cmp_eq_u64 s[22:23], 0
	s_cbranch_scc1 .LBB27_15
; %bb.14:
	v_mad_u64_u32 v[2:3], s[0:1], v0, s18, 0
	v_add3_u32 v3, v3, v4, v1
	v_lshl_add_u64 v[0:1], v[2:3], 3, s[22:23]
	v_lshl_add_u64 v[0:1], v[6:7], 3, v[0:1]
	global_store_dwordx2 v[0:1], v[10:11], off
.LBB27_15:
	s_endpgm
	.section	.rodata,"a",@progbits
	.p2align	6, 0x0
	.amdhsa_kernel _ZN2at6native12_GLOBAL__N_135GammaBetaBackwardCUDAKernelTemplateIddLj64ELj1ELj32ELb1ELb1ELb0EEEvllPKT_S5_PKT0_S8_PS3_S9_
		.amdhsa_group_segment_fixed_size 0
		.amdhsa_private_segment_fixed_size 0
		.amdhsa_kernarg_size 320
		.amdhsa_user_sgpr_count 2
		.amdhsa_user_sgpr_dispatch_ptr 0
		.amdhsa_user_sgpr_queue_ptr 0
		.amdhsa_user_sgpr_kernarg_segment_ptr 1
		.amdhsa_user_sgpr_dispatch_id 0
		.amdhsa_user_sgpr_kernarg_preload_length 0
		.amdhsa_user_sgpr_kernarg_preload_offset 0
		.amdhsa_user_sgpr_private_segment_size 0
		.amdhsa_uses_dynamic_stack 0
		.amdhsa_enable_private_segment 0
		.amdhsa_system_sgpr_workgroup_id_x 1
		.amdhsa_system_sgpr_workgroup_id_y 1
		.amdhsa_system_sgpr_workgroup_id_z 0
		.amdhsa_system_sgpr_workgroup_info 0
		.amdhsa_system_vgpr_workitem_id 1
		.amdhsa_next_free_vgpr 126
		.amdhsa_next_free_sgpr 40
		.amdhsa_accum_offset 128
		.amdhsa_reserve_vcc 1
		.amdhsa_float_round_mode_32 0
		.amdhsa_float_round_mode_16_64 0
		.amdhsa_float_denorm_mode_32 3
		.amdhsa_float_denorm_mode_16_64 3
		.amdhsa_dx10_clamp 1
		.amdhsa_ieee_mode 1
		.amdhsa_fp16_overflow 0
		.amdhsa_tg_split 0
		.amdhsa_exception_fp_ieee_invalid_op 0
		.amdhsa_exception_fp_denorm_src 0
		.amdhsa_exception_fp_ieee_div_zero 0
		.amdhsa_exception_fp_ieee_overflow 0
		.amdhsa_exception_fp_ieee_underflow 0
		.amdhsa_exception_fp_ieee_inexact 0
		.amdhsa_exception_int_div_zero 0
	.end_amdhsa_kernel
	.section	.text._ZN2at6native12_GLOBAL__N_135GammaBetaBackwardCUDAKernelTemplateIddLj64ELj1ELj32ELb1ELb1ELb0EEEvllPKT_S5_PKT0_S8_PS3_S9_,"axG",@progbits,_ZN2at6native12_GLOBAL__N_135GammaBetaBackwardCUDAKernelTemplateIddLj64ELj1ELj32ELb1ELb1ELb0EEEvllPKT_S5_PKT0_S8_PS3_S9_,comdat
.Lfunc_end27:
	.size	_ZN2at6native12_GLOBAL__N_135GammaBetaBackwardCUDAKernelTemplateIddLj64ELj1ELj32ELb1ELb1ELb0EEEvllPKT_S5_PKT0_S8_PS3_S9_, .Lfunc_end27-_ZN2at6native12_GLOBAL__N_135GammaBetaBackwardCUDAKernelTemplateIddLj64ELj1ELj32ELb1ELb1ELb0EEEvllPKT_S5_PKT0_S8_PS3_S9_
                                        ; -- End function
	.set _ZN2at6native12_GLOBAL__N_135GammaBetaBackwardCUDAKernelTemplateIddLj64ELj1ELj32ELb1ELb1ELb0EEEvllPKT_S5_PKT0_S8_PS3_S9_.num_vgpr, 126
	.set _ZN2at6native12_GLOBAL__N_135GammaBetaBackwardCUDAKernelTemplateIddLj64ELj1ELj32ELb1ELb1ELb0EEEvllPKT_S5_PKT0_S8_PS3_S9_.num_agpr, 0
	.set _ZN2at6native12_GLOBAL__N_135GammaBetaBackwardCUDAKernelTemplateIddLj64ELj1ELj32ELb1ELb1ELb0EEEvllPKT_S5_PKT0_S8_PS3_S9_.numbered_sgpr, 40
	.set _ZN2at6native12_GLOBAL__N_135GammaBetaBackwardCUDAKernelTemplateIddLj64ELj1ELj32ELb1ELb1ELb0EEEvllPKT_S5_PKT0_S8_PS3_S9_.num_named_barrier, 0
	.set _ZN2at6native12_GLOBAL__N_135GammaBetaBackwardCUDAKernelTemplateIddLj64ELj1ELj32ELb1ELb1ELb0EEEvllPKT_S5_PKT0_S8_PS3_S9_.private_seg_size, 0
	.set _ZN2at6native12_GLOBAL__N_135GammaBetaBackwardCUDAKernelTemplateIddLj64ELj1ELj32ELb1ELb1ELb0EEEvllPKT_S5_PKT0_S8_PS3_S9_.uses_vcc, 1
	.set _ZN2at6native12_GLOBAL__N_135GammaBetaBackwardCUDAKernelTemplateIddLj64ELj1ELj32ELb1ELb1ELb0EEEvllPKT_S5_PKT0_S8_PS3_S9_.uses_flat_scratch, 0
	.set _ZN2at6native12_GLOBAL__N_135GammaBetaBackwardCUDAKernelTemplateIddLj64ELj1ELj32ELb1ELb1ELb0EEEvllPKT_S5_PKT0_S8_PS3_S9_.has_dyn_sized_stack, 0
	.set _ZN2at6native12_GLOBAL__N_135GammaBetaBackwardCUDAKernelTemplateIddLj64ELj1ELj32ELb1ELb1ELb0EEEvllPKT_S5_PKT0_S8_PS3_S9_.has_recursion, 0
	.set _ZN2at6native12_GLOBAL__N_135GammaBetaBackwardCUDAKernelTemplateIddLj64ELj1ELj32ELb1ELb1ELb0EEEvllPKT_S5_PKT0_S8_PS3_S9_.has_indirect_call, 0
	.section	.AMDGPU.csdata,"",@progbits
; Kernel info:
; codeLenInByte = 4132
; TotalNumSgprs: 46
; NumVgprs: 126
; NumAgprs: 0
; TotalNumVgprs: 126
; ScratchSize: 0
; MemoryBound: 0
; FloatMode: 240
; IeeeMode: 1
; LDSByteSize: 0 bytes/workgroup (compile time only)
; SGPRBlocks: 5
; VGPRBlocks: 15
; NumSGPRsForWavesPerEU: 46
; NumVGPRsForWavesPerEU: 126
; AccumOffset: 128
; Occupancy: 4
; WaveLimiterHint : 0
; COMPUTE_PGM_RSRC2:SCRATCH_EN: 0
; COMPUTE_PGM_RSRC2:USER_SGPR: 2
; COMPUTE_PGM_RSRC2:TRAP_HANDLER: 0
; COMPUTE_PGM_RSRC2:TGID_X_EN: 1
; COMPUTE_PGM_RSRC2:TGID_Y_EN: 1
; COMPUTE_PGM_RSRC2:TGID_Z_EN: 0
; COMPUTE_PGM_RSRC2:TIDIG_COMP_CNT: 1
; COMPUTE_PGM_RSRC3_GFX90A:ACCUM_OFFSET: 31
; COMPUTE_PGM_RSRC3_GFX90A:TG_SPLIT: 0
	.section	.text._ZN2at6native12_GLOBAL__N_135GammaBetaBackwardCUDAKernelTemplateIddLj64ELj1ELj32ELb1ELb0ELb0EEEvllPKT_S5_PKT0_S8_PS3_S9_,"axG",@progbits,_ZN2at6native12_GLOBAL__N_135GammaBetaBackwardCUDAKernelTemplateIddLj64ELj1ELj32ELb1ELb0ELb0EEEvllPKT_S5_PKT0_S8_PS3_S9_,comdat
	.globl	_ZN2at6native12_GLOBAL__N_135GammaBetaBackwardCUDAKernelTemplateIddLj64ELj1ELj32ELb1ELb0ELb0EEEvllPKT_S5_PKT0_S8_PS3_S9_ ; -- Begin function _ZN2at6native12_GLOBAL__N_135GammaBetaBackwardCUDAKernelTemplateIddLj64ELj1ELj32ELb1ELb0ELb0EEEvllPKT_S5_PKT0_S8_PS3_S9_
	.p2align	8
	.type	_ZN2at6native12_GLOBAL__N_135GammaBetaBackwardCUDAKernelTemplateIddLj64ELj1ELj32ELb1ELb0ELb0EEEvllPKT_S5_PKT0_S8_PS3_S9_,@function
_ZN2at6native12_GLOBAL__N_135GammaBetaBackwardCUDAKernelTemplateIddLj64ELj1ELj32ELb1ELb0ELb0EEEvllPKT_S5_PKT0_S8_PS3_S9_: ; @_ZN2at6native12_GLOBAL__N_135GammaBetaBackwardCUDAKernelTemplateIddLj64ELj1ELj32ELb1ELb0ELb0EEEvllPKT_S5_PKT0_S8_PS3_S9_
; %bb.0:
	s_load_dwordx8 s[12:19], s[0:1], 0x0
	s_load_dwordx4 s[20:23], s[0:1], 0x20
	s_mov_b32 s8, s3
	s_lshl_b32 s3, s2, 6
	s_or_b32 s4, s3, 63
	s_mov_b32 s11, 0
	v_mov_b32_e32 v2, s4
	v_mov_b32_e32 v3, 0
	s_lshl_b32 s10, s8, 5
	s_waitcnt lgkmcnt(0)
	v_cmp_le_i64_e32 vcc, s[14:15], v[2:3]
	v_mov_b64_e32 v[2:3], s[10:11]
	v_cmp_gt_i64_e64 s[4:5], s[12:13], v[2:3]
	s_nop 1
	v_cndmask_b32_e64 v1, 0, 1, s[4:5]
	v_cmp_ne_u32_e64 s[4:5], 1, v1
	s_cbranch_vccz .LBB28_145
; %bb.1:
	v_mov_b64_e32 v[142:143], 0
	s_and_b64 vcc, exec, s[4:5]
	v_mov_b64_e32 v[138:139], 0
	s_cbranch_vccnz .LBB28_147
; %bb.2:
	v_and_b32_e32 v1, 0x3ff, v0
	v_mov_b32_e32 v3, 0
	v_mov_b32_e32 v141, v0
	v_bfe_u32 v0, v0, 10, 10
	v_lshlrev_b32_e32 v6, 5, v0
	v_mov_b32_e32 v7, v3
	v_accvgpr_write_b32 a2, v1
	v_add_u32_e32 v2, s3, v1
	v_accvgpr_write_b32 a3, v0
	v_lshl_add_u64 v[0:1], v[6:7], 0, s[10:11]
	v_cmp_gt_i64_e64 s[6:7], s[14:15], v[2:3]
	v_accvgpr_write_b32 a5, v3
	v_lshlrev_b64 v[8:9], 3, v[2:3]
	v_mul_lo_u32 v4, s15, v0
	v_mul_lo_u32 v5, s14, v1
	v_mad_u64_u32 v[2:3], s[28:29], s14, v0, 0
	v_add3_u32 v3, v3, v5, v4
	v_lshlrev_b64 v[2:3], 3, v[2:3]
	v_lshl_add_u64 v[10:11], s[16:17], 0, v[2:3]
	v_lshl_add_u64 v[12:13], s[18:19], 0, v[2:3]
	v_lshl_add_u64 v[2:3], v[0:1], 0, 31
	v_mul_lo_u32 v14, s15, v2
	v_mul_lo_u32 v15, s14, v3
	v_mad_u64_u32 v[2:3], s[34:35], s14, v2, 0
	v_add3_u32 v3, v3, v15, v14
	v_lshlrev_b64 v[2:3], 3, v[2:3]
	v_lshl_add_u64 v[14:15], s[16:17], 0, v[2:3]
	v_lshl_add_u64 v[16:17], s[18:19], 0, v[2:3]
	v_lshl_add_u64 v[2:3], v[0:1], 0, 30
	;; [unrolled: 8-line block ×29, first 2 shown]
	v_mul_lo_u32 v126, s15, v2
	v_mul_lo_u32 v127, s14, v3
	v_mad_u64_u32 v[2:3], s[34:35], s14, v2, 0
	v_add3_u32 v3, v3, v127, v126
	v_lshlrev_b64 v[2:3], 3, v[2:3]
	s_load_dword s9, s[0:1], 0x44
	v_lshl_add_u64 v[126:127], s[16:17], 0, v[2:3]
	v_lshl_add_u64 v[128:129], s[18:19], 0, v[2:3]
	v_lshl_add_u64 v[2:3], v[0:1], 0, 2
	v_mul_lo_u32 v1, s15, v2
	v_mul_lo_u32 v130, s14, v3
	v_mad_u64_u32 v[2:3], s[34:35], s14, v2, 0
	v_add3_u32 v3, v3, v130, v1
	v_lshlrev_b64 v[2:3], 3, v[2:3]
	s_add_u32 s26, s0, 64
	v_lshl_add_u64 v[130:131], s[16:17], 0, v[2:3]
	v_lshl_add_u64 v[132:133], s[18:19], 0, v[2:3]
	v_mov_b64_e32 v[2:3], s[14:15]
	s_addc_u32 s27, s1, 0
	s_waitcnt lgkmcnt(0)
	s_lshl_b32 s24, s9, 5
	v_mad_u64_u32 v[0:1], s[34:35], s14, v0, v[2:3]
	v_mbcnt_lo_u32_b32 v2, -1, 0
	s_mul_i32 s9, s15, s24
	s_mul_hi_u32 s28, s14, s24
	v_add3_u32 v1, v4, v1, v5
	v_mbcnt_hi_u32_b32 v2, -1, v2
	s_add_i32 s29, s28, s9
	s_mul_i32 s28, s14, s24
	v_lshlrev_b64 v[0:1], 3, v[0:1]
	v_lshlrev_b32_e32 v2, 2, v2
	v_accvgpr_write_b32 a0, 0
	s_mov_b32 s25, 0
	s_lshl_b64 s[28:29], s[28:29], 3
	s_mov_b64 s[30:31], 31
	v_lshl_add_u64 v[134:135], s[16:17], 0, v[0:1]
	v_lshl_add_u64 v[136:137], s[18:19], 0, v[0:1]
	v_mov_b64_e32 v[0:1], 0
	v_and_b32_e32 v140, 0x100, v2
	v_accvgpr_write_b32 a1, 0
	s_mov_b64 s[34:35], s[10:11]
.LBB28_3:                               ; =>This Inner Loop Header: Depth=1
	s_add_u32 s36, s10, s30
	s_addc_u32 s37, 0, s31
	v_mov_b64_e32 v[2:3], s[12:13]
	v_cmp_ge_i64_e32 vcc, s[36:37], v[2:3]
	v_lshl_add_u64 v[144:145], s[10:11], 0, v[6:7]
	s_mov_b64 s[36:37], -1
	s_and_b64 vcc, exec, vcc
                                        ; implicit-def: $vgpr4_vgpr5
                                        ; implicit-def: $agpr6_agpr7
                                        ; implicit-def: $agpr8_agpr9
                                        ; implicit-def: $vgpr142
                                        ; implicit-def: $vgpr2_vgpr3
                                        ; implicit-def: $vgpr138_vgpr139
	s_cbranch_vccz .LBB28_73
; %bb.4:                                ;   in Loop: Header=BB28_3 Depth=1
	s_load_dword s9, s[26:27], 0xc
	v_accvgpr_read_b32 v2, a2
	v_accvgpr_read_b32 v3, a3
	v_mov_b64_e32 v[158:159], 0
	v_mov_b64_e32 v[148:149], 0
	s_waitcnt lgkmcnt(0)
	s_and_b32 s9, s9, 0xffff
	v_mad_u32_u24 v2, v3, s9, v2
	v_accvgpr_read_b32 v3, a5
	v_and_b32_e32 v2, 63, v2
	v_accvgpr_write_b32 a5, v3
	v_accvgpr_write_b32 a4, v2
	v_cmp_gt_u32_e32 vcc, 32, v2
	v_mov_b64_e32 v[146:147], 0
	s_and_saveexec_b64 s[36:37], vcc
	s_cbranch_execz .LBB28_8
; %bb.5:                                ;   in Loop: Header=BB28_3 Depth=1
	v_accvgpr_read_b32 v2, a4
	v_accvgpr_read_b32 v3, a5
	v_lshl_add_u64 v[2:3], v[144:145], 0, v[2:3]
	v_cmp_gt_i64_e32 vcc, s[12:13], v[2:3]
	v_mov_b64_e32 v[146:147], 0
	v_mov_b64_e32 v[148:149], 0
	s_and_saveexec_b64 s[38:39], vcc
	s_cbranch_execz .LBB28_7
; %bb.6:                                ;   in Loop: Header=BB28_3 Depth=1
	v_lshlrev_b64 v[2:3], 3, v[2:3]
	v_lshl_add_u64 v[4:5], s[22:23], 0, v[2:3]
	v_lshl_add_u64 v[2:3], s[20:21], 0, v[2:3]
	global_load_dwordx2 v[146:147], v[2:3], off
	global_load_dwordx2 v[148:149], v[4:5], off
.LBB28_7:                               ;   in Loop: Header=BB28_3 Depth=1
	s_or_b64 exec, exec, s[38:39]
.LBB28_8:                               ;   in Loop: Header=BB28_3 Depth=1
	s_or_b64 exec, exec, s[36:37]
	v_cmp_gt_i64_e32 vcc, s[12:13], v[144:145]
	s_and_b64 s[38:39], s[6:7], vcc
	v_mov_b64_e32 v[138:139], 0
	s_and_saveexec_b64 s[36:37], s[38:39]
	s_cbranch_execz .LBB28_10
; %bb.9:                                ;   in Loop: Header=BB28_3 Depth=1
	v_lshl_add_u64 v[2:3], v[10:11], 0, v[8:9]
	global_load_dwordx2 v[158:159], v[2:3], off
	v_lshl_add_u64 v[2:3], v[12:13], 0, v[8:9]
	global_load_dwordx2 v[138:139], v[2:3], off
.LBB28_10:                              ;   in Loop: Header=BB28_3 Depth=1
	s_or_b64 exec, exec, s[36:37]
	v_lshl_add_u64 v[2:3], v[144:145], 0, 1
	v_cmp_gt_i64_e32 vcc, s[12:13], v[2:3]
	s_and_b64 s[38:39], s[6:7], vcc
	v_mov_b64_e32 v[4:5], 0
	v_mov_b64_e32 v[2:3], 0
	;; [unrolled: 1-line block ×3, first 2 shown]
	s_and_saveexec_b64 s[36:37], s[38:39]
	s_cbranch_execz .LBB28_12
; %bb.11:                               ;   in Loop: Header=BB28_3 Depth=1
	v_lshl_add_u64 v[2:3], v[134:135], 0, v[8:9]
	v_lshl_add_u64 v[142:143], v[136:137], 0, v[8:9]
	global_load_dwordx2 v[2:3], v[2:3], off
	s_nop 0
	global_load_dwordx2 v[166:167], v[142:143], off
.LBB28_12:                              ;   in Loop: Header=BB28_3 Depth=1
	s_or_b64 exec, exec, s[36:37]
	v_lshl_add_u64 v[142:143], v[144:145], 0, 2
	v_cmp_gt_i64_e32 vcc, s[12:13], v[142:143]
	s_and_b64 s[38:39], s[6:7], vcc
	v_mov_b64_e32 v[160:161], 0
	s_and_saveexec_b64 s[36:37], s[38:39]
	s_cbranch_execz .LBB28_14
; %bb.13:                               ;   in Loop: Header=BB28_3 Depth=1
	v_lshl_add_u64 v[4:5], v[130:131], 0, v[8:9]
	v_lshl_add_u64 v[142:143], v[132:133], 0, v[8:9]
	global_load_dwordx2 v[4:5], v[4:5], off
	s_nop 0
	global_load_dwordx2 v[160:161], v[142:143], off
.LBB28_14:                              ;   in Loop: Header=BB28_3 Depth=1
	s_or_b64 exec, exec, s[36:37]
	v_lshl_add_u64 v[142:143], v[144:145], 0, 3
	v_cmp_gt_i64_e32 vcc, s[12:13], v[142:143]
	s_and_b64 s[38:39], s[6:7], vcc
	v_mov_b64_e32 v[248:249], 0
	v_mov_b64_e32 v[142:143], 0
	;; [unrolled: 1-line block ×3, first 2 shown]
	s_and_saveexec_b64 s[36:37], s[38:39]
	s_cbranch_execz .LBB28_16
; %bb.15:                               ;   in Loop: Header=BB28_3 Depth=1
	v_lshl_add_u64 v[142:143], v[126:127], 0, v[8:9]
	v_lshl_add_u64 v[150:151], v[128:129], 0, v[8:9]
	global_load_dwordx2 v[142:143], v[142:143], off
	s_nop 0
	global_load_dwordx2 v[152:153], v[150:151], off
.LBB28_16:                              ;   in Loop: Header=BB28_3 Depth=1
	s_or_b64 exec, exec, s[36:37]
	v_lshl_add_u64 v[150:151], v[144:145], 0, 4
	v_cmp_gt_i64_e32 vcc, s[12:13], v[150:151]
	s_and_b64 s[38:39], s[6:7], vcc
	v_mov_b64_e32 v[254:255], 0
	s_and_saveexec_b64 s[36:37], s[38:39]
	s_cbranch_execz .LBB28_18
; %bb.17:                               ;   in Loop: Header=BB28_3 Depth=1
	v_lshl_add_u64 v[150:151], v[122:123], 0, v[8:9]
	global_load_dwordx2 v[248:249], v[150:151], off
	v_lshl_add_u64 v[150:151], v[124:125], 0, v[8:9]
	global_load_dwordx2 v[254:255], v[150:151], off
.LBB28_18:                              ;   in Loop: Header=BB28_3 Depth=1
	s_or_b64 exec, exec, s[36:37]
	v_lshl_add_u64 v[150:151], v[144:145], 0, 5
	v_cmp_gt_i64_e32 vcc, s[12:13], v[150:151]
	s_and_b64 s[38:39], s[6:7], vcc
	v_mov_b64_e32 v[240:241], 0
	v_mov_b64_e32 v[250:251], 0
	v_mov_b64_e32 v[252:253], 0
	s_and_saveexec_b64 s[36:37], s[38:39]
	s_cbranch_execz .LBB28_20
; %bb.19:                               ;   in Loop: Header=BB28_3 Depth=1
	v_lshl_add_u64 v[150:151], v[118:119], 0, v[8:9]
	global_load_dwordx2 v[250:251], v[150:151], off
	v_lshl_add_u64 v[150:151], v[120:121], 0, v[8:9]
	global_load_dwordx2 v[252:253], v[150:151], off
.LBB28_20:                              ;   in Loop: Header=BB28_3 Depth=1
	s_or_b64 exec, exec, s[36:37]
	v_lshl_add_u64 v[150:151], v[144:145], 0, 6
	v_cmp_gt_i64_e32 vcc, s[12:13], v[150:151]
	s_and_b64 s[38:39], s[6:7], vcc
	v_mov_b64_e32 v[246:247], 0
	s_and_saveexec_b64 s[36:37], s[38:39]
	s_cbranch_execz .LBB28_22
; %bb.21:                               ;   in Loop: Header=BB28_3 Depth=1
	v_lshl_add_u64 v[150:151], v[114:115], 0, v[8:9]
	global_load_dwordx2 v[240:241], v[150:151], off
	v_lshl_add_u64 v[150:151], v[116:117], 0, v[8:9]
	global_load_dwordx2 v[246:247], v[150:151], off
.LBB28_22:                              ;   in Loop: Header=BB28_3 Depth=1
	s_or_b64 exec, exec, s[36:37]
	v_lshl_add_u64 v[150:151], v[144:145], 0, 7
	v_cmp_gt_i64_e32 vcc, s[12:13], v[150:151]
	s_and_b64 s[38:39], s[6:7], vcc
	v_mov_b64_e32 v[232:233], 0
	v_mov_b64_e32 v[242:243], 0
	v_mov_b64_e32 v[244:245], 0
	s_and_saveexec_b64 s[36:37], s[38:39]
	s_cbranch_execz .LBB28_24
; %bb.23:                               ;   in Loop: Header=BB28_3 Depth=1
	v_lshl_add_u64 v[150:151], v[110:111], 0, v[8:9]
	global_load_dwordx2 v[242:243], v[150:151], off
	v_lshl_add_u64 v[150:151], v[112:113], 0, v[8:9]
	global_load_dwordx2 v[244:245], v[150:151], off
.LBB28_24:                              ;   in Loop: Header=BB28_3 Depth=1
	;; [unrolled: 28-line block ×10, first 2 shown]
	s_or_b64 exec, exec, s[36:37]
	v_lshl_add_u64 v[150:151], v[144:145], 0, 24
	v_cmp_gt_i64_e32 vcc, s[12:13], v[150:151]
	v_accvgpr_write_b32 a22, 0
	s_and_b64 s[38:39], s[6:7], vcc
	v_accvgpr_write_b32 a23, 0
	s_and_saveexec_b64 s[36:37], s[38:39]
	s_cbranch_execz .LBB28_58
; %bb.57:                               ;   in Loop: Header=BB28_3 Depth=1
	v_lshl_add_u64 v[150:151], v[42:43], 0, v[8:9]
	global_load_dwordx2 v[168:169], v[150:151], off
	v_lshl_add_u64 v[150:151], v[44:45], 0, v[8:9]
	global_load_dwordx2 a[22:23], v[150:151], off
.LBB28_58:                              ;   in Loop: Header=BB28_3 Depth=1
	s_or_b64 exec, exec, s[36:37]
	v_lshl_add_u64 v[150:151], v[144:145], 0, 25
	v_cmp_gt_i64_e32 vcc, s[12:13], v[150:151]
	v_accvgpr_write_b32 a20, 0
	s_and_b64 s[38:39], s[6:7], vcc
	v_mov_b64_e32 v[162:163], 0
	v_mov_b64_e32 v[170:171], 0
	v_accvgpr_write_b32 a21, 0
	s_and_saveexec_b64 s[36:37], s[38:39]
	s_cbranch_execz .LBB28_60
; %bb.59:                               ;   in Loop: Header=BB28_3 Depth=1
	v_lshl_add_u64 v[150:151], v[38:39], 0, v[8:9]
	global_load_dwordx2 v[170:171], v[150:151], off
	v_lshl_add_u64 v[150:151], v[40:41], 0, v[8:9]
	global_load_dwordx2 a[20:21], v[150:151], off
.LBB28_60:                              ;   in Loop: Header=BB28_3 Depth=1
	s_or_b64 exec, exec, s[36:37]
	v_lshl_add_u64 v[150:151], v[144:145], 0, 26
	v_cmp_gt_i64_e32 vcc, s[12:13], v[150:151]
	v_accvgpr_write_b32 a18, 0
	s_and_b64 s[38:39], s[6:7], vcc
	v_accvgpr_write_b32 a19, 0
	s_and_saveexec_b64 s[36:37], s[38:39]
	s_cbranch_execz .LBB28_62
; %bb.61:                               ;   in Loop: Header=BB28_3 Depth=1
	v_lshl_add_u64 v[150:151], v[34:35], 0, v[8:9]
	global_load_dwordx2 v[162:163], v[150:151], off
	v_lshl_add_u64 v[150:151], v[36:37], 0, v[8:9]
	global_load_dwordx2 a[18:19], v[150:151], off
.LBB28_62:                              ;   in Loop: Header=BB28_3 Depth=1
	s_or_b64 exec, exec, s[36:37]
	v_lshl_add_u64 v[150:151], v[144:145], 0, 27
	v_cmp_gt_i64_e32 vcc, s[12:13], v[150:151]
	v_accvgpr_write_b32 a16, 0
	s_and_b64 s[38:39], s[6:7], vcc
	v_mov_b64_e32 v[154:155], 0
	v_mov_b64_e32 v[164:165], 0
	v_accvgpr_write_b32 a17, 0
	s_and_saveexec_b64 s[36:37], s[38:39]
	s_cbranch_execz .LBB28_64
; %bb.63:                               ;   in Loop: Header=BB28_3 Depth=1
	v_lshl_add_u64 v[150:151], v[30:31], 0, v[8:9]
	global_load_dwordx2 v[164:165], v[150:151], off
	v_lshl_add_u64 v[150:151], v[32:33], 0, v[8:9]
	global_load_dwordx2 a[16:17], v[150:151], off
.LBB28_64:                              ;   in Loop: Header=BB28_3 Depth=1
	s_or_b64 exec, exec, s[36:37]
	v_lshl_add_u64 v[150:151], v[144:145], 0, 28
	v_cmp_gt_i64_e32 vcc, s[12:13], v[150:151]
	v_accvgpr_write_b32 a14, 0
	s_and_b64 s[38:39], s[6:7], vcc
	v_accvgpr_write_b32 a15, 0
	s_and_saveexec_b64 s[36:37], s[38:39]
	s_cbranch_execz .LBB28_66
; %bb.65:                               ;   in Loop: Header=BB28_3 Depth=1
	v_lshl_add_u64 v[150:151], v[26:27], 0, v[8:9]
	global_load_dwordx2 v[154:155], v[150:151], off
	v_lshl_add_u64 v[150:151], v[28:29], 0, v[8:9]
	global_load_dwordx2 a[14:15], v[150:151], off
.LBB28_66:                              ;   in Loop: Header=BB28_3 Depth=1
	s_or_b64 exec, exec, s[36:37]
	v_lshl_add_u64 v[150:151], v[144:145], 0, 29
	v_cmp_gt_i64_e32 vcc, s[12:13], v[150:151]
	v_accvgpr_write_b32 a12, 0
	s_and_b64 s[38:39], s[6:7], vcc
	v_mov_b64_e32 v[150:151], 0
	v_mov_b64_e32 v[156:157], 0
	v_accvgpr_write_b32 a13, 0
	s_and_saveexec_b64 s[36:37], s[38:39]
	s_cbranch_execz .LBB28_68
; %bb.67:                               ;   in Loop: Header=BB28_3 Depth=1
	v_lshl_add_u64 v[156:157], v[22:23], 0, v[8:9]
	v_lshl_add_u64 v[172:173], v[24:25], 0, v[8:9]
	global_load_dwordx2 v[156:157], v[156:157], off
	s_nop 0
	global_load_dwordx2 a[12:13], v[172:173], off
.LBB28_68:                              ;   in Loop: Header=BB28_3 Depth=1
	s_or_b64 exec, exec, s[36:37]
	v_lshl_add_u64 v[172:173], v[144:145], 0, 30
	v_cmp_gt_i64_e32 vcc, s[12:13], v[172:173]
	v_accvgpr_write_b32 a10, 0
	s_and_b64 s[38:39], s[6:7], vcc
	v_accvgpr_write_b32 a11, 0
	s_and_saveexec_b64 s[36:37], s[38:39]
	s_cbranch_execz .LBB28_70
; %bb.69:                               ;   in Loop: Header=BB28_3 Depth=1
	v_lshl_add_u64 v[150:151], v[18:19], 0, v[8:9]
	v_lshl_add_u64 v[172:173], v[20:21], 0, v[8:9]
	global_load_dwordx2 v[150:151], v[150:151], off
	s_nop 0
	global_load_dwordx2 a[10:11], v[172:173], off
.LBB28_70:                              ;   in Loop: Header=BB28_3 Depth=1
	s_or_b64 exec, exec, s[36:37]
	v_lshl_add_u64 v[172:173], v[144:145], 0, 31
	v_cmp_gt_i64_e32 vcc, s[12:13], v[172:173]
	v_accvgpr_write_b32 a6, 0
	v_accvgpr_write_b32 a8, 0
	s_and_b64 s[38:39], s[6:7], vcc
	v_accvgpr_write_b32 a7, 0
	v_accvgpr_write_b32 a9, 0
	s_and_saveexec_b64 s[36:37], s[38:39]
	s_cbranch_execz .LBB28_72
; %bb.71:                               ;   in Loop: Header=BB28_3 Depth=1
	v_lshl_add_u64 v[172:173], v[14:15], 0, v[8:9]
	global_load_dwordx2 a[6:7], v[172:173], off
	v_lshl_add_u64 v[172:173], v[16:17], 0, v[8:9]
	global_load_dwordx2 a[8:9], v[172:173], off
.LBB28_72:                              ;   in Loop: Header=BB28_3 Depth=1
	s_or_b64 exec, exec, s[36:37]
	s_waitcnt vmcnt(1)
	ds_bpermute_b32 v174, v140, v146
	ds_bpermute_b32 v175, v140, v147
	s_waitcnt vmcnt(0)
	ds_bpermute_b32 v172, v140, v148
	ds_bpermute_b32 v173, v140, v149
	s_mov_b64 s[36:37], 0
	s_waitcnt lgkmcnt(2)
	v_add_f64 v[138:139], v[138:139], -v[174:175]
	v_mul_f64 v[138:139], v[158:159], v[138:139]
	s_waitcnt lgkmcnt(0)
	v_fma_f64 v[138:139], v[138:139], v[172:173], v[0:1]
	v_accvgpr_read_b32 v173, a1
	ds_bpermute_b32 v174, v140, v146 offset:4
	ds_bpermute_b32 v175, v140, v147 offset:4
	v_accvgpr_read_b32 v172, a0
	v_add_f64 v[158:159], v[172:173], v[158:159]
	ds_bpermute_b32 v172, v140, v148 offset:4
	ds_bpermute_b32 v173, v140, v149 offset:4
	s_waitcnt lgkmcnt(2)
	v_add_f64 v[166:167], v[166:167], -v[174:175]
	v_mul_f64 v[166:167], v[2:3], v[166:167]
	v_add_f64 v[2:3], v[158:159], v[2:3]
	ds_bpermute_b32 v158, v140, v148 offset:8
	s_waitcnt lgkmcnt(1)
	v_fmac_f64_e32 v[138:139], v[166:167], v[172:173]
	ds_bpermute_b32 v166, v140, v146 offset:8
	ds_bpermute_b32 v167, v140, v147 offset:8
	;; [unrolled: 1-line block ×3, first 2 shown]
	v_add_f64 v[2:3], v[2:3], v[4:5]
	v_add_f64 v[2:3], v[2:3], v[142:143]
	v_add_f64 v[2:3], v[2:3], v[248:249]
	s_waitcnt lgkmcnt(1)
	v_add_f64 v[160:161], v[160:161], -v[166:167]
	v_mul_f64 v[160:161], v[4:5], v[160:161]
	s_waitcnt lgkmcnt(0)
	v_fmac_f64_e32 v[138:139], v[160:161], v[158:159]
	ds_bpermute_b32 v158, v140, v146 offset:12
	ds_bpermute_b32 v159, v140, v147 offset:12
	;; [unrolled: 1-line block ×4, first 2 shown]
	v_add_f64 v[2:3], v[2:3], v[250:251]
	v_add_f64 v[2:3], v[2:3], v[240:241]
	s_waitcnt lgkmcnt(2)
	v_add_f64 v[152:153], v[152:153], -v[158:159]
	v_mul_f64 v[152:153], v[142:143], v[152:153]
	ds_bpermute_b32 v142, v140, v146 offset:16
	ds_bpermute_b32 v143, v140, v147 offset:16
	s_waitcnt lgkmcnt(2)
	v_fmac_f64_e32 v[138:139], v[152:153], v[4:5]
	ds_bpermute_b32 v4, v140, v148 offset:16
	ds_bpermute_b32 v5, v140, v149 offset:16
	v_accvgpr_read_b32 v153, a23
	s_waitcnt lgkmcnt(2)
	v_add_f64 v[142:143], v[254:255], -v[142:143]
	v_mul_f64 v[142:143], v[248:249], v[142:143]
	v_accvgpr_read_b32 v152, a22
	s_waitcnt lgkmcnt(0)
	v_fmac_f64_e32 v[138:139], v[142:143], v[4:5]
	ds_bpermute_b32 v142, v140, v146 offset:20
	ds_bpermute_b32 v143, v140, v147 offset:20
	ds_bpermute_b32 v4, v140, v148 offset:20
	ds_bpermute_b32 v5, v140, v149 offset:20
	v_add_f64 v[2:3], v[2:3], v[242:243]
	v_add_f64 v[2:3], v[2:3], v[232:233]
	s_waitcnt lgkmcnt(2)
	v_add_f64 v[142:143], v[252:253], -v[142:143]
	v_mul_f64 v[142:143], v[250:251], v[142:143]
	s_waitcnt lgkmcnt(0)
	v_fmac_f64_e32 v[138:139], v[142:143], v[4:5]
	ds_bpermute_b32 v142, v140, v146 offset:24
	ds_bpermute_b32 v143, v140, v147 offset:24
	ds_bpermute_b32 v4, v140, v148 offset:24
	ds_bpermute_b32 v5, v140, v149 offset:24
	v_add_f64 v[2:3], v[2:3], v[234:235]
	v_add_f64 v[2:3], v[2:3], v[224:225]
	s_waitcnt lgkmcnt(2)
	v_add_f64 v[142:143], v[246:247], -v[142:143]
	v_mul_f64 v[142:143], v[240:241], v[142:143]
	;; [unrolled: 11-line block ×12, first 2 shown]
	s_waitcnt lgkmcnt(0)
	v_fmac_f64_e32 v[138:139], v[142:143], v[4:5]
	ds_bpermute_b32 v142, v140, v146 offset:68
	ds_bpermute_b32 v143, v140, v147 offset:68
	ds_bpermute_b32 v4, v140, v148 offset:68
	ds_bpermute_b32 v5, v140, v149 offset:68
	s_waitcnt lgkmcnt(2)
	v_add_f64 v[142:143], v[204:205], -v[142:143]
	v_mul_f64 v[142:143], v[202:203], v[142:143]
	s_waitcnt lgkmcnt(0)
	v_fmac_f64_e32 v[138:139], v[142:143], v[4:5]
	ds_bpermute_b32 v142, v140, v146 offset:72
	ds_bpermute_b32 v143, v140, v147 offset:72
	ds_bpermute_b32 v4, v140, v148 offset:72
	ds_bpermute_b32 v5, v140, v149 offset:72
	s_waitcnt lgkmcnt(2)
	v_add_f64 v[142:143], v[198:199], -v[142:143]
	v_mul_f64 v[142:143], v[192:193], v[142:143]
	;; [unrolled: 9-line block ×8, first 2 shown]
	s_waitcnt lgkmcnt(0)
	v_fmac_f64_e32 v[138:139], v[142:143], v[4:5]
	ds_bpermute_b32 v142, v140, v146 offset:100
	ds_bpermute_b32 v143, v140, v147 offset:100
	ds_bpermute_b32 v4, v140, v148 offset:100
	ds_bpermute_b32 v5, v140, v149 offset:100
	v_accvgpr_read_b32 v153, a21
	v_accvgpr_read_b32 v152, a20
	s_waitcnt lgkmcnt(2)
	v_add_f64 v[142:143], v[152:153], -v[142:143]
	v_mul_f64 v[142:143], v[170:171], v[142:143]
	s_waitcnt lgkmcnt(0)
	v_fmac_f64_e32 v[138:139], v[142:143], v[4:5]
	ds_bpermute_b32 v142, v140, v146 offset:104
	ds_bpermute_b32 v143, v140, v147 offset:104
	ds_bpermute_b32 v4, v140, v148 offset:104
	ds_bpermute_b32 v5, v140, v149 offset:104
	v_accvgpr_read_b32 v153, a19
	v_accvgpr_read_b32 v152, a18
	s_waitcnt lgkmcnt(2)
	v_add_f64 v[142:143], v[152:153], -v[142:143]
	v_mul_f64 v[142:143], v[162:163], v[142:143]
	;; [unrolled: 11-line block ×6, first 2 shown]
	s_waitcnt lgkmcnt(0)
	v_fmac_f64_e32 v[138:139], v[142:143], v[4:5]
	ds_bpermute_b32 v4, v140, v148 offset:124
	ds_bpermute_b32 v5, v140, v149 offset:124
	ds_bpermute_b32 v142, v140, v146 offset:124
	ds_bpermute_b32 v143, v140, v147 offset:124
.LBB28_73:                              ;   in Loop: Header=BB28_3 Depth=1
	s_and_b64 vcc, exec, s[36:37]
	s_cbranch_vccz .LBB28_143
; %bb.74:                               ;   in Loop: Header=BB28_3 Depth=1
	s_load_dword s9, s[26:27], 0x0
	s_waitcnt lgkmcnt(0)
	v_accvgpr_read_b32 v5, a5
	v_accvgpr_read_b32 v3, a2
	;; [unrolled: 1-line block ×3, first 2 shown]
	v_mov_b64_e32 v[148:149], 0
	s_cmp_lt_u32 s2, s9
	s_cselect_b32 s9, 12, 18
	s_add_u32 s36, s26, s9
	s_addc_u32 s37, s27, 0
	global_load_ushort v2, v5, s[36:37]
	v_mov_b64_e32 v[146:147], 0
	v_mov_b64_e32 v[138:139], 0
	s_waitcnt vmcnt(0)
	v_mad_u32_u24 v2, v4, v2, v3
	v_and_b32_e32 v4, 63, v2
	v_accvgpr_write_b32 a4, v4
	v_accvgpr_write_b32 a5, v5
	v_cmp_gt_u32_e32 vcc, 32, v4
	s_and_saveexec_b64 s[36:37], vcc
	s_cbranch_execz .LBB28_78
; %bb.75:                               ;   in Loop: Header=BB28_3 Depth=1
	v_accvgpr_read_b32 v2, a4
	v_accvgpr_read_b32 v3, a5
	v_lshl_add_u64 v[2:3], v[144:145], 0, v[2:3]
	v_cmp_gt_i64_e32 vcc, s[12:13], v[2:3]
	v_mov_b64_e32 v[138:139], 0
	v_mov_b64_e32 v[146:147], 0
	s_and_saveexec_b64 s[38:39], vcc
	s_cbranch_execz .LBB28_77
; %bb.76:                               ;   in Loop: Header=BB28_3 Depth=1
	v_lshlrev_b64 v[2:3], 3, v[2:3]
	v_lshl_add_u64 v[4:5], s[22:23], 0, v[2:3]
	v_lshl_add_u64 v[2:3], s[20:21], 0, v[2:3]
	global_load_dwordx2 v[138:139], v[2:3], off
	global_load_dwordx2 v[146:147], v[4:5], off
.LBB28_77:                              ;   in Loop: Header=BB28_3 Depth=1
	s_or_b64 exec, exec, s[38:39]
.LBB28_78:                              ;   in Loop: Header=BB28_3 Depth=1
	s_or_b64 exec, exec, s[36:37]
	v_mov_b64_e32 v[160:161], 0
	s_and_saveexec_b64 s[36:37], s[6:7]
	s_cbranch_execz .LBB28_80
; %bb.79:                               ;   in Loop: Header=BB28_3 Depth=1
	v_lshl_add_u64 v[2:3], v[10:11], 0, v[8:9]
	global_load_dwordx2 v[148:149], v[2:3], off
	v_lshl_add_u64 v[2:3], v[12:13], 0, v[8:9]
	global_load_dwordx2 v[160:161], v[2:3], off
.LBB28_80:                              ;   in Loop: Header=BB28_3 Depth=1
	s_or_b64 exec, exec, s[36:37]
	v_mov_b64_e32 v[248:249], 0
	v_mov_b64_e32 v[154:155], 0
	v_mov_b64_e32 v[156:157], 0
	s_and_saveexec_b64 s[36:37], s[6:7]
	s_cbranch_execz .LBB28_82
; %bb.81:                               ;   in Loop: Header=BB28_3 Depth=1
	v_lshl_add_u64 v[2:3], v[134:135], 0, v[8:9]
	global_load_dwordx2 v[154:155], v[2:3], off
	v_lshl_add_u64 v[2:3], v[136:137], 0, v[8:9]
	global_load_dwordx2 v[156:157], v[2:3], off
.LBB28_82:                              ;   in Loop: Header=BB28_3 Depth=1
	s_or_b64 exec, exec, s[36:37]
	v_mov_b64_e32 v[254:255], 0
	s_and_saveexec_b64 s[36:37], s[6:7]
	s_cbranch_execz .LBB28_84
; %bb.83:                               ;   in Loop: Header=BB28_3 Depth=1
	v_lshl_add_u64 v[2:3], v[130:131], 0, v[8:9]
	global_load_dwordx2 v[248:249], v[2:3], off
	v_lshl_add_u64 v[2:3], v[132:133], 0, v[8:9]
	global_load_dwordx2 v[254:255], v[2:3], off
.LBB28_84:                              ;   in Loop: Header=BB28_3 Depth=1
	s_or_b64 exec, exec, s[36:37]
	v_mov_b64_e32 v[240:241], 0
	v_mov_b64_e32 v[250:251], 0
	v_mov_b64_e32 v[252:253], 0
	s_and_saveexec_b64 s[36:37], s[6:7]
	s_cbranch_execz .LBB28_86
; %bb.85:                               ;   in Loop: Header=BB28_3 Depth=1
	v_lshl_add_u64 v[2:3], v[126:127], 0, v[8:9]
	global_load_dwordx2 v[250:251], v[2:3], off
	v_lshl_add_u64 v[2:3], v[128:129], 0, v[8:9]
	global_load_dwordx2 v[252:253], v[2:3], off
.LBB28_86:                              ;   in Loop: Header=BB28_3 Depth=1
	;; [unrolled: 22-line block ×5, first 2 shown]
	s_or_b64 exec, exec, s[36:37]
	v_mov_b64_e32 v[226:227], 0
	s_and_saveexec_b64 s[36:37], s[6:7]
	s_cbranch_execz .LBB28_100
; %bb.99:                               ;   in Loop: Header=BB28_3 Depth=1
	v_lshl_add_u64 v[2:3], v[98:99], 0, v[8:9]
	global_load_dwordx2 v[220:221], v[2:3], off
	v_lshl_add_u64 v[2:3], v[100:101], 0, v[8:9]
	global_load_dwordx2 v[226:227], v[2:3], off
.LBB28_100:                             ;   in Loop: Header=BB28_3 Depth=1
	s_or_b64 exec, exec, s[36:37]
	v_mov_b64_e32 v[212:213], 0
	v_mov_b64_e32 v[222:223], 0
	v_mov_b64_e32 v[224:225], 0
	s_and_saveexec_b64 s[36:37], s[6:7]
	s_cbranch_execz .LBB28_102
; %bb.101:                              ;   in Loop: Header=BB28_3 Depth=1
	v_lshl_add_u64 v[2:3], v[94:95], 0, v[8:9]
	global_load_dwordx2 v[222:223], v[2:3], off
	v_lshl_add_u64 v[2:3], v[96:97], 0, v[8:9]
	global_load_dwordx2 v[224:225], v[2:3], off
.LBB28_102:                             ;   in Loop: Header=BB28_3 Depth=1
	s_or_b64 exec, exec, s[36:37]
	v_mov_b64_e32 v[218:219], 0
	s_and_saveexec_b64 s[36:37], s[6:7]
	s_cbranch_execz .LBB28_104
; %bb.103:                              ;   in Loop: Header=BB28_3 Depth=1
	v_lshl_add_u64 v[2:3], v[90:91], 0, v[8:9]
	global_load_dwordx2 v[212:213], v[2:3], off
	v_lshl_add_u64 v[2:3], v[92:93], 0, v[8:9]
	global_load_dwordx2 v[218:219], v[2:3], off
.LBB28_104:                             ;   in Loop: Header=BB28_3 Depth=1
	s_or_b64 exec, exec, s[36:37]
	v_mov_b64_e32 v[204:205], 0
	v_mov_b64_e32 v[214:215], 0
	v_mov_b64_e32 v[216:217], 0
	s_and_saveexec_b64 s[36:37], s[6:7]
	s_cbranch_execz .LBB28_106
; %bb.105:                              ;   in Loop: Header=BB28_3 Depth=1
	v_lshl_add_u64 v[2:3], v[86:87], 0, v[8:9]
	global_load_dwordx2 v[214:215], v[2:3], off
	v_lshl_add_u64 v[2:3], v[88:89], 0, v[8:9]
	global_load_dwordx2 v[216:217], v[2:3], off
.LBB28_106:                             ;   in Loop: Header=BB28_3 Depth=1
	s_or_b64 exec, exec, s[36:37]
	v_mov_b64_e32 v[210:211], 0
	s_and_saveexec_b64 s[36:37], s[6:7]
	s_cbranch_execz .LBB28_108
; %bb.107:                              ;   in Loop: Header=BB28_3 Depth=1
	v_lshl_add_u64 v[2:3], v[82:83], 0, v[8:9]
	global_load_dwordx2 v[204:205], v[2:3], off
	v_lshl_add_u64 v[2:3], v[84:85], 0, v[8:9]
	global_load_dwordx2 v[210:211], v[2:3], off
.LBB28_108:                             ;   in Loop: Header=BB28_3 Depth=1
	;; [unrolled: 22-line block ×7, first 2 shown]
	s_or_b64 exec, exec, s[36:37]
	v_accvgpr_write_b32 a20, 0
	v_mov_b64_e32 v[2:3], 0
	v_mov_b64_e32 v[166:167], 0
	v_accvgpr_write_b32 a21, 0
	s_and_saveexec_b64 s[36:37], s[6:7]
	s_cbranch_execz .LBB28_130
; %bb.129:                              ;   in Loop: Header=BB28_3 Depth=1
	v_lshl_add_u64 v[144:145], v[38:39], 0, v[8:9]
	global_load_dwordx2 v[166:167], v[144:145], off
	v_lshl_add_u64 v[144:145], v[40:41], 0, v[8:9]
	global_load_dwordx2 a[20:21], v[144:145], off
.LBB28_130:                             ;   in Loop: Header=BB28_3 Depth=1
	s_or_b64 exec, exec, s[36:37]
	v_accvgpr_write_b32 a18, 0
	v_accvgpr_write_b32 a19, 0
	s_and_saveexec_b64 s[36:37], s[6:7]
	s_cbranch_execz .LBB28_132
; %bb.131:                              ;   in Loop: Header=BB28_3 Depth=1
	v_lshl_add_u64 v[2:3], v[34:35], 0, v[8:9]
	v_lshl_add_u64 v[144:145], v[36:37], 0, v[8:9]
	global_load_dwordx2 v[2:3], v[2:3], off
	s_nop 0
	global_load_dwordx2 a[18:19], v[144:145], off
.LBB28_132:                             ;   in Loop: Header=BB28_3 Depth=1
	s_or_b64 exec, exec, s[36:37]
	v_accvgpr_write_b32 a16, 0
	v_mov_b64_e32 v[150:151], 0
	v_mov_b64_e32 v[158:159], 0
	v_accvgpr_write_b32 a17, 0
	s_and_saveexec_b64 s[36:37], s[6:7]
	s_cbranch_execz .LBB28_134
; %bb.133:                              ;   in Loop: Header=BB28_3 Depth=1
	v_lshl_add_u64 v[144:145], v[30:31], 0, v[8:9]
	global_load_dwordx2 v[158:159], v[144:145], off
	v_lshl_add_u64 v[144:145], v[32:33], 0, v[8:9]
	global_load_dwordx2 a[16:17], v[144:145], off
.LBB28_134:                             ;   in Loop: Header=BB28_3 Depth=1
	s_or_b64 exec, exec, s[36:37]
	v_accvgpr_write_b32 a14, 0
	v_accvgpr_write_b32 a15, 0
	s_and_saveexec_b64 s[36:37], s[6:7]
	s_cbranch_execz .LBB28_136
; %bb.135:                              ;   in Loop: Header=BB28_3 Depth=1
	v_lshl_add_u64 v[144:145], v[26:27], 0, v[8:9]
	global_load_dwordx2 v[150:151], v[144:145], off
	v_lshl_add_u64 v[144:145], v[28:29], 0, v[8:9]
	global_load_dwordx2 a[14:15], v[144:145], off
.LBB28_136:                             ;   in Loop: Header=BB28_3 Depth=1
	s_or_b64 exec, exec, s[36:37]
	v_accvgpr_write_b32 a12, 0
	v_mov_b64_e32 v[144:145], 0
	v_mov_b64_e32 v[152:153], 0
	v_accvgpr_write_b32 a13, 0
	s_and_saveexec_b64 s[36:37], s[6:7]
	s_cbranch_execz .LBB28_138
; %bb.137:                              ;   in Loop: Header=BB28_3 Depth=1
	v_lshl_add_u64 v[152:153], v[22:23], 0, v[8:9]
	v_lshl_add_u64 v[162:163], v[24:25], 0, v[8:9]
	global_load_dwordx2 v[152:153], v[152:153], off
	s_nop 0
	global_load_dwordx2 a[12:13], v[162:163], off
.LBB28_138:                             ;   in Loop: Header=BB28_3 Depth=1
	s_or_b64 exec, exec, s[36:37]
	v_accvgpr_write_b32 a10, 0
	v_accvgpr_write_b32 a11, 0
	s_and_saveexec_b64 s[36:37], s[6:7]
	s_cbranch_execz .LBB28_140
; %bb.139:                              ;   in Loop: Header=BB28_3 Depth=1
	v_lshl_add_u64 v[144:145], v[18:19], 0, v[8:9]
	v_lshl_add_u64 v[162:163], v[20:21], 0, v[8:9]
	global_load_dwordx2 v[144:145], v[144:145], off
	s_nop 0
	global_load_dwordx2 a[10:11], v[162:163], off
.LBB28_140:                             ;   in Loop: Header=BB28_3 Depth=1
	s_or_b64 exec, exec, s[36:37]
	v_accvgpr_write_b32 a6, 0
	v_accvgpr_write_b32 a8, 0
	;; [unrolled: 1-line block ×4, first 2 shown]
	s_and_saveexec_b64 s[36:37], s[6:7]
	s_cbranch_execz .LBB28_142
; %bb.141:                              ;   in Loop: Header=BB28_3 Depth=1
	v_lshl_add_u64 v[162:163], v[14:15], 0, v[8:9]
	global_load_dwordx2 a[6:7], v[162:163], off
	v_lshl_add_u64 v[162:163], v[16:17], 0, v[8:9]
	global_load_dwordx2 a[8:9], v[162:163], off
.LBB28_142:                             ;   in Loop: Header=BB28_3 Depth=1
	s_or_b64 exec, exec, s[36:37]
	s_waitcnt vmcnt(1)
	ds_bpermute_b32 v168, v140, v138
	ds_bpermute_b32 v169, v140, v139
	s_waitcnt vmcnt(0)
	ds_bpermute_b32 v162, v140, v146
	ds_bpermute_b32 v163, v140, v147
	s_waitcnt lgkmcnt(2)
	v_add_f64 v[160:161], v[160:161], -v[168:169]
	v_mul_f64 v[160:161], v[148:149], v[160:161]
	s_waitcnt lgkmcnt(0)
	v_fmac_f64_e32 v[0:1], v[160:161], v[162:163]
	v_accvgpr_read_b32 v161, a1
	ds_bpermute_b32 v162, v140, v138 offset:4
	ds_bpermute_b32 v163, v140, v139 offset:4
	v_accvgpr_read_b32 v160, a0
	v_add_f64 v[148:149], v[160:161], v[148:149]
	ds_bpermute_b32 v160, v140, v146 offset:4
	ds_bpermute_b32 v161, v140, v147 offset:4
	s_waitcnt lgkmcnt(2)
	v_add_f64 v[156:157], v[156:157], -v[162:163]
	v_mul_f64 v[156:157], v[154:155], v[156:157]
	v_add_f64 v[148:149], v[148:149], v[154:155]
	ds_bpermute_b32 v154, v140, v146 offset:8
	s_waitcnt lgkmcnt(1)
	v_fmac_f64_e32 v[0:1], v[156:157], v[160:161]
	ds_bpermute_b32 v156, v140, v138 offset:8
	ds_bpermute_b32 v157, v140, v139 offset:8
	;; [unrolled: 1-line block ×3, first 2 shown]
	v_add_f64 v[148:149], v[148:149], v[248:249]
	v_add_f64 v[148:149], v[148:149], v[250:251]
	;; [unrolled: 1-line block ×3, first 2 shown]
	s_waitcnt lgkmcnt(1)
	v_add_f64 v[156:157], v[254:255], -v[156:157]
	v_mul_f64 v[156:157], v[248:249], v[156:157]
	s_waitcnt lgkmcnt(0)
	v_fmac_f64_e32 v[0:1], v[156:157], v[154:155]
	ds_bpermute_b32 v156, v140, v138 offset:12
	ds_bpermute_b32 v157, v140, v139 offset:12
	;; [unrolled: 1-line block ×4, first 2 shown]
	v_add_f64 v[148:149], v[148:149], v[242:243]
	s_waitcnt lgkmcnt(2)
	v_add_f64 v[156:157], v[252:253], -v[156:157]
	v_mul_f64 v[156:157], v[250:251], v[156:157]
	s_waitcnt lgkmcnt(0)
	v_fmac_f64_e32 v[0:1], v[156:157], v[154:155]
	ds_bpermute_b32 v156, v140, v138 offset:16
	ds_bpermute_b32 v157, v140, v139 offset:16
	ds_bpermute_b32 v154, v140, v146 offset:16
	ds_bpermute_b32 v155, v140, v147 offset:16
	s_waitcnt lgkmcnt(2)
	v_add_f64 v[156:157], v[246:247], -v[156:157]
	v_mul_f64 v[156:157], v[240:241], v[156:157]
	s_waitcnt lgkmcnt(0)
	v_fmac_f64_e32 v[0:1], v[156:157], v[154:155]
	ds_bpermute_b32 v156, v140, v138 offset:20
	ds_bpermute_b32 v157, v140, v139 offset:20
	ds_bpermute_b32 v154, v140, v146 offset:20
	ds_bpermute_b32 v155, v140, v147 offset:20
	;; [unrolled: 9-line block ×3, first 2 shown]
	s_waitcnt lgkmcnt(2)
	v_add_f64 v[156:157], v[238:239], -v[156:157]
	v_mul_f64 v[156:157], v[142:143], v[156:157]
	s_waitcnt lgkmcnt(0)
	v_fmac_f64_e32 v[0:1], v[156:157], v[154:155]
	ds_bpermute_b32 v154, v140, v138 offset:28
	ds_bpermute_b32 v155, v140, v139 offset:28
	v_add_f64 v[142:143], v[148:149], v[142:143]
	ds_bpermute_b32 v148, v140, v146 offset:28
	ds_bpermute_b32 v149, v140, v147 offset:28
	v_add_f64 v[142:143], v[142:143], v[234:235]
	s_waitcnt lgkmcnt(2)
	v_add_f64 v[154:155], v[236:237], -v[154:155]
	v_mul_f64 v[154:155], v[234:235], v[154:155]
	s_waitcnt lgkmcnt(0)
	v_fmac_f64_e32 v[0:1], v[154:155], v[148:149]
	ds_bpermute_b32 v154, v140, v138 offset:32
	ds_bpermute_b32 v155, v140, v139 offset:32
	;; [unrolled: 1-line block ×4, first 2 shown]
	s_waitcnt lgkmcnt(2)
	v_add_f64 v[4:5], v[4:5], -v[154:155]
	v_mul_f64 v[4:5], v[228:229], v[4:5]
	s_waitcnt lgkmcnt(0)
	v_fmac_f64_e32 v[0:1], v[4:5], v[148:149]
	ds_bpermute_b32 v148, v140, v138 offset:36
	ds_bpermute_b32 v149, v140, v139 offset:36
	v_add_f64 v[4:5], v[142:143], v[228:229]
	ds_bpermute_b32 v142, v140, v146 offset:36
	ds_bpermute_b32 v143, v140, v147 offset:36
	v_add_f64 v[4:5], v[4:5], v[230:231]
	s_waitcnt lgkmcnt(2)
	v_add_f64 v[148:149], v[232:233], -v[148:149]
	v_mul_f64 v[148:149], v[230:231], v[148:149]
	v_add_f64 v[4:5], v[4:5], v[220:221]
	s_waitcnt lgkmcnt(0)
	v_fmac_f64_e32 v[0:1], v[148:149], v[142:143]
	ds_bpermute_b32 v148, v140, v138 offset:40
	ds_bpermute_b32 v149, v140, v139 offset:40
	;; [unrolled: 1-line block ×4, first 2 shown]
	v_add_f64 v[4:5], v[4:5], v[222:223]
	v_add_f64 v[4:5], v[4:5], v[212:213]
	s_waitcnt lgkmcnt(2)
	v_add_f64 v[148:149], v[226:227], -v[148:149]
	v_mul_f64 v[148:149], v[220:221], v[148:149]
	s_waitcnt lgkmcnt(0)
	v_fmac_f64_e32 v[0:1], v[148:149], v[142:143]
	ds_bpermute_b32 v148, v140, v138 offset:44
	ds_bpermute_b32 v149, v140, v139 offset:44
	;; [unrolled: 1-line block ×4, first 2 shown]
	v_add_f64 v[4:5], v[4:5], v[214:215]
	v_accvgpr_read_b32 v155, a21
	s_waitcnt lgkmcnt(2)
	v_add_f64 v[148:149], v[224:225], -v[148:149]
	v_mul_f64 v[148:149], v[222:223], v[148:149]
	s_waitcnt lgkmcnt(0)
	v_fmac_f64_e32 v[0:1], v[148:149], v[142:143]
	ds_bpermute_b32 v148, v140, v138 offset:48
	ds_bpermute_b32 v149, v140, v139 offset:48
	;; [unrolled: 1-line block ×4, first 2 shown]
	v_add_f64 v[4:5], v[4:5], v[204:205]
	v_accvgpr_read_b32 v154, a20
	s_waitcnt lgkmcnt(2)
	v_add_f64 v[148:149], v[218:219], -v[148:149]
	v_mul_f64 v[148:149], v[212:213], v[148:149]
	s_waitcnt lgkmcnt(0)
	v_fmac_f64_e32 v[0:1], v[148:149], v[142:143]
	ds_bpermute_b32 v148, v140, v138 offset:52
	ds_bpermute_b32 v149, v140, v139 offset:52
	ds_bpermute_b32 v142, v140, v146 offset:52
	ds_bpermute_b32 v143, v140, v147 offset:52
	v_add_f64 v[4:5], v[4:5], v[206:207]
	v_add_f64 v[4:5], v[4:5], v[196:197]
	s_waitcnt lgkmcnt(2)
	v_add_f64 v[148:149], v[216:217], -v[148:149]
	v_mul_f64 v[148:149], v[214:215], v[148:149]
	s_waitcnt lgkmcnt(0)
	v_fmac_f64_e32 v[0:1], v[148:149], v[142:143]
	ds_bpermute_b32 v148, v140, v138 offset:56
	ds_bpermute_b32 v149, v140, v139 offset:56
	ds_bpermute_b32 v142, v140, v146 offset:56
	ds_bpermute_b32 v143, v140, v147 offset:56
	v_add_f64 v[4:5], v[4:5], v[198:199]
	v_add_f64 v[4:5], v[4:5], v[188:189]
	;; [unrolled: 11-line block ×5, first 2 shown]
	s_waitcnt lgkmcnt(2)
	v_add_f64 v[148:149], v[200:201], -v[148:149]
	v_mul_f64 v[148:149], v[198:199], v[148:149]
	s_waitcnt lgkmcnt(0)
	v_fmac_f64_e32 v[0:1], v[148:149], v[142:143]
	ds_bpermute_b32 v148, v140, v138 offset:72
	ds_bpermute_b32 v149, v140, v139 offset:72
	ds_bpermute_b32 v142, v140, v146 offset:72
	ds_bpermute_b32 v143, v140, v147 offset:72
	v_add_f64 v[4:5], v[4:5], v[166:167]
	s_waitcnt lgkmcnt(2)
	v_add_f64 v[148:149], v[194:195], -v[148:149]
	v_mul_f64 v[148:149], v[188:189], v[148:149]
	s_waitcnt lgkmcnt(0)
	v_fmac_f64_e32 v[0:1], v[148:149], v[142:143]
	ds_bpermute_b32 v148, v140, v138 offset:76
	ds_bpermute_b32 v149, v140, v139 offset:76
	ds_bpermute_b32 v142, v140, v146 offset:76
	ds_bpermute_b32 v143, v140, v147 offset:76
	s_waitcnt lgkmcnt(2)
	v_add_f64 v[148:149], v[192:193], -v[148:149]
	v_mul_f64 v[148:149], v[190:191], v[148:149]
	s_waitcnt lgkmcnt(0)
	v_fmac_f64_e32 v[0:1], v[148:149], v[142:143]
	ds_bpermute_b32 v148, v140, v138 offset:80
	ds_bpermute_b32 v149, v140, v139 offset:80
	ds_bpermute_b32 v142, v140, v146 offset:80
	ds_bpermute_b32 v143, v140, v147 offset:80
	;; [unrolled: 9-line block ×8, first 2 shown]
	v_accvgpr_read_b32 v155, a19
	v_accvgpr_read_b32 v154, a18
	s_waitcnt lgkmcnt(2)
	v_add_f64 v[148:149], v[154:155], -v[148:149]
	v_mul_f64 v[148:149], v[2:3], v[148:149]
	s_waitcnt lgkmcnt(0)
	v_fmac_f64_e32 v[0:1], v[148:149], v[142:143]
	ds_bpermute_b32 v142, v140, v138 offset:108
	ds_bpermute_b32 v143, v140, v139 offset:108
	v_add_f64 v[2:3], v[4:5], v[2:3]
	ds_bpermute_b32 v4, v140, v146 offset:108
	ds_bpermute_b32 v5, v140, v147 offset:108
	v_accvgpr_read_b32 v149, a17
	v_accvgpr_read_b32 v148, a16
	s_waitcnt lgkmcnt(2)
	v_add_f64 v[142:143], v[148:149], -v[142:143]
	v_mul_f64 v[142:143], v[158:159], v[142:143]
	s_waitcnt lgkmcnt(0)
	v_fmac_f64_e32 v[0:1], v[142:143], v[4:5]
	ds_bpermute_b32 v142, v140, v138 offset:112
	ds_bpermute_b32 v143, v140, v139 offset:112
	ds_bpermute_b32 v4, v140, v146 offset:112
	ds_bpermute_b32 v5, v140, v147 offset:112
	v_accvgpr_read_b32 v149, a15
	v_accvgpr_read_b32 v148, a14
	s_waitcnt lgkmcnt(2)
	v_add_f64 v[142:143], v[148:149], -v[142:143]
	v_mul_f64 v[142:143], v[150:151], v[142:143]
	s_waitcnt lgkmcnt(0)
	v_fmac_f64_e32 v[0:1], v[142:143], v[4:5]
	ds_bpermute_b32 v142, v140, v138 offset:116
	ds_bpermute_b32 v143, v140, v139 offset:116
	;; [unrolled: 11-line block ×4, first 2 shown]
	ds_bpermute_b32 v142, v140, v138 offset:124
	ds_bpermute_b32 v143, v140, v139 offset:124
	v_add_f64 v[2:3], v[2:3], v[158:159]
	v_add_f64 v[2:3], v[2:3], v[150:151]
	;; [unrolled: 1-line block ×4, first 2 shown]
	v_mov_b64_e32 v[138:139], v[0:1]
.LBB28_143:                             ;   in Loop: Header=BB28_3 Depth=1
	v_accvgpr_read_b32 v0, a8
	v_accvgpr_read_b32 v1, a9
	s_waitcnt lgkmcnt(0)
	v_add_f64 v[0:1], v[0:1], -v[142:143]
	v_accvgpr_read_b32 v143, a7
	v_accvgpr_read_b32 v142, a6
	v_mul_f64 v[0:1], v[142:143], v[0:1]
	s_add_u32 s34, s34, s24
	v_fmac_f64_e32 v[138:139], v[0:1], v[4:5]
	s_addc_u32 s35, s35, 0
	v_mov_b64_e32 v[0:1], s[12:13]
	s_add_u32 s30, s30, s24
	v_cmp_lt_i64_e32 vcc, s[34:35], v[0:1]
	v_add_f64 v[142:143], v[2:3], v[142:143]
	v_lshl_add_u64 v[10:11], v[10:11], 0, s[28:29]
	v_lshl_add_u64 v[12:13], v[12:13], 0, s[28:29]
	;; [unrolled: 1-line block ×65, first 2 shown]
	s_addc_u32 s31, 0, s31
	s_cbranch_vccz .LBB28_146
; %bb.144:                              ;   in Loop: Header=BB28_3 Depth=1
	v_accvgpr_write_b32 a0, v142
	v_accvgpr_write_b32 a1, v143
	v_mov_b64_e32 v[0:1], v[138:139]
	s_branch .LBB28_3
.LBB28_145:
                                        ; implicit-def: $vgpr142_vgpr143
                                        ; implicit-def: $vgpr138_vgpr139
	s_branch .LBB28_148
.LBB28_146:
	v_mov_b32_e32 v0, v141
.LBB28_147:
	s_cbranch_execnz .LBB28_228
.LBB28_148:
	v_mov_b64_e32 v[142:143], 0
	s_and_b64 vcc, exec, s[4:5]
	v_mov_b64_e32 v[138:139], 0
	s_cbranch_vccnz .LBB28_228
; %bb.149:
	v_mov_b32_e32 v5, 0
	v_bfe_u32 v101, v0, 10, 10
	v_lshlrev_b32_e32 v104, 5, v101
	v_mov_b32_e32 v105, v5
	v_lshl_add_u64 v[102:103], v[104:105], 0, s[10:11]
	v_and_b32_e32 v111, 0x3ff, v0
	v_mul_lo_u32 v68, s15, v102
	v_mul_lo_u32 v69, s14, v103
	v_mad_u64_u32 v[2:3], s[24:25], s14, v102, 0
	v_add_u32_e32 v4, s3, v111
	v_add3_u32 v3, v3, v69, v68
	v_lshlrev_b64 v[8:9], 3, v[4:5]
	v_lshlrev_b64 v[2:3], 3, v[2:3]
	v_lshlrev_b32_e32 v4, 8, v101
	v_lshl_add_u64 v[106:107], s[16:17], 0, v[2:3]
	v_lshl_add_u64 v[108:109], s[18:19], 0, v[2:3]
	;; [unrolled: 1-line block ×4, first 2 shown]
	v_mov_b64_e32 v[66:67], s[16:17]
	v_lshl_add_u64 v[46:47], v[2:3], 0, 16
	v_lshl_add_u64 v[48:49], v[2:3], 0, 24
	;; [unrolled: 1-line block ×7, first 2 shown]
	v_mad_u64_u32 v[140:141], s[26:27], s14, v42, v[66:67]
	v_mad_u64_u32 v[144:145], s[26:27], s14, v46, v[66:67]
	;; [unrolled: 1-line block ×8, first 2 shown]
	s_mov_b64 s[26:27], 0x48
	s_nop 0
	v_lshl_add_u64 v[64:65], v[2:3], 0, s[26:27]
	v_mad_u64_u32 v[128:129], s[26:27], s14, v64, v[66:67]
	s_mov_b64 s[26:27], 0x50
	s_nop 0
	v_lshl_add_u64 v[58:59], v[2:3], 0, s[26:27]
	v_mad_u64_u32 v[132:133], s[26:27], s14, v58, v[66:67]
	s_mov_b64 s[26:27], 0x58
	s_nop 0
	v_lshl_add_u64 v[54:55], v[2:3], 0, s[26:27]
	v_mad_u64_u32 v[136:137], s[26:27], s14, v54, v[66:67]
	s_mov_b64 s[26:27], 0x60
	s_nop 0
	v_lshl_add_u64 v[44:45], v[2:3], 0, s[26:27]
	v_mad_u64_u32 v[152:153], s[26:27], s14, v44, v[66:67]
	s_mov_b64 s[26:27], 0x68
	s_nop 0
	v_lshl_add_u64 v[40:41], v[2:3], 0, s[26:27]
	v_mad_u64_u32 v[138:139], s[26:27], s14, v40, v[66:67]
	s_mov_b64 s[26:27], 0x70
	s_nop 0
	v_lshl_add_u64 v[38:39], v[2:3], 0, s[26:27]
	v_mad_u64_u32 v[154:155], s[26:27], s14, v38, v[66:67]
	s_mov_b64 s[26:27], 0x78
	s_nop 0
	v_lshl_add_u64 v[36:37], v[2:3], 0, s[26:27]
	v_mad_u64_u32 v[156:157], s[26:27], s14, v36, v[66:67]
	s_mov_b64 s[26:27], 0x80
	s_nop 0
	v_lshl_add_u64 v[34:35], v[2:3], 0, s[26:27]
	v_mad_u64_u32 v[114:115], s[26:27], s14, v34, v[66:67]
	s_mov_b64 s[26:27], 0x88
	s_nop 0
	v_lshl_add_u64 v[32:33], v[2:3], 0, s[26:27]
	v_mad_u64_u32 v[158:159], s[26:27], s14, v32, v[66:67]
	s_mov_b64 s[26:27], 0x90
	s_nop 0
	v_lshl_add_u64 v[30:31], v[2:3], 0, s[26:27]
	v_mad_u64_u32 v[160:161], s[26:27], s14, v30, v[66:67]
	s_mov_b64 s[26:27], 0x98
	s_nop 0
	v_lshl_add_u64 v[28:29], v[2:3], 0, s[26:27]
	v_mad_u64_u32 v[142:143], s[26:27], s14, v28, v[66:67]
	s_mov_b64 s[26:27], 0xa0
	s_nop 0
	v_lshl_add_u64 v[26:27], v[2:3], 0, s[26:27]
	v_mad_u64_u32 v[162:163], s[26:27], s14, v26, v[66:67]
	s_mov_b64 s[26:27], 0xa8
	s_nop 0
	v_lshl_add_u64 v[24:25], v[2:3], 0, s[26:27]
	v_mad_u64_u32 v[164:165], s[26:27], s14, v24, v[66:67]
	s_mov_b64 s[26:27], 0xb0
	s_nop 0
	v_lshl_add_u64 v[22:23], v[2:3], 0, s[26:27]
	v_mad_u64_u32 v[118:119], s[26:27], s14, v22, v[66:67]
	s_mov_b64 s[26:27], 0xb8
	s_nop 0
	v_lshl_add_u64 v[20:21], v[2:3], 0, s[26:27]
	v_mad_u64_u32 v[122:123], s[26:27], s14, v20, v[66:67]
	s_mov_b64 s[26:27], 0xc0
	s_nop 0
	v_lshl_add_u64 v[18:19], v[2:3], 0, s[26:27]
	v_mad_u64_u32 v[166:167], s[26:27], s14, v18, v[66:67]
	s_mov_b64 s[26:27], 0xc8
	s_nop 0
	v_lshl_add_u64 v[16:17], v[2:3], 0, s[26:27]
	v_mad_u64_u32 v[168:169], s[26:27], s14, v16, v[66:67]
	s_mov_b64 s[26:27], 0xd0
	s_nop 0
	v_lshl_add_u64 v[14:15], v[2:3], 0, s[26:27]
	v_mad_u64_u32 v[126:127], s[26:27], s14, v14, v[66:67]
	s_mov_b64 s[26:27], 0xd8
	s_nop 0
	v_lshl_add_u64 v[12:13], v[2:3], 0, s[26:27]
	v_mad_u64_u32 v[170:171], s[26:27], s14, v12, v[66:67]
	s_mov_b64 s[26:27], 0xe0
	s_nop 0
	v_lshl_add_u64 v[10:11], v[2:3], 0, s[26:27]
	v_mad_u64_u32 v[130:131], s[26:27], s14, v10, v[66:67]
	s_mov_b64 s[26:27], 0xe8
	s_nop 0
	v_lshl_add_u64 v[6:7], v[2:3], 0, s[26:27]
	v_mad_u64_u32 v[172:173], s[26:27], s14, v6, v[66:67]
	s_mov_b64 s[26:27], 0xf0
	v_accvgpr_write_b32 a3, v5
	v_lshl_add_u64 v[4:5], v[2:3], 0, s[26:27]
	v_mad_u64_u32 v[134:135], s[26:27], s14, v4, v[66:67]
	s_mov_b64 s[26:27], 0xf8
	s_nop 0
	v_lshl_add_u64 v[2:3], v[2:3], 0, s[26:27]
	v_mad_u64_u32 v[174:175], s[26:27], s14, v2, v[66:67]
	v_mov_b64_e32 v[66:67], s[18:19]
	v_mul_lo_u32 v43, s14, v43
	v_mul_lo_u32 v70, s15, v42
	v_mad_u64_u32 v[176:177], s[26:27], s14, v42, v[66:67]
	v_add3_u32 v141, v70, v141, v43
	v_mul_lo_u32 v47, s14, v47
	v_mul_lo_u32 v71, s15, v46
	v_add3_u32 v177, v70, v177, v43
	v_mad_u64_u32 v[42:43], s[26:27], s14, v46, v[66:67]
	v_add3_u32 v145, v71, v145, v47
	v_mul_lo_u32 v49, s14, v49
	v_mul_lo_u32 v72, s15, v48
	v_add3_u32 v43, v71, v43, v47
	v_mad_u64_u32 v[46:47], s[26:27], s14, v48, v[66:67]
	v_add3_u32 v47, v72, v47, v49
	v_accvgpr_write_b32 a42, v46
	v_mul_lo_u32 v51, s14, v51
	v_mul_lo_u32 v73, s15, v50
	v_accvgpr_write_b32 a43, v47
	v_mad_u64_u32 v[46:47], s[26:27], s14, v50, v[66:67]
	v_add3_u32 v47, v73, v47, v51
	v_accvgpr_write_b32 a44, v46
	v_mul_lo_u32 v53, s14, v53
	v_mul_lo_u32 v74, s15, v52
	v_accvgpr_write_b32 a45, v47
	;; [unrolled: 6-line block ×9, first 2 shown]
	v_mad_u64_u32 v[46:47], s[26:27], s14, v44, v[66:67]
	v_add3_u32 v153, v81, v153, v45
	v_mul_lo_u32 v41, s14, v41
	v_mul_lo_u32 v82, s15, v40
	v_add3_u32 v47, v81, v47, v45
	v_mad_u64_u32 v[44:45], s[26:27], s14, v40, v[66:67]
	v_add3_u32 v139, v82, v139, v41
	v_mul_lo_u32 v39, s14, v39
	v_mul_lo_u32 v83, s15, v38
	v_add3_u32 v45, v82, v45, v41
	;; [unrolled: 5-line block ×10, first 2 shown]
	v_mad_u64_u32 v[24:25], s[26:27], s14, v22, v[66:67]
	v_add3_u32 v119, v91, v119, v23
	v_mul_lo_u32 v21, s14, v21
	v_mul_lo_u32 v92, s15, v20
	;; [unrolled: 1-line block ×4, first 2 shown]
	v_add3_u32 v25, v91, v25, v23
	v_mad_u64_u32 v[22:23], s[26:27], s14, v20, v[66:67]
	v_add3_u32 v117, v75, v117, v57
	v_add3_u32 v123, v92, v123, v21
	v_mul_lo_u32 v19, s14, v19
	v_mul_lo_u32 v93, s15, v18
	v_add3_u32 v127, v95, v127, v15
	v_mul_lo_u32 v11, s14, v11
	v_mul_lo_u32 v97, s15, v10
	v_add3_u32 v23, v92, v23, v21
	v_mad_u64_u32 v[20:21], s[26:27], s14, v18, v[66:67]
	v_add3_u32 v121, v76, v121, v61
	v_add3_u32 v129, v78, v129, v65
	;; [unrolled: 1-line block ×3, first 2 shown]
	v_mul_lo_u32 v17, s14, v17
	v_mul_lo_u32 v94, s15, v16
	v_add3_u32 v131, v97, v131, v11
	v_mul_lo_u32 v5, s14, v5
	v_mul_lo_u32 v99, s15, v4
	v_mov_b64_e32 v[88:89], v[116:117]
	v_mov_b64_e32 v[116:117], v[126:127]
	v_add3_u32 v21, v93, v21, v19
	v_mad_u64_u32 v[18:19], s[26:27], s14, v16, v[66:67]
	v_mad_u64_u32 v[126:127], s[26:27], s14, v14, v[66:67]
	v_add3_u32 v113, v74, v113, v53
	v_add3_u32 v133, v79, v133, v59
	;; [unrolled: 1-line block ×3, first 2 shown]
	v_mul_lo_u32 v13, s14, v13
	v_mul_lo_u32 v96, s15, v12
	v_add3_u32 v135, v99, v135, v5
	v_mov_b64_e32 v[90:91], v[120:121]
	v_mov_b64_e32 v[120:121], v[130:131]
	v_add3_u32 v19, v94, v19, v17
	v_add3_u32 v127, v95, v127, v15
	v_mov_b64_e32 v[94:95], v[128:129]
	v_mad_u64_u32 v[128:129], s[26:27], s14, v12, v[66:67]
	v_mad_u64_u32 v[130:131], s[26:27], s14, v10, v[66:67]
	v_add3_u32 v137, v80, v137, v55
	v_add3_u32 v171, v96, v171, v13
	v_mul_lo_u32 v7, s14, v7
	v_mul_lo_u32 v98, s15, v6
	v_mov_b64_e32 v[86:87], v[112:113]
	v_mov_b64_e32 v[112:113], v[122:123]
	;; [unrolled: 1-line block ×3, first 2 shown]
	v_add3_u32 v129, v96, v129, v13
	v_add3_u32 v131, v97, v131, v11
	v_mov_b64_e32 v[96:97], v[132:133]
	v_mad_u64_u32 v[132:133], s[26:27], s14, v6, v[66:67]
	v_mad_u64_u32 v[134:135], s[26:27], s14, v4, v[66:67]
	v_add3_u32 v173, v98, v173, v7
	v_mul_lo_u32 v3, s14, v3
	v_mul_lo_u32 v100, s15, v2
	v_add3_u32 v133, v98, v133, v7
	v_add3_u32 v135, v99, v135, v5
	v_mov_b64_e32 v[98:99], v[136:137]
	v_mad_u64_u32 v[136:137], s[26:27], s14, v2, v[66:67]
	v_add3_u32 v175, v100, v175, v3
	v_add3_u32 v137, v100, v137, v3
	v_lshl_add_u64 v[2:3], v[102:103], 0, 31
	v_mul_lo_u32 v4, s15, v2
	v_mul_lo_u32 v5, s14, v3
	v_mad_u64_u32 v[2:3], s[28:29], s14, v2, 0
	v_add3_u32 v3, v3, v5, v4
	v_lshlrev_b64 v[2:3], 3, v[2:3]
	v_lshl_add_u64 v[4:5], s[16:17], 0, v[2:3]
	v_lshl_add_u64 v[2:3], s[18:19], 0, v[2:3]
	v_accvgpr_write_b32 a91, v3
	v_accvgpr_write_b32 a89, v5
	v_accvgpr_write_b32 a90, v2
	v_lshl_add_u64 v[2:3], v[102:103], 0, 30
	v_accvgpr_write_b32 a88, v4
	v_mul_lo_u32 v4, s15, v2
	v_mul_lo_u32 v5, s14, v3
	v_mad_u64_u32 v[2:3], s[28:29], s14, v2, 0
	v_add3_u32 v3, v3, v5, v4
	v_lshlrev_b64 v[2:3], 3, v[2:3]
	v_lshl_add_u64 v[4:5], s[16:17], 0, v[2:3]
	v_lshl_add_u64 v[2:3], s[18:19], 0, v[2:3]
	v_accvgpr_write_b32 a95, v3
	v_accvgpr_write_b32 a93, v5
	v_accvgpr_write_b32 a94, v2
	v_lshl_add_u64 v[2:3], v[102:103], 0, 29
	v_accvgpr_write_b32 a92, v4
	v_mul_lo_u32 v4, s15, v2
	v_mul_lo_u32 v5, s14, v3
	v_mad_u64_u32 v[2:3], s[28:29], s14, v2, 0
	v_add3_u32 v3, v3, v5, v4
	v_lshlrev_b64 v[2:3], 3, v[2:3]
	v_lshl_add_u64 v[4:5], s[16:17], 0, v[2:3]
	v_lshl_add_u64 v[2:3], s[18:19], 0, v[2:3]
	v_accvgpr_write_b32 a99, v3
	v_accvgpr_write_b32 a97, v5
	v_accvgpr_write_b32 a98, v2
	v_lshl_add_u64 v[2:3], v[102:103], 0, 28
	v_accvgpr_write_b32 a96, v4
	v_mul_lo_u32 v4, s15, v2
	v_mul_lo_u32 v5, s14, v3
	v_mad_u64_u32 v[2:3], s[28:29], s14, v2, 0
	v_add3_u32 v3, v3, v5, v4
	v_lshlrev_b64 v[2:3], 3, v[2:3]
	v_lshl_add_u64 v[4:5], s[16:17], 0, v[2:3]
	v_lshl_add_u64 v[2:3], s[18:19], 0, v[2:3]
	v_accvgpr_write_b32 a103, v3
	v_accvgpr_write_b32 a101, v5
	v_accvgpr_write_b32 a102, v2
	v_lshl_add_u64 v[2:3], v[102:103], 0, 27
	v_accvgpr_write_b32 a100, v4
	v_mul_lo_u32 v4, s15, v2
	v_mul_lo_u32 v5, s14, v3
	v_mad_u64_u32 v[2:3], s[28:29], s14, v2, 0
	v_add3_u32 v3, v3, v5, v4
	v_lshlrev_b64 v[2:3], 3, v[2:3]
	v_lshl_add_u64 v[4:5], s[16:17], 0, v[2:3]
	v_lshl_add_u64 v[2:3], s[18:19], 0, v[2:3]
	v_accvgpr_write_b32 a107, v3
	v_accvgpr_write_b32 a105, v5
	v_accvgpr_write_b32 a106, v2
	v_lshl_add_u64 v[2:3], v[102:103], 0, 26
	v_accvgpr_write_b32 a104, v4
	v_mul_lo_u32 v4, s15, v2
	v_mul_lo_u32 v5, s14, v3
	v_mad_u64_u32 v[2:3], s[28:29], s14, v2, 0
	v_add3_u32 v3, v3, v5, v4
	v_lshlrev_b64 v[2:3], 3, v[2:3]
	v_lshl_add_u64 v[4:5], s[16:17], 0, v[2:3]
	v_lshl_add_u64 v[2:3], s[18:19], 0, v[2:3]
	v_accvgpr_write_b32 a111, v3
	v_accvgpr_write_b32 a109, v5
	v_accvgpr_write_b32 a110, v2
	v_lshl_add_u64 v[2:3], v[102:103], 0, 25
	v_accvgpr_write_b32 a108, v4
	v_mul_lo_u32 v4, s15, v2
	v_mul_lo_u32 v5, s14, v3
	v_mad_u64_u32 v[2:3], s[28:29], s14, v2, 0
	v_add3_u32 v3, v3, v5, v4
	v_lshlrev_b64 v[2:3], 3, v[2:3]
	v_lshl_add_u64 v[4:5], s[16:17], 0, v[2:3]
	v_lshl_add_u64 v[2:3], s[18:19], 0, v[2:3]
	v_accvgpr_write_b32 a115, v3
	v_accvgpr_write_b32 a113, v5
	v_accvgpr_write_b32 a114, v2
	v_lshl_add_u64 v[2:3], v[102:103], 0, 24
	v_accvgpr_write_b32 a112, v4
	v_mul_lo_u32 v4, s15, v2
	v_mul_lo_u32 v5, s14, v3
	v_mad_u64_u32 v[2:3], s[28:29], s14, v2, 0
	v_add3_u32 v3, v3, v5, v4
	v_lshlrev_b64 v[2:3], 3, v[2:3]
	v_lshl_add_u64 v[4:5], s[16:17], 0, v[2:3]
	v_lshl_add_u64 v[2:3], s[18:19], 0, v[2:3]
	v_accvgpr_write_b32 a119, v3
	v_accvgpr_write_b32 a117, v5
	v_accvgpr_write_b32 a118, v2
	v_lshl_add_u64 v[2:3], v[102:103], 0, 23
	v_accvgpr_write_b32 a116, v4
	v_mul_lo_u32 v4, s15, v2
	v_mul_lo_u32 v5, s14, v3
	v_mad_u64_u32 v[2:3], s[28:29], s14, v2, 0
	v_add3_u32 v3, v3, v5, v4
	v_lshlrev_b64 v[2:3], 3, v[2:3]
	v_lshl_add_u64 v[4:5], s[16:17], 0, v[2:3]
	v_lshl_add_u64 v[2:3], s[18:19], 0, v[2:3]
	v_accvgpr_write_b32 a123, v3
	v_accvgpr_write_b32 a121, v5
	v_accvgpr_write_b32 a122, v2
	v_lshl_add_u64 v[2:3], v[102:103], 0, 22
	v_accvgpr_write_b32 a120, v4
	v_mul_lo_u32 v4, s15, v2
	v_mul_lo_u32 v5, s14, v3
	v_mad_u64_u32 v[2:3], s[28:29], s14, v2, 0
	v_add3_u32 v3, v3, v5, v4
	v_lshlrev_b64 v[2:3], 3, v[2:3]
	v_lshl_add_u64 v[4:5], s[16:17], 0, v[2:3]
	v_lshl_add_u64 v[2:3], s[18:19], 0, v[2:3]
	v_accvgpr_write_b32 a127, v3
	v_accvgpr_write_b32 a125, v5
	v_accvgpr_write_b32 a126, v2
	v_lshl_add_u64 v[2:3], v[102:103], 0, 21
	v_accvgpr_write_b32 a124, v4
	v_mul_lo_u32 v4, s15, v2
	v_mul_lo_u32 v5, s14, v3
	v_mad_u64_u32 v[2:3], s[28:29], s14, v2, 0
	v_add3_u32 v3, v3, v5, v4
	v_lshlrev_b64 v[2:3], 3, v[2:3]
	v_lshl_add_u64 v[178:179], s[16:17], 0, v[2:3]
	v_lshl_add_u64 v[180:181], s[18:19], 0, v[2:3]
	v_lshl_add_u64 v[2:3], v[102:103], 0, 20
	v_mul_lo_u32 v4, s15, v2
	v_mul_lo_u32 v5, s14, v3
	v_mad_u64_u32 v[2:3], s[28:29], s14, v2, 0
	v_add3_u32 v3, v3, v5, v4
	v_lshlrev_b64 v[2:3], 3, v[2:3]
	v_lshl_add_u64 v[182:183], s[16:17], 0, v[2:3]
	v_lshl_add_u64 v[184:185], s[18:19], 0, v[2:3]
	v_lshl_add_u64 v[2:3], v[102:103], 0, 19
	;; [unrolled: 8-line block ×14, first 2 shown]
	v_mul_lo_u32 v4, s15, v2
	v_mul_lo_u32 v5, s14, v3
	v_mad_u64_u32 v[2:3], s[28:29], s14, v2, 0
	v_add3_u32 v3, v3, v5, v4
	v_lshl_add_u64 v[4:5], v[102:103], 0, 6
	v_mul_lo_u32 v6, s15, v4
	v_mul_lo_u32 v7, s14, v5
	v_mad_u64_u32 v[4:5], s[28:29], s14, v4, 0
	v_add3_u32 v5, v5, v7, v6
	v_lshl_add_u64 v[6:7], v[102:103], 0, 5
	;; [unrolled: 5-line block ×4, first 2 shown]
	v_lshlrev_b64 v[2:3], 3, v[2:3]
	v_mul_lo_u32 v14, s15, v12
	v_mul_lo_u32 v15, s14, v13
	v_mad_u64_u32 v[12:13], s[28:29], s14, v12, 0
	v_add3_u32 v13, v13, v15, v14
	v_lshl_add_u64 v[14:15], v[102:103], 0, 2
	v_lshl_add_u64 v[234:235], s[16:17], 0, v[2:3]
	;; [unrolled: 1-line block ×3, first 2 shown]
	v_lshlrev_b64 v[2:3], 3, v[4:5]
	s_load_dword s3, s[0:1], 0x44
	v_mul_lo_u32 v1, s15, v14
	v_mul_lo_u32 v16, s14, v15
	v_mad_u64_u32 v[14:15], s[28:29], s14, v14, 0
	v_lshl_add_u64 v[238:239], s[16:17], 0, v[2:3]
	v_lshl_add_u64 v[240:241], s[18:19], 0, v[2:3]
	v_lshlrev_b64 v[2:3], 3, v[6:7]
	v_add3_u32 v15, v15, v16, v1
	v_mov_b64_e32 v[16:17], s[14:15]
	v_lshl_add_u64 v[242:243], s[16:17], 0, v[2:3]
	v_lshl_add_u64 v[244:245], s[18:19], 0, v[2:3]
	v_lshlrev_b64 v[2:3], 3, v[10:11]
	v_mad_u64_u32 v[16:17], s[28:29], s14, v102, v[16:17]
	v_lshl_add_u64 v[246:247], s[16:17], 0, v[2:3]
	v_lshl_add_u64 v[248:249], s[18:19], 0, v[2:3]
	v_lshlrev_b64 v[2:3], 3, v[12:13]
	v_add3_u32 v17, v68, v17, v69
	v_lshl_add_u64 v[250:251], s[16:17], 0, v[2:3]
	v_lshl_add_u64 v[252:253], s[18:19], 0, v[2:3]
	v_lshlrev_b64 v[2:3], 3, v[14:15]
	s_add_u32 s6, s0, 64
	v_lshl_add_u64 v[254:255], s[16:17], 0, v[2:3]
	v_lshl_add_u64 v[4:5], s[18:19], 0, v[2:3]
	v_lshlrev_b64 v[2:3], 3, v[16:17]
	s_addc_u32 s7, s1, 0
	s_waitcnt lgkmcnt(0)
	s_lshl_b32 s4, s3, 5
	v_lshl_add_u64 v[150:151], s[16:17], 0, v[2:3]
	v_lshl_add_u64 v[14:15], s[18:19], 0, v[2:3]
	v_mbcnt_lo_u32_b32 v2, -1, 0
	s_mul_i32 s3, s15, s4
	s_mul_hi_u32 s9, s14, s4
	v_mbcnt_hi_u32_b32 v2, -1, v2
	s_add_i32 s25, s9, s3
	s_mul_i32 s24, s14, s4
	v_add3_u32 v125, v77, v125, v63
	v_accvgpr_write_b32 a61, v47
	v_accvgpr_write_b32 a63, v45
	;; [unrolled: 1-line block ×14, first 2 shown]
	v_lshlrev_b32_e32 v2, 2, v2
	s_mov_b32 s5, 0
	s_lshl_b64 s[24:25], s[24:25], 3
	v_add3_u32 v147, v72, v147, v49
	v_add3_u32 v149, v73, v149, v51
	v_accvgpr_write_b32 a60, v46
	v_accvgpr_write_b32 a62, v44
	;; [unrolled: 1-line block ×13, first 2 shown]
	v_mov_b64_e32 v[92:93], v[124:125]
	v_mov_b64_e32 v[124:125], v[42:43]
	v_accvgpr_write_b32 a86, v18
	s_mov_b64 s[26:27], 31
	v_mov_b32_e32 v1, v101
	v_mov_b64_e32 v[100:101], v[138:139]
	v_mov_b64_e32 v[102:103], v[142:143]
	v_and_b32_e32 v110, 0x100, v2
	s_mov_b64 s[16:17], s[10:11]
	v_mov_b64_e32 v[18:19], 0
	v_mov_b64_e32 v[142:143], 0
.LBB28_150:                             ; =>This Inner Loop Header: Depth=1
	s_add_u32 s18, s10, s26
	s_addc_u32 s19, 0, s27
	v_mov_b64_e32 v[2:3], s[12:13]
	v_cmp_ge_i64_e32 vcc, s[18:19], v[2:3]
	v_accvgpr_write_b32 a4, v104
	v_accvgpr_write_b32 a5, v105
	v_lshl_add_u64 v[20:21], s[10:11], 0, v[104:105]
	s_mov_b64 s[18:19], -1
	s_and_b64 vcc, exec, vcc
                                        ; implicit-def: $vgpr6_vgpr7
                                        ; implicit-def: $vgpr26_vgpr27
                                        ; implicit-def: $vgpr104_vgpr105
                                        ; implicit-def: $vgpr10
                                        ; implicit-def: $vgpr2_vgpr3
                                        ; implicit-def: $vgpr138_vgpr139
	s_cbranch_vccz .LBB28_220
; %bb.151:                              ;   in Loop: Header=BB28_150 Depth=1
	s_load_dword s3, s[6:7], 0xc
	v_accvgpr_read_b32 v3, a3
	v_mov_b64_e32 v[78:79], 0
	v_mov_b64_e32 v[24:25], 0
	;; [unrolled: 1-line block ×3, first 2 shown]
	s_waitcnt lgkmcnt(0)
	s_and_b32 s3, s3, 0xffff
	v_mad_u32_u24 v2, v1, s3, v111
	v_and_b32_e32 v2, 63, v2
	v_accvgpr_write_b32 a2, v2
	v_accvgpr_write_b32 a3, v3
	v_cmp_gt_u32_e32 vcc, 32, v2
	s_and_saveexec_b64 s[18:19], vcc
	s_cbranch_execz .LBB28_155
; %bb.152:                              ;   in Loop: Header=BB28_150 Depth=1
	v_accvgpr_read_b32 v2, a2
	v_accvgpr_read_b32 v3, a3
	v_lshl_add_u64 v[2:3], v[20:21], 0, v[2:3]
	v_cmp_gt_i64_e32 vcc, s[12:13], v[2:3]
	v_mov_b64_e32 v[22:23], 0
	v_mov_b64_e32 v[24:25], 0
	s_and_saveexec_b64 s[28:29], vcc
	s_cbranch_execz .LBB28_154
; %bb.153:                              ;   in Loop: Header=BB28_150 Depth=1
	v_lshlrev_b64 v[2:3], 3, v[2:3]
	v_lshl_add_u64 v[6:7], s[22:23], 0, v[2:3]
	v_lshl_add_u64 v[2:3], s[20:21], 0, v[2:3]
	global_load_dwordx2 v[22:23], v[2:3], off
	global_load_dwordx2 v[24:25], v[6:7], off
.LBB28_154:                             ;   in Loop: Header=BB28_150 Depth=1
	s_or_b64 exec, exec, s[28:29]
.LBB28_155:                             ;   in Loop: Header=BB28_150 Depth=1
	s_or_b64 exec, exec, s[18:19]
	v_cmp_gt_i64_e32 vcc, s[12:13], v[20:21]
	v_mov_b64_e32 v[138:139], 0
	s_and_saveexec_b64 s[18:19], vcc
	s_cbranch_execz .LBB28_157
; %bb.156:                              ;   in Loop: Header=BB28_150 Depth=1
	v_lshl_add_u64 v[2:3], v[106:107], 0, v[8:9]
	global_load_dwordx2 v[78:79], v[2:3], off
	v_lshl_add_u64 v[2:3], v[108:109], 0, v[8:9]
	global_load_dwordx2 v[138:139], v[2:3], off
.LBB28_157:                             ;   in Loop: Header=BB28_150 Depth=1
	s_or_b64 exec, exec, s[18:19]
	v_lshl_add_u64 v[2:3], v[20:21], 0, 1
	v_cmp_gt_i64_e32 vcc, s[12:13], v[2:3]
	v_mov_b64_e32 v[6:7], 0
	v_mov_b64_e32 v[80:81], 0
	;; [unrolled: 1-line block ×3, first 2 shown]
	s_and_saveexec_b64 s[18:19], vcc
	s_cbranch_execz .LBB28_159
; %bb.158:                              ;   in Loop: Header=BB28_150 Depth=1
	v_lshl_add_u64 v[2:3], v[150:151], 0, v[8:9]
	global_load_dwordx2 v[80:81], v[2:3], off
	v_lshl_add_u64 v[2:3], v[14:15], 0, v[8:9]
	global_load_dwordx2 v[82:83], v[2:3], off
.LBB28_159:                             ;   in Loop: Header=BB28_150 Depth=1
	s_or_b64 exec, exec, s[18:19]
	v_lshl_add_u64 v[2:3], v[20:21], 0, 2
	v_cmp_gt_i64_e32 vcc, s[12:13], v[2:3]
	v_mov_b64_e32 v[76:77], 0
	s_and_saveexec_b64 s[18:19], vcc
	s_cbranch_execz .LBB28_161
; %bb.160:                              ;   in Loop: Header=BB28_150 Depth=1
	v_lshl_add_u64 v[2:3], v[254:255], 0, v[8:9]
	global_load_dwordx2 v[6:7], v[2:3], off
	v_lshl_add_u64 v[2:3], v[4:5], 0, v[8:9]
	global_load_dwordx2 v[76:77], v[2:3], off
.LBB28_161:                             ;   in Loop: Header=BB28_150 Depth=1
	s_or_b64 exec, exec, s[18:19]
	v_lshl_add_u64 v[2:3], v[20:21], 0, 3
	v_cmp_gt_i64_e32 vcc, s[12:13], v[2:3]
	v_mov_b64_e32 v[30:31], 0
	v_mov_b64_e32 v[2:3], 0
	;; [unrolled: 1-line block ×3, first 2 shown]
	s_and_saveexec_b64 s[18:19], vcc
	s_cbranch_execz .LBB28_163
; %bb.162:                              ;   in Loop: Header=BB28_150 Depth=1
	v_lshl_add_u64 v[2:3], v[250:251], 0, v[8:9]
	v_lshl_add_u64 v[10:11], v[252:253], 0, v[8:9]
	global_load_dwordx2 v[2:3], v[2:3], off
	s_nop 0
	global_load_dwordx2 v[74:75], v[10:11], off
.LBB28_163:                             ;   in Loop: Header=BB28_150 Depth=1
	s_or_b64 exec, exec, s[18:19]
	v_lshl_add_u64 v[10:11], v[20:21], 0, 4
	v_cmp_gt_i64_e32 vcc, s[12:13], v[10:11]
	v_mov_b64_e32 v[34:35], 0
	s_and_saveexec_b64 s[18:19], vcc
	s_cbranch_execz .LBB28_165
; %bb.164:                              ;   in Loop: Header=BB28_150 Depth=1
	v_lshl_add_u64 v[10:11], v[246:247], 0, v[8:9]
	global_load_dwordx2 v[30:31], v[10:11], off
	v_lshl_add_u64 v[10:11], v[248:249], 0, v[8:9]
	global_load_dwordx2 v[34:35], v[10:11], off
.LBB28_165:                             ;   in Loop: Header=BB28_150 Depth=1
	s_or_b64 exec, exec, s[18:19]
	v_lshl_add_u64 v[10:11], v[20:21], 0, 5
	v_cmp_gt_i64_e32 vcc, s[12:13], v[10:11]
	v_mov_b64_e32 v[70:71], 0
	v_mov_b64_e32 v[32:33], 0
	;; [unrolled: 1-line block ×3, first 2 shown]
	s_and_saveexec_b64 s[18:19], vcc
	s_cbranch_execz .LBB28_167
; %bb.166:                              ;   in Loop: Header=BB28_150 Depth=1
	v_lshl_add_u64 v[10:11], v[242:243], 0, v[8:9]
	global_load_dwordx2 v[32:33], v[10:11], off
	v_lshl_add_u64 v[10:11], v[244:245], 0, v[8:9]
	global_load_dwordx2 v[68:69], v[10:11], off
.LBB28_167:                             ;   in Loop: Header=BB28_150 Depth=1
	s_or_b64 exec, exec, s[18:19]
	v_lshl_add_u64 v[10:11], v[20:21], 0, 6
	v_cmp_gt_i64_e32 vcc, s[12:13], v[10:11]
	v_mov_b64_e32 v[66:67], 0
	s_and_saveexec_b64 s[18:19], vcc
	s_cbranch_execz .LBB28_169
; %bb.168:                              ;   in Loop: Header=BB28_150 Depth=1
	v_lshl_add_u64 v[10:11], v[238:239], 0, v[8:9]
	global_load_dwordx2 v[70:71], v[10:11], off
	v_lshl_add_u64 v[10:11], v[240:241], 0, v[8:9]
	global_load_dwordx2 v[66:67], v[10:11], off
.LBB28_169:                             ;   in Loop: Header=BB28_150 Depth=1
	s_or_b64 exec, exec, s[18:19]
	v_lshl_add_u64 v[10:11], v[20:21], 0, 7
	v_accvgpr_write_b32 a146, 0
	v_cmp_gt_i64_e32 vcc, s[12:13], v[10:11]
	v_mov_b64_e32 v[62:63], 0
	v_mov_b64_e32 v[72:73], 0
	v_accvgpr_write_b32 a147, 0
	s_and_saveexec_b64 s[18:19], vcc
	s_cbranch_execz .LBB28_171
; %bb.170:                              ;   in Loop: Header=BB28_150 Depth=1
	v_lshl_add_u64 v[10:11], v[234:235], 0, v[8:9]
	global_load_dwordx2 v[72:73], v[10:11], off
	v_lshl_add_u64 v[10:11], v[236:237], 0, v[8:9]
	global_load_dwordx2 a[146:147], v[10:11], off
.LBB28_171:                             ;   in Loop: Header=BB28_150 Depth=1
	s_or_b64 exec, exec, s[18:19]
	v_lshl_add_u64 v[10:11], v[20:21], 0, 8
	v_cmp_gt_i64_e32 vcc, s[12:13], v[10:11]
	v_mov_b64_e32 v[84:85], 0
	s_and_saveexec_b64 s[18:19], vcc
	s_cbranch_execz .LBB28_173
; %bb.172:                              ;   in Loop: Header=BB28_150 Depth=1
	v_lshl_add_u64 v[10:11], v[230:231], 0, v[8:9]
	global_load_dwordx2 v[62:63], v[10:11], off
	v_lshl_add_u64 v[10:11], v[232:233], 0, v[8:9]
	global_load_dwordx2 v[84:85], v[10:11], off
.LBB28_173:                             ;   in Loop: Header=BB28_150 Depth=1
	s_or_b64 exec, exec, s[18:19]
	v_lshl_add_u64 v[10:11], v[20:21], 0, 9
	v_cmp_gt_i64_e32 vcc, s[12:13], v[10:11]
	v_mov_b64_e32 v[58:59], 0
	v_mov_b64_e32 v[64:65], 0
	;; [unrolled: 1-line block ×3, first 2 shown]
	s_and_saveexec_b64 s[18:19], vcc
	s_cbranch_execz .LBB28_175
; %bb.174:                              ;   in Loop: Header=BB28_150 Depth=1
	v_lshl_add_u64 v[10:11], v[226:227], 0, v[8:9]
	global_load_dwordx2 v[64:65], v[10:11], off
	v_lshl_add_u64 v[10:11], v[228:229], 0, v[8:9]
	global_load_dwordx2 v[26:27], v[10:11], off
.LBB28_175:                             ;   in Loop: Header=BB28_150 Depth=1
	s_or_b64 exec, exec, s[18:19]
	v_lshl_add_u64 v[10:11], v[20:21], 0, 10
	v_accvgpr_write_b32 a140, 0
	v_cmp_gt_i64_e32 vcc, s[12:13], v[10:11]
	v_accvgpr_write_b32 a141, 0
	s_and_saveexec_b64 s[18:19], vcc
	s_cbranch_execz .LBB28_177
; %bb.176:                              ;   in Loop: Header=BB28_150 Depth=1
	v_lshl_add_u64 v[10:11], v[222:223], 0, v[8:9]
	global_load_dwordx2 v[58:59], v[10:11], off
	v_lshl_add_u64 v[10:11], v[224:225], 0, v[8:9]
	global_load_dwordx2 a[140:141], v[10:11], off
.LBB28_177:                             ;   in Loop: Header=BB28_150 Depth=1
	s_or_b64 exec, exec, s[18:19]
	v_lshl_add_u64 v[10:11], v[20:21], 0, 11
	v_accvgpr_write_b32 a138, 0
	v_cmp_gt_i64_e32 vcc, s[12:13], v[10:11]
	v_mov_b64_e32 v[54:55], 0
	v_mov_b64_e32 v[60:61], 0
	v_accvgpr_write_b32 a139, 0
	s_and_saveexec_b64 s[18:19], vcc
	s_cbranch_execz .LBB28_179
; %bb.178:                              ;   in Loop: Header=BB28_150 Depth=1
	v_lshl_add_u64 v[10:11], v[218:219], 0, v[8:9]
	global_load_dwordx2 v[60:61], v[10:11], off
	v_lshl_add_u64 v[10:11], v[220:221], 0, v[8:9]
	global_load_dwordx2 a[138:139], v[10:11], off
.LBB28_179:                             ;   in Loop: Header=BB28_150 Depth=1
	s_or_b64 exec, exec, s[18:19]
	v_lshl_add_u64 v[10:11], v[20:21], 0, 12
	v_accvgpr_write_b32 a136, 0
	v_cmp_gt_i64_e32 vcc, s[12:13], v[10:11]
	v_accvgpr_write_b32 a137, 0
	s_and_saveexec_b64 s[18:19], vcc
	s_cbranch_execz .LBB28_181
; %bb.180:                              ;   in Loop: Header=BB28_150 Depth=1
	v_lshl_add_u64 v[10:11], v[214:215], 0, v[8:9]
	global_load_dwordx2 v[54:55], v[10:11], off
	v_lshl_add_u64 v[10:11], v[216:217], 0, v[8:9]
	global_load_dwordx2 a[136:137], v[10:11], off
.LBB28_181:                             ;   in Loop: Header=BB28_150 Depth=1
	s_or_b64 exec, exec, s[18:19]
	v_lshl_add_u64 v[10:11], v[20:21], 0, 13
	v_accvgpr_write_b32 a134, 0
	v_cmp_gt_i64_e32 vcc, s[12:13], v[10:11]
	v_mov_b64_e32 v[50:51], 0
	v_mov_b64_e32 v[56:57], 0
	v_accvgpr_write_b32 a135, 0
	s_and_saveexec_b64 s[18:19], vcc
	s_cbranch_execz .LBB28_183
; %bb.182:                              ;   in Loop: Header=BB28_150 Depth=1
	v_lshl_add_u64 v[10:11], v[210:211], 0, v[8:9]
	global_load_dwordx2 v[56:57], v[10:11], off
	v_lshl_add_u64 v[10:11], v[212:213], 0, v[8:9]
	global_load_dwordx2 a[134:135], v[10:11], off
.LBB28_183:                             ;   in Loop: Header=BB28_150 Depth=1
	s_or_b64 exec, exec, s[18:19]
	v_lshl_add_u64 v[10:11], v[20:21], 0, 14
	v_accvgpr_write_b32 a132, 0
	v_cmp_gt_i64_e32 vcc, s[12:13], v[10:11]
	v_accvgpr_write_b32 a133, 0
	s_and_saveexec_b64 s[18:19], vcc
	s_cbranch_execz .LBB28_185
; %bb.184:                              ;   in Loop: Header=BB28_150 Depth=1
	v_lshl_add_u64 v[10:11], v[206:207], 0, v[8:9]
	global_load_dwordx2 v[50:51], v[10:11], off
	v_lshl_add_u64 v[10:11], v[208:209], 0, v[8:9]
	global_load_dwordx2 a[132:133], v[10:11], off
.LBB28_185:                             ;   in Loop: Header=BB28_150 Depth=1
	s_or_b64 exec, exec, s[18:19]
	v_lshl_add_u64 v[10:11], v[20:21], 0, 15
	v_accvgpr_write_b32 a130, 0
	v_cmp_gt_i64_e32 vcc, s[12:13], v[10:11]
	v_mov_b64_e32 v[46:47], 0
	v_mov_b64_e32 v[52:53], 0
	v_accvgpr_write_b32 a131, 0
	s_and_saveexec_b64 s[18:19], vcc
	s_cbranch_execz .LBB28_187
; %bb.186:                              ;   in Loop: Header=BB28_150 Depth=1
	v_lshl_add_u64 v[10:11], v[202:203], 0, v[8:9]
	global_load_dwordx2 v[52:53], v[10:11], off
	v_lshl_add_u64 v[10:11], v[204:205], 0, v[8:9]
	global_load_dwordx2 a[130:131], v[10:11], off
.LBB28_187:                             ;   in Loop: Header=BB28_150 Depth=1
	s_or_b64 exec, exec, s[18:19]
	v_lshl_add_u64 v[10:11], v[20:21], 0, 16
	v_accvgpr_write_b32 a128, 0
	v_cmp_gt_i64_e32 vcc, s[12:13], v[10:11]
	v_accvgpr_write_b32 a129, 0
	s_and_saveexec_b64 s[18:19], vcc
	s_cbranch_execz .LBB28_189
; %bb.188:                              ;   in Loop: Header=BB28_150 Depth=1
	v_lshl_add_u64 v[10:11], v[198:199], 0, v[8:9]
	global_load_dwordx2 v[46:47], v[10:11], off
	v_lshl_add_u64 v[10:11], v[200:201], 0, v[8:9]
	global_load_dwordx2 a[128:129], v[10:11], off
.LBB28_189:                             ;   in Loop: Header=BB28_150 Depth=1
	s_or_b64 exec, exec, s[18:19]
	v_lshl_add_u64 v[10:11], v[20:21], 0, 17
	v_accvgpr_write_b32 a40, 0
	v_cmp_gt_i64_e32 vcc, s[12:13], v[10:11]
	v_mov_b64_e32 v[44:45], 0
	v_mov_b64_e32 v[48:49], 0
	v_accvgpr_write_b32 a41, 0
	s_and_saveexec_b64 s[18:19], vcc
	s_cbranch_execz .LBB28_191
; %bb.190:                              ;   in Loop: Header=BB28_150 Depth=1
	v_lshl_add_u64 v[10:11], v[194:195], 0, v[8:9]
	global_load_dwordx2 v[48:49], v[10:11], off
	v_lshl_add_u64 v[10:11], v[196:197], 0, v[8:9]
	global_load_dwordx2 a[40:41], v[10:11], off
.LBB28_191:                             ;   in Loop: Header=BB28_150 Depth=1
	s_or_b64 exec, exec, s[18:19]
	v_lshl_add_u64 v[10:11], v[20:21], 0, 18
	v_accvgpr_write_b32 a38, 0
	v_cmp_gt_i64_e32 vcc, s[12:13], v[10:11]
	v_accvgpr_write_b32 a39, 0
	s_and_saveexec_b64 s[18:19], vcc
	s_cbranch_execz .LBB28_193
; %bb.192:                              ;   in Loop: Header=BB28_150 Depth=1
	v_lshl_add_u64 v[10:11], v[190:191], 0, v[8:9]
	global_load_dwordx2 v[44:45], v[10:11], off
	v_lshl_add_u64 v[10:11], v[192:193], 0, v[8:9]
	global_load_dwordx2 a[38:39], v[10:11], off
.LBB28_193:                             ;   in Loop: Header=BB28_150 Depth=1
	s_or_b64 exec, exec, s[18:19]
	v_lshl_add_u64 v[10:11], v[20:21], 0, 19
	v_accvgpr_write_b32 a36, 0
	v_cmp_gt_i64_e32 vcc, s[12:13], v[10:11]
	v_mov_b64_e32 v[42:43], 0
	v_mov_b64_e32 v[12:13], 0
	v_accvgpr_write_b32 a37, 0
	s_and_saveexec_b64 s[18:19], vcc
	s_cbranch_execz .LBB28_195
; %bb.194:                              ;   in Loop: Header=BB28_150 Depth=1
	v_lshl_add_u64 v[10:11], v[186:187], 0, v[8:9]
	global_load_dwordx2 v[12:13], v[10:11], off
	v_lshl_add_u64 v[10:11], v[188:189], 0, v[8:9]
	global_load_dwordx2 a[36:37], v[10:11], off
.LBB28_195:                             ;   in Loop: Header=BB28_150 Depth=1
	s_or_b64 exec, exec, s[18:19]
	v_lshl_add_u64 v[10:11], v[20:21], 0, 20
	v_accvgpr_write_b32 a34, 0
	v_cmp_gt_i64_e32 vcc, s[12:13], v[10:11]
	v_accvgpr_write_b32 a35, 0
	s_and_saveexec_b64 s[18:19], vcc
	s_cbranch_execz .LBB28_197
; %bb.196:                              ;   in Loop: Header=BB28_150 Depth=1
	v_lshl_add_u64 v[10:11], v[182:183], 0, v[8:9]
	global_load_dwordx2 v[42:43], v[10:11], off
	v_lshl_add_u64 v[10:11], v[184:185], 0, v[8:9]
	global_load_dwordx2 a[34:35], v[10:11], off
.LBB28_197:                             ;   in Loop: Header=BB28_150 Depth=1
	s_or_b64 exec, exec, s[18:19]
	v_lshl_add_u64 v[10:11], v[20:21], 0, 21
	v_accvgpr_write_b32 a32, 0
	v_cmp_gt_i64_e32 vcc, s[12:13], v[10:11]
	v_mov_b64_e32 v[40:41], 0
	v_mov_b64_e32 v[10:11], 0
	v_accvgpr_write_b32 a33, 0
	s_and_saveexec_b64 s[18:19], vcc
	s_cbranch_execz .LBB28_199
; %bb.198:                              ;   in Loop: Header=BB28_150 Depth=1
	v_lshl_add_u64 v[10:11], v[178:179], 0, v[8:9]
	v_lshl_add_u64 v[16:17], v[180:181], 0, v[8:9]
	global_load_dwordx2 v[10:11], v[10:11], off
	s_nop 0
	global_load_dwordx2 a[32:33], v[16:17], off
.LBB28_199:                             ;   in Loop: Header=BB28_150 Depth=1
	s_or_b64 exec, exec, s[18:19]
	v_lshl_add_u64 v[16:17], v[20:21], 0, 22
	v_accvgpr_write_b32 a30, 0
	v_cmp_gt_i64_e32 vcc, s[12:13], v[16:17]
	v_accvgpr_write_b32 a31, 0
	s_and_saveexec_b64 s[18:19], vcc
	s_cbranch_execz .LBB28_201
; %bb.200:                              ;   in Loop: Header=BB28_150 Depth=1
	v_accvgpr_read_b32 v16, a124
	v_accvgpr_read_b32 v17, a125
	v_lshl_add_u64 v[16:17], v[16:17], 0, v[8:9]
	global_load_dwordx2 v[40:41], v[16:17], off
	v_accvgpr_read_b32 v16, a126
	v_accvgpr_read_b32 v17, a127
	v_lshl_add_u64 v[16:17], v[16:17], 0, v[8:9]
	global_load_dwordx2 a[30:31], v[16:17], off
.LBB28_201:                             ;   in Loop: Header=BB28_150 Depth=1
	s_or_b64 exec, exec, s[18:19]
	v_lshl_add_u64 v[16:17], v[20:21], 0, 23
	v_accvgpr_write_b32 a28, 0
	v_cmp_gt_i64_e32 vcc, s[12:13], v[16:17]
	v_mov_b64_e32 v[36:37], 0
	v_mov_b64_e32 v[28:29], 0
	v_accvgpr_write_b32 a29, 0
	s_and_saveexec_b64 s[18:19], vcc
	s_cbranch_execz .LBB28_203
; %bb.202:                              ;   in Loop: Header=BB28_150 Depth=1
	v_accvgpr_read_b32 v16, a120
	v_accvgpr_read_b32 v17, a121
	v_lshl_add_u64 v[16:17], v[16:17], 0, v[8:9]
	global_load_dwordx2 v[28:29], v[16:17], off
	v_accvgpr_read_b32 v16, a122
	v_accvgpr_read_b32 v17, a123
	v_lshl_add_u64 v[16:17], v[16:17], 0, v[8:9]
	global_load_dwordx2 a[28:29], v[16:17], off
.LBB28_203:                             ;   in Loop: Header=BB28_150 Depth=1
	s_or_b64 exec, exec, s[18:19]
	v_lshl_add_u64 v[16:17], v[20:21], 0, 24
	v_accvgpr_write_b32 a26, 0
	v_cmp_gt_i64_e32 vcc, s[12:13], v[16:17]
	v_accvgpr_write_b32 a27, 0
	s_and_saveexec_b64 s[18:19], vcc
	s_cbranch_execz .LBB28_205
; %bb.204:                              ;   in Loop: Header=BB28_150 Depth=1
	v_accvgpr_read_b32 v16, a116
	v_accvgpr_read_b32 v17, a117
	v_lshl_add_u64 v[16:17], v[16:17], 0, v[8:9]
	global_load_dwordx2 v[36:37], v[16:17], off
	v_accvgpr_read_b32 v16, a118
	v_accvgpr_read_b32 v17, a119
	v_lshl_add_u64 v[16:17], v[16:17], 0, v[8:9]
	global_load_dwordx2 a[26:27], v[16:17], off
.LBB28_205:                             ;   in Loop: Header=BB28_150 Depth=1
	s_or_b64 exec, exec, s[18:19]
	v_lshl_add_u64 v[16:17], v[20:21], 0, 25
	v_accvgpr_write_b32 a16, 0
	v_accvgpr_write_b32 a24, 0
	v_cmp_gt_i64_e32 vcc, s[12:13], v[16:17]
	v_accvgpr_write_b32 a17, 0
	v_mov_b64_e32 v[38:39], 0
	v_accvgpr_write_b32 a25, 0
	s_and_saveexec_b64 s[18:19], vcc
	s_cbranch_execz .LBB28_207
; %bb.206:                              ;   in Loop: Header=BB28_150 Depth=1
	v_accvgpr_read_b32 v16, a112
	v_accvgpr_read_b32 v17, a113
	v_lshl_add_u64 v[16:17], v[16:17], 0, v[8:9]
	global_load_dwordx2 v[38:39], v[16:17], off
	v_accvgpr_read_b32 v16, a114
	v_accvgpr_read_b32 v17, a115
	v_lshl_add_u64 v[16:17], v[16:17], 0, v[8:9]
	global_load_dwordx2 a[24:25], v[16:17], off
.LBB28_207:                             ;   in Loop: Header=BB28_150 Depth=1
	s_or_b64 exec, exec, s[18:19]
	v_lshl_add_u64 v[16:17], v[20:21], 0, 26
	v_accvgpr_write_b32 a22, 0
	v_cmp_gt_i64_e32 vcc, s[12:13], v[16:17]
	v_accvgpr_write_b32 a23, 0
	s_and_saveexec_b64 s[18:19], vcc
	s_cbranch_execz .LBB28_209
; %bb.208:                              ;   in Loop: Header=BB28_150 Depth=1
	v_accvgpr_read_b32 v16, a108
	v_accvgpr_read_b32 v17, a109
	v_lshl_add_u64 v[16:17], v[16:17], 0, v[8:9]
	global_load_dwordx2 a[16:17], v[16:17], off
	v_accvgpr_read_b32 v16, a110
	v_accvgpr_read_b32 v17, a111
	v_lshl_add_u64 v[16:17], v[16:17], 0, v[8:9]
	global_load_dwordx2 a[22:23], v[16:17], off
.LBB28_209:                             ;   in Loop: Header=BB28_150 Depth=1
	s_or_b64 exec, exec, s[18:19]
	v_lshl_add_u64 v[16:17], v[20:21], 0, 27
	v_accvgpr_write_b32 a8, 0
	v_accvgpr_write_b32 a18, 0
	;; [unrolled: 1-line block ×3, first 2 shown]
	v_cmp_gt_i64_e32 vcc, s[12:13], v[16:17]
	v_accvgpr_write_b32 a9, 0
	v_accvgpr_write_b32 a19, 0
	;; [unrolled: 1-line block ×3, first 2 shown]
	s_and_saveexec_b64 s[18:19], vcc
	s_cbranch_execz .LBB28_211
; %bb.210:                              ;   in Loop: Header=BB28_150 Depth=1
	v_accvgpr_read_b32 v16, a104
	v_accvgpr_read_b32 v17, a105
	v_lshl_add_u64 v[16:17], v[16:17], 0, v[8:9]
	global_load_dwordx2 a[18:19], v[16:17], off
	v_accvgpr_read_b32 v16, a106
	v_accvgpr_read_b32 v17, a107
	v_lshl_add_u64 v[16:17], v[16:17], 0, v[8:9]
	global_load_dwordx2 a[20:21], v[16:17], off
.LBB28_211:                             ;   in Loop: Header=BB28_150 Depth=1
	s_or_b64 exec, exec, s[18:19]
	v_lshl_add_u64 v[16:17], v[20:21], 0, 28
	v_accvgpr_write_b32 a14, 0
	v_cmp_gt_i64_e32 vcc, s[12:13], v[16:17]
	v_accvgpr_write_b32 a15, 0
	s_and_saveexec_b64 s[18:19], vcc
	s_cbranch_execz .LBB28_213
; %bb.212:                              ;   in Loop: Header=BB28_150 Depth=1
	v_accvgpr_read_b32 v16, a100
	v_accvgpr_read_b32 v17, a101
	v_lshl_add_u64 v[16:17], v[16:17], 0, v[8:9]
	global_load_dwordx2 a[8:9], v[16:17], off
	v_accvgpr_read_b32 v16, a102
	v_accvgpr_read_b32 v17, a103
	v_lshl_add_u64 v[16:17], v[16:17], 0, v[8:9]
	global_load_dwordx2 a[14:15], v[16:17], off
.LBB28_213:                             ;   in Loop: Header=BB28_150 Depth=1
	s_or_b64 exec, exec, s[18:19]
	v_lshl_add_u64 v[16:17], v[20:21], 0, 29
	v_accvgpr_write_b32 a0, 0
	v_accvgpr_write_b32 a10, 0
	;; [unrolled: 1-line block ×3, first 2 shown]
	v_cmp_gt_i64_e32 vcc, s[12:13], v[16:17]
	v_accvgpr_write_b32 a1, 0
	v_accvgpr_write_b32 a11, 0
	;; [unrolled: 1-line block ×3, first 2 shown]
	s_and_saveexec_b64 s[18:19], vcc
	s_cbranch_execz .LBB28_215
; %bb.214:                              ;   in Loop: Header=BB28_150 Depth=1
	v_accvgpr_read_b32 v16, a96
	v_accvgpr_read_b32 v17, a97
	v_lshl_add_u64 v[16:17], v[16:17], 0, v[8:9]
	global_load_dwordx2 a[10:11], v[16:17], off
	v_accvgpr_read_b32 v16, a98
	v_accvgpr_read_b32 v17, a99
	v_lshl_add_u64 v[16:17], v[16:17], 0, v[8:9]
	global_load_dwordx2 a[12:13], v[16:17], off
.LBB28_215:                             ;   in Loop: Header=BB28_150 Depth=1
	s_or_b64 exec, exec, s[18:19]
	v_lshl_add_u64 v[16:17], v[20:21], 0, 30
	v_accvgpr_write_b32 a6, 0
	v_cmp_gt_i64_e32 vcc, s[12:13], v[16:17]
	v_accvgpr_write_b32 a7, 0
	s_and_saveexec_b64 s[18:19], vcc
	s_cbranch_execz .LBB28_217
; %bb.216:                              ;   in Loop: Header=BB28_150 Depth=1
	v_accvgpr_read_b32 v16, a92
	v_accvgpr_read_b32 v17, a93
	v_lshl_add_u64 v[16:17], v[16:17], 0, v[8:9]
	global_load_dwordx2 a[0:1], v[16:17], off
	v_accvgpr_read_b32 v16, a94
	v_accvgpr_read_b32 v17, a95
	v_lshl_add_u64 v[16:17], v[16:17], 0, v[8:9]
	global_load_dwordx2 a[6:7], v[16:17], off
.LBB28_217:                             ;   in Loop: Header=BB28_150 Depth=1
	s_or_b64 exec, exec, s[18:19]
	s_waitcnt vmcnt(0)
	v_accvgpr_write_b32 a145, v85
	v_accvgpr_write_b32 a143, v27
	v_lshl_add_u64 v[16:17], v[20:21], 0, 31
	v_accvgpr_write_b32 a144, v84
	v_accvgpr_write_b32 a142, v26
	v_cmp_gt_i64_e32 vcc, s[12:13], v[16:17]
	v_mov_b64_e32 v[26:27], 0
	v_mov_b64_e32 v[104:105], 0
	s_and_saveexec_b64 s[18:19], vcc
	s_cbranch_execz .LBB28_219
; %bb.218:                              ;   in Loop: Header=BB28_150 Depth=1
	v_accvgpr_read_b32 v16, a88
	v_accvgpr_read_b32 v17, a89
	v_lshl_add_u64 v[16:17], v[16:17], 0, v[8:9]
	global_load_dwordx2 v[26:27], v[16:17], off
	v_accvgpr_read_b32 v16, a90
	v_accvgpr_read_b32 v17, a91
	v_lshl_add_u64 v[16:17], v[16:17], 0, v[8:9]
	global_load_dwordx2 v[104:105], v[16:17], off
.LBB28_219:                             ;   in Loop: Header=BB28_150 Depth=1
	s_or_b64 exec, exec, s[18:19]
	ds_bpermute_b32 v84, v110, v22
	ds_bpermute_b32 v85, v110, v23
	ds_bpermute_b32 v16, v110, v24
	ds_bpermute_b32 v17, v110, v25
	s_mov_b64 s[18:19], 0
	s_waitcnt lgkmcnt(2)
	v_add_f64 v[84:85], v[138:139], -v[84:85]
	v_mul_f64 v[84:85], v[78:79], v[84:85]
	s_waitcnt lgkmcnt(0)
	v_fma_f64 v[138:139], v[84:85], v[16:17], v[18:19]
	ds_bpermute_b32 v84, v110, v22 offset:4
	ds_bpermute_b32 v85, v110, v23 offset:4
	v_add_f64 v[16:17], v[142:143], v[78:79]
	ds_bpermute_b32 v78, v110, v24 offset:4
	ds_bpermute_b32 v79, v110, v25 offset:4
	v_add_f64 v[16:17], v[16:17], v[80:81]
	s_waitcnt lgkmcnt(2)
	v_add_f64 v[82:83], v[82:83], -v[84:85]
	v_mul_f64 v[82:83], v[80:81], v[82:83]
	ds_bpermute_b32 v80, v110, v22 offset:8
	ds_bpermute_b32 v81, v110, v23 offset:8
	s_waitcnt lgkmcnt(2)
	v_fmac_f64_e32 v[138:139], v[82:83], v[78:79]
	ds_bpermute_b32 v78, v110, v24 offset:8
	ds_bpermute_b32 v79, v110, v25 offset:8
	s_waitcnt lgkmcnt(2)
	v_add_f64 v[76:77], v[76:77], -v[80:81]
	v_mul_f64 v[76:77], v[6:7], v[76:77]
	v_add_f64 v[6:7], v[16:17], v[6:7]
	s_waitcnt lgkmcnt(0)
	v_fmac_f64_e32 v[138:139], v[76:77], v[78:79]
	ds_bpermute_b32 v76, v110, v22 offset:12
	ds_bpermute_b32 v77, v110, v23 offset:12
	;; [unrolled: 1-line block ×4, first 2 shown]
	s_waitcnt lgkmcnt(2)
	v_add_f64 v[74:75], v[74:75], -v[76:77]
	v_mul_f64 v[74:75], v[2:3], v[74:75]
	s_waitcnt lgkmcnt(0)
	v_fmac_f64_e32 v[138:139], v[74:75], v[16:17]
	ds_bpermute_b32 v16, v110, v22 offset:16
	ds_bpermute_b32 v17, v110, v23 offset:16
	v_add_f64 v[2:3], v[6:7], v[2:3]
	ds_bpermute_b32 v6, v110, v24 offset:16
	ds_bpermute_b32 v7, v110, v25 offset:16
	v_add_f64 v[2:3], v[2:3], v[30:31]
	s_waitcnt lgkmcnt(2)
	v_add_f64 v[16:17], v[34:35], -v[16:17]
	v_mul_f64 v[16:17], v[30:31], v[16:17]
	v_accvgpr_read_b32 v30, a146
	s_waitcnt lgkmcnt(0)
	v_fmac_f64_e32 v[138:139], v[16:17], v[6:7]
	ds_bpermute_b32 v16, v110, v22 offset:20
	ds_bpermute_b32 v17, v110, v23 offset:20
	;; [unrolled: 1-line block ×4, first 2 shown]
	v_accvgpr_read_b32 v31, a147
	v_add_f64 v[2:3], v[2:3], v[32:33]
	s_waitcnt lgkmcnt(2)
	v_add_f64 v[16:17], v[68:69], -v[16:17]
	v_mul_f64 v[16:17], v[32:33], v[16:17]
	s_waitcnt lgkmcnt(0)
	v_fmac_f64_e32 v[138:139], v[16:17], v[6:7]
	ds_bpermute_b32 v16, v110, v22 offset:24
	ds_bpermute_b32 v17, v110, v23 offset:24
	;; [unrolled: 1-line block ×4, first 2 shown]
	v_add_f64 v[2:3], v[2:3], v[70:71]
	v_add_f64 v[2:3], v[2:3], v[72:73]
	s_waitcnt lgkmcnt(2)
	v_add_f64 v[16:17], v[66:67], -v[16:17]
	v_mul_f64 v[16:17], v[70:71], v[16:17]
	s_waitcnt lgkmcnt(0)
	v_fmac_f64_e32 v[138:139], v[16:17], v[6:7]
	ds_bpermute_b32 v16, v110, v22 offset:28
	ds_bpermute_b32 v17, v110, v23 offset:28
	ds_bpermute_b32 v6, v110, v24 offset:28
	ds_bpermute_b32 v7, v110, v25 offset:28
	v_add_f64 v[2:3], v[2:3], v[62:63]
	v_add_f64 v[2:3], v[2:3], v[64:65]
	s_waitcnt lgkmcnt(2)
	v_add_f64 v[16:17], v[30:31], -v[16:17]
	v_mul_f64 v[16:17], v[72:73], v[16:17]
	s_waitcnt lgkmcnt(0)
	v_fmac_f64_e32 v[138:139], v[16:17], v[6:7]
	ds_bpermute_b32 v16, v110, v22 offset:32
	ds_bpermute_b32 v17, v110, v23 offset:32
	ds_bpermute_b32 v6, v110, v24 offset:32
	ds_bpermute_b32 v7, v110, v25 offset:32
	v_accvgpr_read_b32 v30, a144
	v_accvgpr_read_b32 v31, a145
	s_waitcnt lgkmcnt(2)
	v_add_f64 v[16:17], v[30:31], -v[16:17]
	v_mul_f64 v[16:17], v[62:63], v[16:17]
	s_waitcnt lgkmcnt(0)
	v_fmac_f64_e32 v[138:139], v[16:17], v[6:7]
	ds_bpermute_b32 v16, v110, v22 offset:36
	ds_bpermute_b32 v17, v110, v23 offset:36
	ds_bpermute_b32 v6, v110, v24 offset:36
	ds_bpermute_b32 v7, v110, v25 offset:36
	v_accvgpr_read_b32 v30, a142
	v_accvgpr_read_b32 v31, a143
	;; [unrolled: 11-line block ×10, first 2 shown]
	s_waitcnt lgkmcnt(2)
	v_add_f64 v[16:17], v[30:31], -v[16:17]
	v_mul_f64 v[16:17], v[48:49], v[16:17]
	s_waitcnt lgkmcnt(0)
	v_fmac_f64_e32 v[138:139], v[16:17], v[6:7]
	ds_bpermute_b32 v16, v110, v22 offset:72
	ds_bpermute_b32 v17, v110, v23 offset:72
	;; [unrolled: 1-line block ×4, first 2 shown]
	v_accvgpr_read_b32 v30, a38
	v_add_f64 v[2:3], v[2:3], v[58:59]
	v_accvgpr_read_b32 v31, a39
	v_add_f64 v[2:3], v[2:3], v[60:61]
	s_waitcnt lgkmcnt(2)
	v_add_f64 v[16:17], v[30:31], -v[16:17]
	v_add_f64 v[2:3], v[2:3], v[54:55]
	v_mul_f64 v[16:17], v[44:45], v[16:17]
	v_add_f64 v[2:3], v[2:3], v[56:57]
	s_waitcnt lgkmcnt(0)
	v_fmac_f64_e32 v[138:139], v[16:17], v[6:7]
	ds_bpermute_b32 v16, v110, v22 offset:76
	ds_bpermute_b32 v17, v110, v23 offset:76
	v_add_f64 v[2:3], v[2:3], v[50:51]
	v_add_f64 v[2:3], v[2:3], v[52:53]
	;; [unrolled: 1-line block ×3, first 2 shown]
	ds_bpermute_b32 v6, v110, v24 offset:76
	ds_bpermute_b32 v7, v110, v25 offset:76
	v_accvgpr_read_b32 v30, a36
	v_add_f64 v[2:3], v[2:3], v[48:49]
	v_accvgpr_read_b32 v31, a37
	v_add_f64 v[2:3], v[2:3], v[44:45]
	s_waitcnt lgkmcnt(2)
	v_add_f64 v[16:17], v[30:31], -v[16:17]
	v_mul_f64 v[16:17], v[12:13], v[16:17]
	v_add_f64 v[2:3], v[2:3], v[12:13]
	ds_bpermute_b32 v12, v110, v22 offset:80
	ds_bpermute_b32 v13, v110, v23 offset:80
	s_waitcnt lgkmcnt(2)
	v_fmac_f64_e32 v[138:139], v[16:17], v[6:7]
	ds_bpermute_b32 v6, v110, v24 offset:80
	ds_bpermute_b32 v7, v110, v25 offset:80
	v_accvgpr_read_b32 v16, a34
	v_accvgpr_read_b32 v17, a35
	s_waitcnt lgkmcnt(2)
	v_add_f64 v[12:13], v[16:17], -v[12:13]
	v_mul_f64 v[12:13], v[42:43], v[12:13]
	s_waitcnt lgkmcnt(0)
	v_fmac_f64_e32 v[138:139], v[12:13], v[6:7]
	ds_bpermute_b32 v12, v110, v22 offset:84
	ds_bpermute_b32 v13, v110, v23 offset:84
	;; [unrolled: 1-line block ×4, first 2 shown]
	v_accvgpr_read_b32 v16, a32
	v_accvgpr_read_b32 v17, a33
	v_add_f64 v[2:3], v[2:3], v[42:43]
	s_waitcnt lgkmcnt(2)
	v_add_f64 v[12:13], v[16:17], -v[12:13]
	v_mul_f64 v[12:13], v[10:11], v[12:13]
	v_add_f64 v[2:3], v[2:3], v[10:11]
	ds_bpermute_b32 v10, v110, v22 offset:88
	ds_bpermute_b32 v11, v110, v23 offset:88
	s_waitcnt lgkmcnt(2)
	v_fmac_f64_e32 v[138:139], v[12:13], v[6:7]
	ds_bpermute_b32 v6, v110, v24 offset:88
	ds_bpermute_b32 v7, v110, v25 offset:88
	v_accvgpr_read_b32 v12, a30
	v_accvgpr_read_b32 v13, a31
	s_waitcnt lgkmcnt(2)
	v_add_f64 v[10:11], v[12:13], -v[10:11]
	v_mul_f64 v[10:11], v[40:41], v[10:11]
	s_waitcnt lgkmcnt(0)
	v_fmac_f64_e32 v[138:139], v[10:11], v[6:7]
	ds_bpermute_b32 v10, v110, v22 offset:92
	ds_bpermute_b32 v11, v110, v23 offset:92
	ds_bpermute_b32 v6, v110, v24 offset:92
	ds_bpermute_b32 v7, v110, v25 offset:92
	v_accvgpr_read_b32 v12, a28
	v_accvgpr_read_b32 v13, a29
	s_waitcnt lgkmcnt(2)
	v_add_f64 v[10:11], v[12:13], -v[10:11]
	v_mul_f64 v[10:11], v[28:29], v[10:11]
	s_waitcnt lgkmcnt(0)
	v_fmac_f64_e32 v[138:139], v[10:11], v[6:7]
	ds_bpermute_b32 v10, v110, v22 offset:96
	ds_bpermute_b32 v11, v110, v23 offset:96
	;; [unrolled: 11-line block ×4, first 2 shown]
	ds_bpermute_b32 v6, v110, v24 offset:104
	ds_bpermute_b32 v7, v110, v25 offset:104
	v_accvgpr_read_b32 v12, a22
	v_accvgpr_read_b32 v13, a23
	s_waitcnt lgkmcnt(2)
	v_add_f64 v[10:11], v[12:13], -v[10:11]
	v_accvgpr_read_b32 v12, a16
	v_accvgpr_read_b32 v13, a17
	v_add_f64 v[2:3], v[2:3], v[40:41]
	v_mul_f64 v[10:11], v[12:13], v[10:11]
	v_add_f64 v[2:3], v[2:3], v[28:29]
	s_waitcnt lgkmcnt(0)
	v_fmac_f64_e32 v[138:139], v[10:11], v[6:7]
	ds_bpermute_b32 v10, v110, v22 offset:108
	ds_bpermute_b32 v11, v110, v23 offset:108
	v_add_f64 v[2:3], v[2:3], v[36:37]
	v_add_f64 v[2:3], v[2:3], v[38:39]
	;; [unrolled: 1-line block ×3, first 2 shown]
	ds_bpermute_b32 v6, v110, v24 offset:108
	ds_bpermute_b32 v7, v110, v25 offset:108
	v_accvgpr_read_b32 v12, a20
	v_accvgpr_read_b32 v13, a21
	s_waitcnt lgkmcnt(2)
	v_add_f64 v[10:11], v[12:13], -v[10:11]
	v_accvgpr_read_b32 v12, a18
	v_accvgpr_read_b32 v13, a19
	v_mul_f64 v[10:11], v[12:13], v[10:11]
	s_waitcnt lgkmcnt(0)
	v_fmac_f64_e32 v[138:139], v[10:11], v[6:7]
	ds_bpermute_b32 v10, v110, v22 offset:112
	ds_bpermute_b32 v11, v110, v23 offset:112
	v_add_f64 v[2:3], v[2:3], v[12:13]
	ds_bpermute_b32 v6, v110, v24 offset:112
	ds_bpermute_b32 v7, v110, v25 offset:112
	v_accvgpr_read_b32 v12, a14
	v_accvgpr_read_b32 v13, a15
	s_waitcnt lgkmcnt(2)
	v_add_f64 v[10:11], v[12:13], -v[10:11]
	v_accvgpr_read_b32 v13, a9
	v_accvgpr_read_b32 v12, a8
	v_mul_f64 v[10:11], v[12:13], v[10:11]
	s_waitcnt lgkmcnt(0)
	v_fmac_f64_e32 v[138:139], v[10:11], v[6:7]
	ds_bpermute_b32 v10, v110, v22 offset:116
	ds_bpermute_b32 v11, v110, v23 offset:116
	v_add_f64 v[2:3], v[2:3], v[12:13]
	;; [unrolled: 14-line block ×3, first 2 shown]
	ds_bpermute_b32 v6, v110, v24 offset:120
	ds_bpermute_b32 v7, v110, v25 offset:120
	v_accvgpr_read_b32 v13, a7
	v_accvgpr_read_b32 v12, a6
	s_waitcnt lgkmcnt(2)
	v_add_f64 v[10:11], v[12:13], -v[10:11]
	v_accvgpr_read_b32 v13, a1
	v_accvgpr_read_b32 v12, a0
	v_mul_f64 v[10:11], v[12:13], v[10:11]
	s_waitcnt lgkmcnt(0)
	v_fmac_f64_e32 v[138:139], v[10:11], v[6:7]
	ds_bpermute_b32 v6, v110, v24 offset:124
	ds_bpermute_b32 v7, v110, v25 offset:124
	;; [unrolled: 1-line block ×4, first 2 shown]
	v_add_f64 v[2:3], v[2:3], v[12:13]
.LBB28_220:                             ;   in Loop: Header=BB28_150 Depth=1
	s_and_b64 vcc, exec, s[18:19]
	s_cbranch_vccz .LBB28_226
; %bb.221:                              ;   in Loop: Header=BB28_150 Depth=1
	s_load_dword s3, s[6:7], 0x0
	v_accvgpr_read_b32 v3, a3
	v_accvgpr_write_b32 a0, v142
	v_mov_b64_e32 v[78:79], v[116:117]
	v_mov_b64_e32 v[24:25], v[162:163]
	s_waitcnt lgkmcnt(0)
	s_cmp_lt_u32 s2, s3
	s_cselect_b32 s3, 12, 18
	s_add_u32 s18, s6, s3
	s_addc_u32 s19, s7, 0
	global_load_ushort v2, v3, s[18:19]
	v_mov_b64_e32 v[162:163], v[102:103]
	v_mov_b64_e32 v[116:117], v[100:101]
	;; [unrolled: 1-line block ×4, first 2 shown]
	v_accvgpr_write_b32 a1, v143
	v_mov_b64_e32 v[6:7], 0
	s_waitcnt vmcnt(0)
	v_mad_u32_u24 v2, v1, v2, v111
	v_and_b32_e32 v2, 63, v2
	v_accvgpr_write_b32 a2, v2
	v_accvgpr_write_b32 a3, v3
	v_cmp_gt_u32_e32 vcc, 32, v2
	v_mov_b64_e32 v[2:3], 0
	s_and_saveexec_b64 s[18:19], vcc
	s_cbranch_execz .LBB28_225
; %bb.222:                              ;   in Loop: Header=BB28_150 Depth=1
	v_accvgpr_read_b32 v2, a2
	v_accvgpr_read_b32 v3, a3
	v_lshl_add_u64 v[10:11], v[20:21], 0, v[2:3]
	v_cmp_gt_i64_e32 vcc, s[12:13], v[10:11]
	v_mov_b64_e32 v[2:3], 0
	v_mov_b64_e32 v[6:7], 0
	s_and_saveexec_b64 s[28:29], vcc
	s_cbranch_execz .LBB28_224
; %bb.223:                              ;   in Loop: Header=BB28_150 Depth=1
	v_lshlrev_b64 v[2:3], 3, v[10:11]
	v_lshl_add_u64 v[6:7], s[22:23], 0, v[2:3]
	v_lshl_add_u64 v[2:3], s[20:21], 0, v[2:3]
	global_load_dwordx2 v[2:3], v[2:3], off
	s_nop 0
	global_load_dwordx2 v[6:7], v[6:7], off
.LBB28_224:                             ;   in Loop: Header=BB28_150 Depth=1
	s_or_b64 exec, exec, s[28:29]
.LBB28_225:                             ;   in Loop: Header=BB28_150 Depth=1
	s_or_b64 exec, exec, s[18:19]
	v_lshl_add_u64 v[10:11], v[106:107], 0, v[8:9]
	global_load_dwordx2 v[26:27], v[10:11], off
	v_lshl_add_u64 v[10:11], v[108:109], 0, v[8:9]
	global_load_dwordx2 v[34:35], v[10:11], off
	;; [unrolled: 2-line block ×6, first 2 shown]
	v_lshl_add_u64 v[10:11], v[146:147], 0, v[8:9]
	v_accvgpr_write_b32 a12, v144
	v_accvgpr_write_b32 a13, v145
	global_load_dwordx2 v[144:145], v[10:11], off
	v_accvgpr_read_b32 v10, a42
	v_accvgpr_read_b32 v11, a43
	v_lshl_add_u64 v[10:11], v[10:11], 0, v[8:9]
	global_load_dwordx2 v[54:55], v[10:11], off
	v_lshl_add_u64 v[10:11], v[148:149], 0, v[8:9]
	v_accvgpr_write_b32 a6, v106
	v_accvgpr_write_b32 a7, v107
	global_load_dwordx2 v[106:107], v[10:11], off
	v_accvgpr_read_b32 v10, a44
	v_accvgpr_read_b32 v11, a45
	v_lshl_add_u64 v[10:11], v[10:11], 0, v[8:9]
	global_load_dwordx2 v[60:61], v[10:11], off
	;; [unrolled: 8-line block ×4, first 2 shown]
	v_lshl_add_u64 v[10:11], v[90:91], 0, v[8:9]
	v_accvgpr_write_b32 a10, v140
	v_accvgpr_write_b32 a11, v141
	global_load_dwordx2 v[140:141], v[10:11], off
	v_accvgpr_read_b32 v10, a50
	v_accvgpr_read_b32 v11, a51
	v_lshl_add_u64 v[10:11], v[10:11], 0, v[8:9]
	v_accvgpr_write_b32 a8, v108
	v_accvgpr_write_b32 a9, v109
	global_load_dwordx2 v[108:109], v[10:11], off
	v_lshl_add_u64 v[10:11], v[92:93], 0, v[8:9]
	global_load_dwordx2 v[102:103], v[10:11], off
	v_accvgpr_read_b32 v10, a52
	v_accvgpr_read_b32 v11, a53
	v_lshl_add_u64 v[10:11], v[10:11], 0, v[8:9]
	global_load_dwordx2 v[104:105], v[10:11], off
	v_lshl_add_u64 v[10:11], v[94:95], 0, v[8:9]
	global_load_dwordx2 v[98:99], v[10:11], off
	v_accvgpr_read_b32 v10, a54
	v_accvgpr_read_b32 v11, a55
	v_lshl_add_u64 v[10:11], v[10:11], 0, v[8:9]
	global_load_dwordx2 v[16:17], v[10:11], off
	v_lshl_add_u64 v[10:11], v[96:97], 0, v[8:9]
	v_accvgpr_write_b32 a26, v94
	v_accvgpr_write_b32 a27, v95
	global_load_dwordx2 v[94:95], v[10:11], off
	v_accvgpr_read_b32 v10, a56
	v_accvgpr_read_b32 v11, a57
	v_accvgpr_write_b32 a38, v176
	v_lshl_add_u64 v[10:11], v[10:11], 0, v[8:9]
	v_accvgpr_write_b32 a39, v177
	v_mov_b64_e32 v[176:177], v[152:153]
	global_load_dwordx2 v[100:101], v[10:11], off
	v_lshl_add_u64 v[10:11], v[176:177], 0, v[8:9]
	v_accvgpr_write_b32 a22, v90
	v_accvgpr_write_b32 a23, v91
	global_load_dwordx2 v[90:91], v[10:11], off
	v_accvgpr_read_b32 v10, a58
	v_accvgpr_read_b32 v11, a59
	v_lshl_add_u64 v[10:11], v[10:11], 0, v[8:9]
	v_accvgpr_write_b32 a28, v96
	v_mov_b64_e32 v[152:153], v[12:13]
	v_accvgpr_write_b32 a29, v97
	global_load_dwordx2 v[96:97], v[10:11], off
	v_lshl_add_u64 v[10:11], v[152:153], 0, v[8:9]
	v_accvgpr_write_b32 a18, v86
	v_accvgpr_write_b32 a19, v87
	global_load_dwordx2 v[86:87], v[10:11], off
	v_accvgpr_read_b32 v10, a60
	v_accvgpr_read_b32 v11, a61
	v_lshl_add_u64 v[10:11], v[10:11], 0, v[8:9]
	v_accvgpr_write_b32 a24, v92
	v_accvgpr_write_b32 a25, v93
	global_load_dwordx2 v[92:93], v[10:11], off
	v_lshl_add_u64 v[10:11], v[116:117], 0, v[8:9]
	global_load_dwordx2 v[138:139], v[10:11], off
	v_accvgpr_read_b32 v10, a62
	v_accvgpr_read_b32 v11, a63
	v_lshl_add_u64 v[10:11], v[10:11], 0, v[8:9]
	v_accvgpr_write_b32 a20, v88
	s_waitcnt vmcnt(28)
	ds_bpermute_b32 v40, v110, v2
	ds_bpermute_b32 v41, v110, v3
	v_accvgpr_write_b32 a21, v89
	global_load_dwordx2 v[88:89], v[10:11], off
	v_lshl_add_u64 v[10:11], v[154:155], 0, v[8:9]
	global_load_dwordx2 v[80:81], v[10:11], off
	v_accvgpr_read_b32 v10, a64
	s_waitcnt vmcnt(29)
	ds_bpermute_b32 v70, v110, v6
	ds_bpermute_b32 v71, v110, v7
	v_accvgpr_read_b32 v11, a65
	v_lshl_add_u64 v[10:11], v[10:11], 0, v[8:9]
	global_load_dwordx2 v[84:85], v[10:11], off
	v_lshl_add_u64 v[10:11], v[156:157], 0, v[8:9]
	s_waitcnt vmcnt(28) lgkmcnt(2)
	v_add_f64 v[34:35], v[34:35], -v[40:41]
	global_load_dwordx2 v[72:73], v[10:11], off
	v_accvgpr_read_b32 v10, a66
	v_mul_f64 v[34:35], v[26:27], v[34:35]
	v_accvgpr_read_b32 v11, a67
	s_waitcnt lgkmcnt(0)
	v_fmac_f64_e32 v[18:19], v[34:35], v[70:71]
	ds_bpermute_b32 v34, v110, v2 offset:4
	ds_bpermute_b32 v35, v110, v3 offset:4
	v_lshl_add_u64 v[10:11], v[10:11], 0, v[8:9]
	global_load_dwordx2 v[82:83], v[10:11], off
	v_lshl_add_u64 v[10:11], v[114:115], 0, v[8:9]
	ds_bpermute_b32 v70, v110, v6 offset:4
	ds_bpermute_b32 v71, v110, v7 offset:4
	global_load_dwordx2 v[62:63], v[10:11], off
	v_accvgpr_read_b32 v10, a68
	v_accvgpr_read_b32 v11, a69
	v_lshl_add_u64 v[10:11], v[10:11], 0, v[8:9]
	s_waitcnt vmcnt(29) lgkmcnt(2)
	v_add_f64 v[34:35], v[46:47], -v[34:35]
	ds_bpermute_b32 v46, v110, v2 offset:8
	ds_bpermute_b32 v47, v110, v3 offset:8
	global_load_dwordx2 v[74:75], v[10:11], off
	v_lshl_add_u64 v[10:11], v[158:159], 0, v[8:9]
	v_mul_f64 v[34:35], v[68:69], v[34:35]
	global_load_dwordx2 v[56:57], v[10:11], off
	v_accvgpr_read_b32 v10, a70
	s_waitcnt lgkmcnt(2)
	v_fmac_f64_e32 v[18:19], v[34:35], v[70:71]
	ds_bpermute_b32 v70, v110, v6 offset:8
	ds_bpermute_b32 v71, v110, v7 offset:8
	v_accvgpr_read_b32 v11, a71
	v_lshl_add_u64 v[10:11], v[10:11], 0, v[8:9]
	global_load_dwordx2 v[66:67], v[10:11], off
	v_lshl_add_u64 v[10:11], v[160:161], 0, v[8:9]
	s_waitcnt vmcnt(30) lgkmcnt(2)
	v_add_f64 v[46:47], v[48:49], -v[46:47]
	global_load_dwordx2 v[50:51], v[10:11], off
	v_accvgpr_read_b32 v10, a72
	v_mul_f64 v[46:47], v[142:143], v[46:47]
	v_accvgpr_read_b32 v11, a73
	v_accvgpr_write_b32 a40, v124
	s_waitcnt lgkmcnt(0)
	v_fmac_f64_e32 v[18:19], v[46:47], v[70:71]
	ds_bpermute_b32 v46, v110, v2 offset:12
	ds_bpermute_b32 v47, v110, v3 offset:12
	v_lshl_add_u64 v[10:11], v[10:11], 0, v[8:9]
	v_accvgpr_write_b32 a41, v125
	v_mov_b64_e32 v[124:125], v[162:163]
	global_load_dwordx2 v[58:59], v[10:11], off
	v_lshl_add_u64 v[10:11], v[124:125], 0, v[8:9]
	ds_bpermute_b32 v70, v110, v6 offset:12
	ds_bpermute_b32 v71, v110, v7 offset:12
	global_load_dwordx2 v[42:43], v[10:11], off
	v_accvgpr_read_b32 v10, a74
	v_accvgpr_read_b32 v11, a75
	v_lshl_add_u64 v[10:11], v[10:11], 0, v[8:9]
	v_mov_b64_e32 v[162:163], v[24:25]
	s_waitcnt vmcnt(31) lgkmcnt(2)
	v_add_f64 v[46:47], v[54:55], -v[46:47]
	ds_bpermute_b32 v54, v110, v2 offset:16
	ds_bpermute_b32 v55, v110, v3 offset:16
	global_load_dwordx2 v[52:53], v[10:11], off
	v_lshl_add_u64 v[10:11], v[162:163], 0, v[8:9]
	v_mul_f64 v[46:47], v[144:145], v[46:47]
	global_load_dwordx2 v[36:37], v[10:11], off
	v_accvgpr_read_b32 v10, a76
	s_waitcnt lgkmcnt(2)
	v_fmac_f64_e32 v[18:19], v[46:47], v[70:71]
	ds_bpermute_b32 v70, v110, v6 offset:16
	ds_bpermute_b32 v71, v110, v7 offset:16
	v_accvgpr_read_b32 v11, a77
	v_lshl_add_u64 v[10:11], v[10:11], 0, v[8:9]
	global_load_dwordx2 v[44:45], v[10:11], off
	v_lshl_add_u64 v[10:11], v[164:165], 0, v[8:9]
	s_waitcnt vmcnt(32) lgkmcnt(2)
	v_add_f64 v[54:55], v[60:61], -v[54:55]
	global_load_dwordx2 v[30:31], v[10:11], off
	v_accvgpr_read_b32 v10, a78
	v_mul_f64 v[54:55], v[106:107], v[54:55]
	v_accvgpr_read_b32 v11, a79
	s_waitcnt lgkmcnt(0)
	v_fmac_f64_e32 v[18:19], v[54:55], v[70:71]
	ds_bpermute_b32 v54, v110, v2 offset:20
	ds_bpermute_b32 v55, v110, v3 offset:20
	v_lshl_add_u64 v[10:11], v[10:11], 0, v[8:9]
	v_lshl_add_u64 v[60:61], v[128:129], 0, v[8:9]
	global_load_dwordx2 v[38:39], v[10:11], off
	v_lshl_add_u64 v[10:11], v[118:119], 0, v[8:9]
	global_load_dwordx2 v[70:71], v[60:61], off
	ds_bpermute_b32 v60, v110, v6 offset:20
	ds_bpermute_b32 v61, v110, v7 offset:20
	global_load_dwordx2 v[24:25], v[10:11], off
	v_accvgpr_read_b32 v10, a80
	v_accvgpr_read_b32 v11, a81
	v_lshl_add_u64 v[10:11], v[10:11], 0, v[8:9]
	s_waitcnt vmcnt(34) lgkmcnt(2)
	v_add_f64 v[54:55], v[64:65], -v[54:55]
	global_load_dwordx2 v[32:33], v[10:11], off
	v_lshl_add_u64 v[10:11], v[112:113], 0, v[8:9]
	v_mul_f64 v[54:55], v[146:147], v[54:55]
	ds_bpermute_b32 v64, v110, v2 offset:24
	ds_bpermute_b32 v65, v110, v3 offset:24
	global_load_dwordx2 v[12:13], v[10:11], off
	v_accvgpr_read_b32 v10, a82
	s_waitcnt lgkmcnt(2)
	v_fmac_f64_e32 v[18:19], v[54:55], v[60:61]
	v_lshl_add_u64 v[54:55], v[120:121], 0, v[8:9]
	v_accvgpr_read_b32 v11, a83
	global_load_dwordx2 v[60:61], v[54:55], off
	ds_bpermute_b32 v54, v110, v6 offset:24
	ds_bpermute_b32 v55, v110, v7 offset:24
	v_lshl_add_u64 v[10:11], v[10:11], 0, v[8:9]
	global_load_dwordx2 v[28:29], v[10:11], off
	v_accvgpr_read_b32 v20, a84
	v_accvgpr_read_b32 v21, a85
	s_waitcnt vmcnt(36) lgkmcnt(2)
	v_add_f64 v[64:65], v[76:77], -v[64:65]
	v_lshl_add_u64 v[20:21], v[20:21], 0, v[8:9]
	v_mul_f64 v[64:65], v[148:149], v[64:65]
	v_lshl_add_u64 v[10:11], v[166:167], 0, v[8:9]
	global_load_dwordx2 v[20:21], v[20:21], off
	s_waitcnt lgkmcnt(0)
	v_fmac_f64_e32 v[18:19], v[64:65], v[54:55]
	v_lshl_add_u64 v[54:55], v[172:173], 0, v[8:9]
	global_load_dwordx2 v[10:11], v[10:11], off
	v_accvgpr_read_b32 v40, a86
	v_lshl_add_u64 v[76:77], v[130:131], 0, v[8:9]
	v_accvgpr_write_b32 a30, v170
	global_load_dwordx2 v[64:65], v[54:55], off
	v_lshl_add_u64 v[54:55], v[132:133], 0, v[8:9]
	v_accvgpr_read_b32 v41, a87
	v_lshl_add_u64 v[46:47], v[170:171], 0, v[8:9]
	v_accvgpr_write_b32 a31, v171
	global_load_dwordx2 v[170:171], v[76:77], off
	v_lshl_add_u64 v[40:41], v[40:41], 0, v[8:9]
	global_load_dwordx2 v[76:77], v[54:55], off
	v_accvgpr_read_b32 v55, a1
	v_accvgpr_read_b32 v54, a0
	v_lshl_add_u64 v[22:23], v[168:169], 0, v[8:9]
	global_load_dwordx2 v[40:41], v[40:41], off
	v_add_f64 v[26:27], v[54:55], v[26:27]
	global_load_dwordx2 v[22:23], v[22:23], off
	v_add_f64 v[26:27], v[26:27], v[68:69]
	v_add_f64 v[142:143], v[26:27], v[142:143]
	;; [unrolled: 1-line block ×3, first 2 shown]
	v_lshl_add_u64 v[48:49], v[126:127], 0, v[8:9]
	v_add_f64 v[106:107], v[142:143], v[106:107]
	ds_bpermute_b32 v142, v110, v2 offset:28
	ds_bpermute_b32 v143, v110, v3 offset:28
	v_lshl_add_u64 v[34:35], v[78:79], 0, v[8:9]
	global_load_dwordx2 v[48:49], v[48:49], off
	v_lshl_add_u64 v[144:145], v[136:137], 0, v[8:9]
	global_load_dwordx2 v[34:35], v[34:35], off
	s_waitcnt vmcnt(43) lgkmcnt(0)
	v_add_f64 v[108:109], v[108:109], -v[142:143]
	global_load_dwordx2 a[0:1], v[144:145], off
	ds_bpermute_b32 v144, v110, v6 offset:28
	ds_bpermute_b32 v145, v110, v7 offset:28
	;; [unrolled: 1-line block ×4, first 2 shown]
	v_mul_f64 v[108:109], v[140:141], v[108:109]
	global_load_dwordx2 v[46:47], v[46:47], off
	s_waitcnt lgkmcnt(2)
	v_fmac_f64_e32 v[18:19], v[108:109], v[144:145]
	ds_bpermute_b32 v108, v110, v6 offset:32
	ds_bpermute_b32 v109, v110, v7 offset:32
	v_add_f64 v[106:107], v[106:107], v[146:147]
	v_add_f64 v[106:107], v[106:107], v[148:149]
	;; [unrolled: 1-line block ×3, first 2 shown]
	s_waitcnt vmcnt(43) lgkmcnt(2)
	v_add_f64 v[104:105], v[104:105], -v[142:143]
	ds_bpermute_b32 v140, v110, v2 offset:36
	ds_bpermute_b32 v141, v110, v3 offset:36
	v_mul_f64 v[104:105], v[102:103], v[104:105]
	s_waitcnt lgkmcnt(2)
	v_fmac_f64_e32 v[18:19], v[104:105], v[108:109]
	ds_bpermute_b32 v104, v110, v6 offset:36
	ds_bpermute_b32 v105, v110, v7 offset:36
	v_add_f64 v[102:103], v[106:107], v[102:103]
	s_waitcnt vmcnt(41) lgkmcnt(2)
	v_add_f64 v[16:17], v[16:17], -v[140:141]
	ds_bpermute_b32 v106, v110, v2 offset:40
	ds_bpermute_b32 v107, v110, v3 offset:40
	v_mul_f64 v[16:17], v[98:99], v[16:17]
	s_waitcnt lgkmcnt(2)
	v_fmac_f64_e32 v[18:19], v[16:17], v[104:105]
	v_add_f64 v[16:17], v[102:103], v[98:99]
	ds_bpermute_b32 v98, v110, v6 offset:40
	ds_bpermute_b32 v99, v110, v7 offset:40
	;; [unrolled: 1-line block ×4, first 2 shown]
	v_lshl_add_u64 v[68:69], v[134:135], 0, v[8:9]
	s_waitcnt vmcnt(39) lgkmcnt(4)
	v_add_f64 v[100:101], v[100:101], -v[106:107]
	v_lshl_add_u64 v[54:55], v[122:123], 0, v[8:9]
	global_load_dwordx2 v[68:69], v[68:69], off
	v_mul_f64 v[100:101], v[94:95], v[100:101]
	v_add_f64 v[16:17], v[16:17], v[94:95]
	ds_bpermute_b32 v94, v110, v6 offset:44
	ds_bpermute_b32 v95, v110, v7 offset:44
	global_load_dwordx2 v[54:55], v[54:55], off
	s_waitcnt lgkmcnt(4)
	v_fmac_f64_e32 v[18:19], v[100:101], v[98:99]
	ds_bpermute_b32 v98, v110, v2 offset:48
	ds_bpermute_b32 v99, v110, v3 offset:48
	v_lshl_add_u64 v[26:27], v[174:175], 0, v[8:9]
	s_waitcnt vmcnt(39) lgkmcnt(4)
	v_add_f64 v[96:97], v[96:97], -v[102:103]
	global_load_dwordx2 v[26:27], v[26:27], off
	v_mul_f64 v[96:97], v[90:91], v[96:97]
	s_waitcnt lgkmcnt(2)
	v_fmac_f64_e32 v[18:19], v[96:97], v[94:95]
	v_add_f64 v[16:17], v[16:17], v[90:91]
	ds_bpermute_b32 v90, v110, v6 offset:48
	ds_bpermute_b32 v91, v110, v7 offset:48
	;; [unrolled: 1-line block ×4, first 2 shown]
	s_waitcnt vmcnt(38) lgkmcnt(4)
	v_add_f64 v[92:93], v[92:93], -v[98:99]
	v_mul_f64 v[92:93], v[86:87], v[92:93]
	v_add_f64 v[16:17], v[16:17], v[86:87]
	ds_bpermute_b32 v86, v110, v6 offset:52
	ds_bpermute_b32 v87, v110, v7 offset:52
	s_waitcnt lgkmcnt(4)
	v_fmac_f64_e32 v[18:19], v[92:93], v[90:91]
	s_waitcnt vmcnt(36) lgkmcnt(2)
	v_add_f64 v[88:89], v[88:89], -v[94:95]
	ds_bpermute_b32 v90, v110, v2 offset:56
	ds_bpermute_b32 v91, v110, v3 offset:56
	v_mul_f64 v[88:89], v[138:139], v[88:89]
	s_waitcnt lgkmcnt(2)
	v_fmac_f64_e32 v[18:19], v[88:89], v[86:87]
	ds_bpermute_b32 v86, v110, v6 offset:56
	ds_bpermute_b32 v87, v110, v7 offset:56
	;; [unrolled: 1-line block ×4, first 2 shown]
	v_add_f64 v[16:17], v[16:17], v[138:139]
	s_waitcnt vmcnt(34) lgkmcnt(4)
	v_add_f64 v[84:85], v[84:85], -v[90:91]
	v_mul_f64 v[84:85], v[80:81], v[84:85]
	v_add_f64 v[16:17], v[16:17], v[80:81]
	ds_bpermute_b32 v80, v110, v6 offset:60
	ds_bpermute_b32 v81, v110, v7 offset:60
	s_waitcnt lgkmcnt(4)
	v_fmac_f64_e32 v[18:19], v[84:85], v[86:87]
	ds_bpermute_b32 v84, v110, v2 offset:64
	ds_bpermute_b32 v85, v110, v3 offset:64
	s_waitcnt vmcnt(32) lgkmcnt(4)
	v_add_f64 v[82:83], v[82:83], -v[88:89]
	v_mul_f64 v[82:83], v[72:73], v[82:83]
	v_add_f64 v[16:17], v[16:17], v[72:73]
	ds_bpermute_b32 v72, v110, v6 offset:64
	ds_bpermute_b32 v73, v110, v7 offset:64
	s_waitcnt lgkmcnt(4)
	v_fmac_f64_e32 v[18:19], v[82:83], v[80:81]
	ds_bpermute_b32 v80, v110, v2 offset:68
	ds_bpermute_b32 v81, v110, v3 offset:68
	;; [unrolled: 10-line block ×9, first 2 shown]
	s_waitcnt vmcnt(14) lgkmcnt(4)
	v_add_f64 v[28:29], v[28:29], -v[36:37]
	v_mul_f64 v[28:29], v[12:13], v[28:29]
	s_waitcnt lgkmcnt(2)
	v_fmac_f64_e32 v[18:19], v[28:29], v[24:25]
	v_add_f64 v[12:13], v[16:17], v[12:13]
	ds_bpermute_b32 v16, v110, v6 offset:96
	ds_bpermute_b32 v17, v110, v7 offset:96
	;; [unrolled: 1-line block ×4, first 2 shown]
	s_waitcnt vmcnt(13) lgkmcnt(4)
	v_add_f64 v[20:21], v[20:21], -v[30:31]
	s_waitcnt vmcnt(12)
	v_mul_f64 v[20:21], v[10:11], v[20:21]
	v_add_f64 v[10:11], v[12:13], v[10:11]
	ds_bpermute_b32 v12, v110, v6 offset:100
	ds_bpermute_b32 v13, v110, v7 offset:100
	s_waitcnt lgkmcnt(4)
	v_fmac_f64_e32 v[18:19], v[20:21], v[16:17]
	s_waitcnt vmcnt(8) lgkmcnt(2)
	v_add_f64 v[16:17], v[40:41], -v[24:25]
	ds_bpermute_b32 v20, v110, v2 offset:104
	ds_bpermute_b32 v21, v110, v3 offset:104
	s_waitcnt vmcnt(7)
	v_mul_f64 v[16:17], v[22:23], v[16:17]
	s_waitcnt lgkmcnt(2)
	v_fmac_f64_e32 v[18:19], v[16:17], v[12:13]
	ds_bpermute_b32 v12, v110, v6 offset:104
	ds_bpermute_b32 v13, v110, v7 offset:104
	s_waitcnt vmcnt(6) lgkmcnt(2)
	v_add_f64 v[16:17], v[48:49], -v[20:21]
	ds_bpermute_b32 v20, v110, v2 offset:108
	ds_bpermute_b32 v21, v110, v3 offset:108
	s_waitcnt vmcnt(5)
	v_mul_f64 v[16:17], v[34:35], v[16:17]
	s_waitcnt lgkmcnt(2)
	v_fmac_f64_e32 v[18:19], v[16:17], v[12:13]
	ds_bpermute_b32 v12, v110, v6 offset:108
	ds_bpermute_b32 v13, v110, v7 offset:108
	s_waitcnt lgkmcnt(2)
	v_add_f64 v[16:17], v[70:71], -v[20:21]
	ds_bpermute_b32 v20, v110, v2 offset:112
	ds_bpermute_b32 v21, v110, v3 offset:112
	s_waitcnt vmcnt(3)
	v_mul_f64 v[16:17], v[46:47], v[16:17]
	s_waitcnt lgkmcnt(2)
	v_fmac_f64_e32 v[18:19], v[16:17], v[12:13]
	ds_bpermute_b32 v12, v110, v6 offset:112
	ds_bpermute_b32 v13, v110, v7 offset:112
	s_waitcnt lgkmcnt(2)
	v_add_f64 v[16:17], v[170:171], -v[20:21]
	ds_bpermute_b32 v20, v110, v2 offset:116
	ds_bpermute_b32 v21, v110, v3 offset:116
	v_mul_f64 v[16:17], v[60:61], v[16:17]
	s_waitcnt lgkmcnt(2)
	v_fmac_f64_e32 v[18:19], v[16:17], v[12:13]
	ds_bpermute_b32 v12, v110, v6 offset:116
	ds_bpermute_b32 v13, v110, v7 offset:116
	v_add_f64 v[10:11], v[10:11], v[22:23]
	s_waitcnt lgkmcnt(2)
	v_add_f64 v[16:17], v[76:77], -v[20:21]
	ds_bpermute_b32 v20, v110, v2 offset:120
	ds_bpermute_b32 v21, v110, v3 offset:120
	v_add_f64 v[10:11], v[10:11], v[34:35]
	v_mul_f64 v[16:17], v[64:65], v[16:17]
	v_add_f64 v[10:11], v[10:11], v[46:47]
	s_waitcnt lgkmcnt(2)
	v_fmac_f64_e32 v[18:19], v[16:17], v[12:13]
	ds_bpermute_b32 v16, v110, v6 offset:120
	ds_bpermute_b32 v17, v110, v7 offset:120
	v_add_f64 v[10:11], v[10:11], v[60:61]
	v_add_f64 v[12:13], v[10:11], v[64:65]
	ds_bpermute_b32 v6, v110, v6 offset:124
	ds_bpermute_b32 v7, v110, v7 offset:124
	;; [unrolled: 1-line block ×4, first 2 shown]
	s_waitcnt vmcnt(2) lgkmcnt(6)
	v_add_f64 v[20:21], v[68:69], -v[20:21]
	s_waitcnt vmcnt(1)
	v_mul_f64 v[2:3], v[54:55], v[20:21]
	v_accvgpr_read_b32 v147, a15
	v_accvgpr_read_b32 v149, a17
	;; [unrolled: 1-line block ×7, first 2 shown]
	v_mov_b64_e32 v[102:103], v[124:125]
	v_accvgpr_read_b32 v125, a41
	v_accvgpr_read_b32 v97, a29
	v_mov_b64_e32 v[98:99], v[176:177]
	v_accvgpr_read_b32 v177, a39
	v_accvgpr_read_b32 v93, a25
	;; [unrolled: 1-line block ×7, first 2 shown]
	s_waitcnt lgkmcnt(4)
	v_fmac_f64_e32 v[18:19], v[2:3], v[16:17]
	v_accvgpr_read_b32 v146, a14
	v_accvgpr_read_b32 v148, a16
	;; [unrolled: 1-line block ×7, first 2 shown]
	v_mov_b64_e32 v[100:101], v[116:117]
	v_mov_b64_e32 v[116:117], v[78:79]
	v_accvgpr_read_b32 v124, a40
	v_accvgpr_read_b32 v96, a28
	;; [unrolled: 1-line block ×9, first 2 shown]
	v_add_f64 v[2:3], v[12:13], v[54:55]
	v_mov_b64_e32 v[138:139], v[18:19]
.LBB28_226:                             ;   in Loop: Header=BB28_150 Depth=1
	s_add_u32 s16, s16, s4
	s_waitcnt vmcnt(0)
	v_add_f64 v[142:143], v[2:3], v[26:27]
	s_addc_u32 s17, s17, 0
	v_mov_b64_e32 v[2:3], s[12:13]
	v_cmp_ge_i64_e32 vcc, s[16:17], v[2:3]
	v_accvgpr_read_b32 v2, a42
	v_accvgpr_read_b32 v3, a43
	v_lshl_add_u64 v[2:3], v[2:3], 0, s[24:25]
	v_accvgpr_write_b32 a43, v3
	v_accvgpr_write_b32 a42, v2
	v_accvgpr_read_b32 v2, a44
	v_accvgpr_read_b32 v3, a45
	v_lshl_add_u64 v[2:3], v[2:3], 0, s[24:25]
	v_accvgpr_write_b32 a45, v3
	v_accvgpr_write_b32 a44, v2
	;; [unrolled: 5-line block ×41, first 2 shown]
	v_accvgpr_read_b32 v2, a124
	v_accvgpr_read_b32 v3, a125
	v_lshl_add_u64 v[2:3], v[2:3], 0, s[24:25]
	v_accvgpr_write_b32 a125, v3
	s_waitcnt lgkmcnt(0)
	v_add_f64 v[10:11], v[104:105], -v[10:11]
	v_accvgpr_read_b32 v105, a5
	v_accvgpr_write_b32 a124, v2
	v_accvgpr_read_b32 v2, a126
	v_mul_f64 v[10:11], v[26:27], v[10:11]
	v_accvgpr_read_b32 v104, a4
	v_accvgpr_read_b32 v3, a127
	s_add_u32 s26, s26, s4
	v_fmac_f64_e32 v[138:139], v[10:11], v[6:7]
	v_lshl_add_u64 v[106:107], v[106:107], 0, s[24:25]
	v_lshl_add_u64 v[108:109], v[108:109], 0, s[24:25]
	;; [unrolled: 1-line block ×85, first 2 shown]
	s_addc_u32 s27, 0, s27
	s_cbranch_vccnz .LBB28_228
; %bb.227:                              ;   in Loop: Header=BB28_150 Depth=1
	v_accvgpr_write_b32 a127, v3
	v_accvgpr_write_b32 a126, v2
	v_mov_b64_e32 v[18:19], v[138:139]
	s_branch .LBB28_150
.LBB28_228:
	s_mov_b32 s3, 0
	s_lshl_b64 s[2:3], s[2:3], 6
	v_and_b32_e32 v1, 0x3ff, v0
	v_or_b32_e32 v8, s2, v1
	v_mov_b32_e32 v9, s3
	v_cmp_gt_i64_e32 vcc, s[14:15], v[8:9]
	s_and_saveexec_b64 s[2:3], vcc
	s_cbranch_execz .LBB28_233
; %bb.229:
	s_load_dword s2, s[0:1], 0x4c
	s_load_dwordx4 s[4:7], s[0:1], 0x30
	v_bfe_u32 v2, v0, 10, 10
	v_mov_b32_e32 v3, 0
	v_mov_b32_e32 v4, s8
	s_waitcnt lgkmcnt(0)
	s_lshr_b32 s0, s2, 16
	v_mad_u64_u32 v[2:3], s[0:1], s0, v4, v[2:3]
	s_cmp_eq_u64 s[4:5], 0
	v_mul_lo_u32 v3, v3, s14
	v_mul_lo_u32 v4, v2, s15
	s_cbranch_scc1 .LBB28_231
; %bb.230:
	v_mad_u64_u32 v[6:7], s[0:1], v2, s14, 0
	v_add3_u32 v7, v7, v4, v3
	v_lshl_add_u64 v[6:7], v[6:7], 3, s[4:5]
	v_lshl_add_u64 v[6:7], v[8:9], 3, v[6:7]
	global_store_dwordx2 v[6:7], v[138:139], off
.LBB28_231:
	s_cmp_eq_u64 s[6:7], 0
	s_cbranch_scc1 .LBB28_233
; %bb.232:
	v_mad_u64_u32 v[6:7], s[0:1], v2, s14, 0
	v_add3_u32 v7, v7, v4, v3
	v_lshl_add_u64 v[2:3], v[6:7], 3, s[6:7]
	v_lshl_add_u64 v[0:1], v[8:9], 3, v[2:3]
	global_store_dwordx2 v[0:1], v[142:143], off
.LBB28_233:
	s_endpgm
	.section	.rodata,"a",@progbits
	.p2align	6, 0x0
	.amdhsa_kernel _ZN2at6native12_GLOBAL__N_135GammaBetaBackwardCUDAKernelTemplateIddLj64ELj1ELj32ELb1ELb0ELb0EEEvllPKT_S5_PKT0_S8_PS3_S9_
		.amdhsa_group_segment_fixed_size 0
		.amdhsa_private_segment_fixed_size 0
		.amdhsa_kernarg_size 320
		.amdhsa_user_sgpr_count 2
		.amdhsa_user_sgpr_dispatch_ptr 0
		.amdhsa_user_sgpr_queue_ptr 0
		.amdhsa_user_sgpr_kernarg_segment_ptr 1
		.amdhsa_user_sgpr_dispatch_id 0
		.amdhsa_user_sgpr_kernarg_preload_length 0
		.amdhsa_user_sgpr_kernarg_preload_offset 0
		.amdhsa_user_sgpr_private_segment_size 0
		.amdhsa_uses_dynamic_stack 0
		.amdhsa_enable_private_segment 0
		.amdhsa_system_sgpr_workgroup_id_x 1
		.amdhsa_system_sgpr_workgroup_id_y 1
		.amdhsa_system_sgpr_workgroup_id_z 0
		.amdhsa_system_sgpr_workgroup_info 0
		.amdhsa_system_vgpr_workitem_id 1
		.amdhsa_next_free_vgpr 404
		.amdhsa_next_free_sgpr 40
		.amdhsa_accum_offset 256
		.amdhsa_reserve_vcc 1
		.amdhsa_float_round_mode_32 0
		.amdhsa_float_round_mode_16_64 0
		.amdhsa_float_denorm_mode_32 3
		.amdhsa_float_denorm_mode_16_64 3
		.amdhsa_dx10_clamp 1
		.amdhsa_ieee_mode 1
		.amdhsa_fp16_overflow 0
		.amdhsa_tg_split 0
		.amdhsa_exception_fp_ieee_invalid_op 0
		.amdhsa_exception_fp_denorm_src 0
		.amdhsa_exception_fp_ieee_div_zero 0
		.amdhsa_exception_fp_ieee_overflow 0
		.amdhsa_exception_fp_ieee_underflow 0
		.amdhsa_exception_fp_ieee_inexact 0
		.amdhsa_exception_int_div_zero 0
	.end_amdhsa_kernel
	.section	.text._ZN2at6native12_GLOBAL__N_135GammaBetaBackwardCUDAKernelTemplateIddLj64ELj1ELj32ELb1ELb0ELb0EEEvllPKT_S5_PKT0_S8_PS3_S9_,"axG",@progbits,_ZN2at6native12_GLOBAL__N_135GammaBetaBackwardCUDAKernelTemplateIddLj64ELj1ELj32ELb1ELb0ELb0EEEvllPKT_S5_PKT0_S8_PS3_S9_,comdat
.Lfunc_end28:
	.size	_ZN2at6native12_GLOBAL__N_135GammaBetaBackwardCUDAKernelTemplateIddLj64ELj1ELj32ELb1ELb0ELb0EEEvllPKT_S5_PKT0_S8_PS3_S9_, .Lfunc_end28-_ZN2at6native12_GLOBAL__N_135GammaBetaBackwardCUDAKernelTemplateIddLj64ELj1ELj32ELb1ELb0ELb0EEEvllPKT_S5_PKT0_S8_PS3_S9_
                                        ; -- End function
	.set _ZN2at6native12_GLOBAL__N_135GammaBetaBackwardCUDAKernelTemplateIddLj64ELj1ELj32ELb1ELb0ELb0EEEvllPKT_S5_PKT0_S8_PS3_S9_.num_vgpr, 256
	.set _ZN2at6native12_GLOBAL__N_135GammaBetaBackwardCUDAKernelTemplateIddLj64ELj1ELj32ELb1ELb0ELb0EEEvllPKT_S5_PKT0_S8_PS3_S9_.num_agpr, 148
	.set _ZN2at6native12_GLOBAL__N_135GammaBetaBackwardCUDAKernelTemplateIddLj64ELj1ELj32ELb1ELb0ELb0EEEvllPKT_S5_PKT0_S8_PS3_S9_.numbered_sgpr, 40
	.set _ZN2at6native12_GLOBAL__N_135GammaBetaBackwardCUDAKernelTemplateIddLj64ELj1ELj32ELb1ELb0ELb0EEEvllPKT_S5_PKT0_S8_PS3_S9_.num_named_barrier, 0
	.set _ZN2at6native12_GLOBAL__N_135GammaBetaBackwardCUDAKernelTemplateIddLj64ELj1ELj32ELb1ELb0ELb0EEEvllPKT_S5_PKT0_S8_PS3_S9_.private_seg_size, 0
	.set _ZN2at6native12_GLOBAL__N_135GammaBetaBackwardCUDAKernelTemplateIddLj64ELj1ELj32ELb1ELb0ELb0EEEvllPKT_S5_PKT0_S8_PS3_S9_.uses_vcc, 1
	.set _ZN2at6native12_GLOBAL__N_135GammaBetaBackwardCUDAKernelTemplateIddLj64ELj1ELj32ELb1ELb0ELb0EEEvllPKT_S5_PKT0_S8_PS3_S9_.uses_flat_scratch, 0
	.set _ZN2at6native12_GLOBAL__N_135GammaBetaBackwardCUDAKernelTemplateIddLj64ELj1ELj32ELb1ELb0ELb0EEEvllPKT_S5_PKT0_S8_PS3_S9_.has_dyn_sized_stack, 0
	.set _ZN2at6native12_GLOBAL__N_135GammaBetaBackwardCUDAKernelTemplateIddLj64ELj1ELj32ELb1ELb0ELb0EEEvllPKT_S5_PKT0_S8_PS3_S9_.has_recursion, 0
	.set _ZN2at6native12_GLOBAL__N_135GammaBetaBackwardCUDAKernelTemplateIddLj64ELj1ELj32ELb1ELb0ELb0EEEvllPKT_S5_PKT0_S8_PS3_S9_.has_indirect_call, 0
	.section	.AMDGPU.csdata,"",@progbits
; Kernel info:
; codeLenInByte = 29556
; TotalNumSgprs: 46
; NumVgprs: 256
; NumAgprs: 148
; TotalNumVgprs: 404
; ScratchSize: 0
; MemoryBound: 0
; FloatMode: 240
; IeeeMode: 1
; LDSByteSize: 0 bytes/workgroup (compile time only)
; SGPRBlocks: 5
; VGPRBlocks: 50
; NumSGPRsForWavesPerEU: 46
; NumVGPRsForWavesPerEU: 404
; AccumOffset: 256
; Occupancy: 1
; WaveLimiterHint : 0
; COMPUTE_PGM_RSRC2:SCRATCH_EN: 0
; COMPUTE_PGM_RSRC2:USER_SGPR: 2
; COMPUTE_PGM_RSRC2:TRAP_HANDLER: 0
; COMPUTE_PGM_RSRC2:TGID_X_EN: 1
; COMPUTE_PGM_RSRC2:TGID_Y_EN: 1
; COMPUTE_PGM_RSRC2:TGID_Z_EN: 0
; COMPUTE_PGM_RSRC2:TIDIG_COMP_CNT: 1
; COMPUTE_PGM_RSRC3_GFX90A:ACCUM_OFFSET: 63
; COMPUTE_PGM_RSRC3_GFX90A:TG_SPLIT: 0
	.section	.text._ZN2at6native12_GLOBAL__N_135GammaBetaBackwardCUDAKernelTemplateIddLj64ELj1ELj8ELb1ELb1ELb0EEEvllPKT_S5_PKT0_S8_PS3_S9_,"axG",@progbits,_ZN2at6native12_GLOBAL__N_135GammaBetaBackwardCUDAKernelTemplateIddLj64ELj1ELj8ELb1ELb1ELb0EEEvllPKT_S5_PKT0_S8_PS3_S9_,comdat
	.globl	_ZN2at6native12_GLOBAL__N_135GammaBetaBackwardCUDAKernelTemplateIddLj64ELj1ELj8ELb1ELb1ELb0EEEvllPKT_S5_PKT0_S8_PS3_S9_ ; -- Begin function _ZN2at6native12_GLOBAL__N_135GammaBetaBackwardCUDAKernelTemplateIddLj64ELj1ELj8ELb1ELb1ELb0EEEvllPKT_S5_PKT0_S8_PS3_S9_
	.p2align	8
	.type	_ZN2at6native12_GLOBAL__N_135GammaBetaBackwardCUDAKernelTemplateIddLj64ELj1ELj8ELb1ELb1ELb0EEEvllPKT_S5_PKT0_S8_PS3_S9_,@function
_ZN2at6native12_GLOBAL__N_135GammaBetaBackwardCUDAKernelTemplateIddLj64ELj1ELj8ELb1ELb1ELb0EEEvllPKT_S5_PKT0_S8_PS3_S9_: ; @_ZN2at6native12_GLOBAL__N_135GammaBetaBackwardCUDAKernelTemplateIddLj64ELj1ELj8ELb1ELb1ELb0EEEvllPKT_S5_PKT0_S8_PS3_S9_
; %bb.0:
	s_load_dwordx4 s[16:19], s[0:1], 0x0
	s_lshl_b32 s6, s3, 3
	s_mov_b32 s7, 0
	v_mov_b64_e32 v[2:3], s[6:7]
	s_mov_b32 s4, s3
	s_waitcnt lgkmcnt(0)
	v_cmp_gt_i64_e32 vcc, s[16:17], v[2:3]
	v_bfe_u32 v1, v0, 10, 10
	s_cbranch_vccnz .LBB29_2
; %bb.1:
	s_add_u32 s24, s0, 64
	s_addc_u32 s25, s1, 0
	s_mov_b64 s[8:9], 0
	v_bfe_u32 v6, v0, 10, 10
	s_branch .LBB29_3
.LBB29_2:
	s_mov_b64 s[8:9], -1
                                        ; implicit-def: $sgpr24_sgpr25
                                        ; implicit-def: $vgpr6
.LBB29_3:
	s_load_dwordx4 s[20:23], s[0:1], 0x30
	v_and_b32_e32 v0, 0x3ff, v0
	v_mov_b64_e32 v[4:5], 0
	s_andn2_b64 vcc, exec, s[8:9]
	v_mov_b64_e32 v[2:3], 0
	s_cbranch_vccnz .LBB29_11
; %bb.4:
	s_load_dword s3, s[0:1], 0x4c
	s_load_dword s5, s[0:1], 0x44
	s_load_dwordx8 s[8:15], s[0:1], 0x10
	s_add_u32 s24, s0, 64
	s_addc_u32 s25, s1, 0
	s_waitcnt lgkmcnt(0)
	s_and_b32 s0, s3, 0xffff
	v_mbcnt_lo_u32_b32 v6, -1, 0
	v_mad_u32_u24 v2, v1, s0, v0
	v_lshlrev_b32_e32 v4, 3, v1
	v_mov_b32_e32 v5, 0
	v_mbcnt_hi_u32_b32 v6, -1, v6
	v_and_b32_e32 v2, 63, v2
	v_mov_b32_e32 v3, v5
	v_mov_b32_e32 v11, v5
	v_lshlrev_b32_e32 v6, 2, v6
	s_lshl_b32 s26, s5, 3
	v_lshl_add_u64 v[4:5], v[4:5], 0, s[6:7]
	v_cmp_gt_u32_e64 s[0:1], 8, v2
	v_lshl_add_u32 v10, s2, 6, v0
	v_and_b32_e32 v18, 0x100, v6
	v_lshl_add_u64 v[6:7], v[4:5], 0, v[2:3]
	v_mul_lo_u32 v12, s19, v4
	v_mul_lo_u32 v5, s18, v5
	v_mad_u64_u32 v[2:3], s[30:31], s18, v4, 0
	s_mul_i32 s3, s19, s26
	s_mul_hi_u32 s5, s18, s26
	s_mov_b32 s27, 0
	v_add3_u32 v3, v3, v5, v12
	v_lshlrev_b64 v[4:5], 3, v[10:11]
	s_add_i32 s31, s5, s3
	s_mul_i32 s30, s18, s26
	v_or_b32_e32 v19, 4, v18
	v_or_b32_e32 v20, 8, v18
	;; [unrolled: 1-line block ×7, first 2 shown]
	v_lshlrev_b64 v[8:9], 3, v[6:7]
	s_lshl_b64 s[28:29], s[26:27], 3
	v_lshl_add_u64 v[10:11], v[2:3], 3, v[4:5]
	s_lshl_b64 s[30:31], s[30:31], 3
	s_lshl_b64 s[34:35], s[18:19], 3
	v_mov_b64_e32 v[2:3], 0
	v_mov_b64_e32 v[12:13], s[16:17]
	;; [unrolled: 1-line block ×3, first 2 shown]
	s_branch .LBB29_7
.LBB29_5:                               ;   in Loop: Header=BB29_7 Depth=1
	s_or_b64 exec, exec, s[38:39]
.LBB29_6:                               ;   in Loop: Header=BB29_7 Depth=1
	s_or_b64 exec, exec, s[36:37]
	v_lshl_add_u64 v[26:27], s[10:11], 0, v[10:11]
	global_load_dwordx2 v[28:29], v[26:27], off
	v_lshl_add_u64 v[30:31], s[8:9], 0, v[10:11]
	global_load_dwordx2 v[32:33], v[30:31], off
	;; [unrolled: 2-line block ×6, first 2 shown]
	v_lshl_add_u64 v[26:27], v[26:27], 0, s[34:35]
	v_lshl_add_u64 v[30:31], v[30:31], 0, s[34:35]
	global_load_dwordx2 v[42:43], v[26:27], off
	global_load_dwordx2 v[44:45], v[30:31], off
	v_lshl_add_u64 v[26:27], v[26:27], 0, s[34:35]
	v_lshl_add_u64 v[30:31], v[30:31], 0, s[34:35]
	global_load_dwordx2 v[46:47], v[26:27], off
	global_load_dwordx2 v[48:49], v[30:31], off
	;; [unrolled: 4-line block ×3, first 2 shown]
	v_lshl_add_u64 v[26:27], v[26:27], 0, s[34:35]
	global_load_dwordx2 v[54:55], v[26:27], off
	v_lshl_add_u64 v[30:31], v[30:31], 0, s[34:35]
	global_load_dwordx2 v[56:57], v[30:31], off
	v_lshl_add_u64 v[26:27], v[26:27], 0, s[34:35]
	v_lshl_add_u64 v[30:31], v[30:31], 0, s[34:35]
	global_load_dwordx2 v[58:59], v[26:27], off
	global_load_dwordx2 v[60:61], v[30:31], off
	s_waitcnt vmcnt(17)
	ds_bpermute_b32 v26, v18, v16
	ds_bpermute_b32 v27, v18, v17
	s_waitcnt vmcnt(16)
	ds_bpermute_b32 v30, v18, v14
	ds_bpermute_b32 v31, v18, v15
	s_add_u32 s6, s6, s26
	s_addc_u32 s7, s7, 0
	v_cmp_lt_i64_e32 vcc, s[6:7], v[12:13]
	v_lshl_add_u64 v[8:9], v[8:9], 0, s[28:29]
	v_lshl_add_u64 v[6:7], v[6:7], 0, s[26:27]
	;; [unrolled: 1-line block ×3, first 2 shown]
	s_and_b64 vcc, exec, vcc
	s_waitcnt vmcnt(15) lgkmcnt(2)
	v_add_f64 v[26:27], v[28:29], -v[26:27]
	ds_bpermute_b32 v28, v19, v16
	ds_bpermute_b32 v29, v19, v17
	s_waitcnt vmcnt(14)
	v_mul_f64 v[26:27], v[32:33], v[26:27]
	s_waitcnt lgkmcnt(2)
	v_fmac_f64_e32 v[2:3], v[26:27], v[30:31]
	ds_bpermute_b32 v26, v19, v14
	ds_bpermute_b32 v27, v19, v15
	s_waitcnt vmcnt(13) lgkmcnt(2)
	v_add_f64 v[28:29], v[34:35], -v[28:29]
	ds_bpermute_b32 v34, v20, v16
	ds_bpermute_b32 v35, v20, v17
	;; [unrolled: 1-line block ×4, first 2 shown]
	s_waitcnt vmcnt(12)
	v_mul_f64 v[28:29], v[36:37], v[28:29]
	s_waitcnt lgkmcnt(4)
	v_fmac_f64_e32 v[2:3], v[28:29], v[26:27]
	ds_bpermute_b32 v26, v21, v16
	ds_bpermute_b32 v27, v21, v17
	s_waitcnt vmcnt(11) lgkmcnt(4)
	v_add_f64 v[34:35], v[38:39], -v[34:35]
	ds_bpermute_b32 v28, v22, v16
	ds_bpermute_b32 v29, v22, v17
	s_waitcnt vmcnt(10)
	v_mul_f64 v[34:35], v[40:41], v[34:35]
	ds_bpermute_b32 v38, v23, v16
	ds_bpermute_b32 v39, v23, v17
	s_waitcnt lgkmcnt(6)
	v_fmac_f64_e32 v[2:3], v[34:35], v[30:31]
	ds_bpermute_b32 v34, v21, v14
	ds_bpermute_b32 v35, v21, v15
	;; [unrolled: 1-line block ×4, first 2 shown]
	v_add_f64 v[4:5], v[4:5], v[32:33]
	ds_bpermute_b32 v32, v22, v14
	ds_bpermute_b32 v33, v22, v15
	;; [unrolled: 1-line block ×4, first 2 shown]
	v_add_f64 v[4:5], v[4:5], v[36:37]
	ds_bpermute_b32 v36, v23, v14
	ds_bpermute_b32 v37, v23, v15
	v_add_f64 v[4:5], v[4:5], v[40:41]
	ds_bpermute_b32 v40, v24, v14
	ds_bpermute_b32 v41, v24, v15
	s_waitcnt vmcnt(9) lgkmcnt(14)
	v_add_f64 v[26:27], v[42:43], -v[26:27]
	ds_bpermute_b32 v14, v25, v14
	s_waitcnt vmcnt(8)
	v_mul_f64 v[26:27], v[44:45], v[26:27]
	s_waitcnt vmcnt(7)
	v_add_f64 v[28:29], v[46:47], -v[28:29]
	ds_bpermute_b32 v15, v25, v15
	v_add_f64 v[4:5], v[4:5], v[44:45]
	s_waitcnt lgkmcnt(12)
	v_fmac_f64_e32 v[2:3], v[26:27], v[34:35]
	s_waitcnt vmcnt(6)
	v_mul_f64 v[26:27], v[48:49], v[28:29]
	s_waitcnt vmcnt(5)
	v_add_f64 v[28:29], v[50:51], -v[38:39]
	v_add_f64 v[4:5], v[4:5], v[48:49]
	s_waitcnt lgkmcnt(8)
	v_fmac_f64_e32 v[2:3], v[26:27], v[32:33]
	s_waitcnt vmcnt(4)
	v_mul_f64 v[26:27], v[52:53], v[28:29]
	s_waitcnt vmcnt(3)
	v_add_f64 v[28:29], v[54:55], -v[30:31]
	;; [unrolled: 7-line block ×3, first 2 shown]
	s_waitcnt lgkmcnt(2)
	v_fmac_f64_e32 v[2:3], v[26:27], v[40:41]
	v_add_f64 v[4:5], v[4:5], v[56:57]
	s_waitcnt vmcnt(0)
	v_mul_f64 v[16:17], v[60:61], v[16:17]
	s_waitcnt lgkmcnt(0)
	v_fmac_f64_e32 v[2:3], v[16:17], v[14:15]
	v_add_f64 v[4:5], v[4:5], v[60:61]
	s_cbranch_vccz .LBB29_10
.LBB29_7:                               ; =>This Inner Loop Header: Depth=1
	v_mov_b64_e32 v[14:15], 0
	v_mov_b64_e32 v[16:17], 0
	s_and_saveexec_b64 s[36:37], s[0:1]
	s_cbranch_execz .LBB29_6
; %bb.8:                                ;   in Loop: Header=BB29_7 Depth=1
	v_cmp_gt_i64_e32 vcc, s[16:17], v[6:7]
	v_mov_b64_e32 v[16:17], 0
	v_mov_b64_e32 v[14:15], 0
	s_and_saveexec_b64 s[38:39], vcc
	s_cbranch_execz .LBB29_5
; %bb.9:                                ;   in Loop: Header=BB29_7 Depth=1
	v_lshl_add_u64 v[28:29], s[12:13], 0, v[8:9]
	v_lshl_add_u64 v[26:27], s[14:15], 0, v[8:9]
	global_load_dwordx2 v[16:17], v[28:29], off
	global_load_dwordx2 v[14:15], v[26:27], off
	s_branch .LBB29_5
.LBB29_10:
	v_mov_b32_e32 v6, v1
.LBB29_11:
	s_load_dword s5, s[24:25], 0xc
	s_mov_b32 s3, 0
	v_mov_b32_e32 v1, 0
	s_lshl_b64 s[0:1], s[2:3], 6
	v_lshl_add_u64 v[8:9], s[0:1], 0, v[0:1]
	s_waitcnt lgkmcnt(0)
	s_lshr_b32 s0, s5, 16
	v_mov_b32_e32 v7, v1
	v_mov_b32_e32 v0, s4
	v_mad_u64_u32 v[0:1], s[0:1], s0, v0, v[6:7]
	s_cmp_eq_u64 s[20:21], 0
	v_mul_lo_u32 v1, v1, s18
	v_mul_lo_u32 v6, v0, s19
	s_cbranch_scc1 .LBB29_13
; %bb.12:
	v_mad_u64_u32 v[10:11], s[0:1], v0, s18, 0
	v_add3_u32 v11, v11, v6, v1
	v_lshl_add_u64 v[10:11], v[10:11], 3, s[20:21]
	v_lshl_add_u64 v[10:11], v[8:9], 3, v[10:11]
	global_store_dwordx2 v[10:11], v[2:3], off
.LBB29_13:
	s_cmp_eq_u64 s[22:23], 0
	s_cbranch_scc1 .LBB29_15
; %bb.14:
	v_mad_u64_u32 v[2:3], s[0:1], v0, s18, 0
	v_add3_u32 v3, v3, v6, v1
	v_lshl_add_u64 v[0:1], v[2:3], 3, s[22:23]
	v_lshl_add_u64 v[0:1], v[8:9], 3, v[0:1]
	global_store_dwordx2 v[0:1], v[4:5], off
.LBB29_15:
	s_endpgm
	.section	.rodata,"a",@progbits
	.p2align	6, 0x0
	.amdhsa_kernel _ZN2at6native12_GLOBAL__N_135GammaBetaBackwardCUDAKernelTemplateIddLj64ELj1ELj8ELb1ELb1ELb0EEEvllPKT_S5_PKT0_S8_PS3_S9_
		.amdhsa_group_segment_fixed_size 0
		.amdhsa_private_segment_fixed_size 0
		.amdhsa_kernarg_size 320
		.amdhsa_user_sgpr_count 2
		.amdhsa_user_sgpr_dispatch_ptr 0
		.amdhsa_user_sgpr_queue_ptr 0
		.amdhsa_user_sgpr_kernarg_segment_ptr 1
		.amdhsa_user_sgpr_dispatch_id 0
		.amdhsa_user_sgpr_kernarg_preload_length 0
		.amdhsa_user_sgpr_kernarg_preload_offset 0
		.amdhsa_user_sgpr_private_segment_size 0
		.amdhsa_uses_dynamic_stack 0
		.amdhsa_enable_private_segment 0
		.amdhsa_system_sgpr_workgroup_id_x 1
		.amdhsa_system_sgpr_workgroup_id_y 1
		.amdhsa_system_sgpr_workgroup_id_z 0
		.amdhsa_system_sgpr_workgroup_info 0
		.amdhsa_system_vgpr_workitem_id 1
		.amdhsa_next_free_vgpr 62
		.amdhsa_next_free_sgpr 40
		.amdhsa_accum_offset 64
		.amdhsa_reserve_vcc 1
		.amdhsa_float_round_mode_32 0
		.amdhsa_float_round_mode_16_64 0
		.amdhsa_float_denorm_mode_32 3
		.amdhsa_float_denorm_mode_16_64 3
		.amdhsa_dx10_clamp 1
		.amdhsa_ieee_mode 1
		.amdhsa_fp16_overflow 0
		.amdhsa_tg_split 0
		.amdhsa_exception_fp_ieee_invalid_op 0
		.amdhsa_exception_fp_denorm_src 0
		.amdhsa_exception_fp_ieee_div_zero 0
		.amdhsa_exception_fp_ieee_overflow 0
		.amdhsa_exception_fp_ieee_underflow 0
		.amdhsa_exception_fp_ieee_inexact 0
		.amdhsa_exception_int_div_zero 0
	.end_amdhsa_kernel
	.section	.text._ZN2at6native12_GLOBAL__N_135GammaBetaBackwardCUDAKernelTemplateIddLj64ELj1ELj8ELb1ELb1ELb0EEEvllPKT_S5_PKT0_S8_PS3_S9_,"axG",@progbits,_ZN2at6native12_GLOBAL__N_135GammaBetaBackwardCUDAKernelTemplateIddLj64ELj1ELj8ELb1ELb1ELb0EEEvllPKT_S5_PKT0_S8_PS3_S9_,comdat
.Lfunc_end29:
	.size	_ZN2at6native12_GLOBAL__N_135GammaBetaBackwardCUDAKernelTemplateIddLj64ELj1ELj8ELb1ELb1ELb0EEEvllPKT_S5_PKT0_S8_PS3_S9_, .Lfunc_end29-_ZN2at6native12_GLOBAL__N_135GammaBetaBackwardCUDAKernelTemplateIddLj64ELj1ELj8ELb1ELb1ELb0EEEvllPKT_S5_PKT0_S8_PS3_S9_
                                        ; -- End function
	.set _ZN2at6native12_GLOBAL__N_135GammaBetaBackwardCUDAKernelTemplateIddLj64ELj1ELj8ELb1ELb1ELb0EEEvllPKT_S5_PKT0_S8_PS3_S9_.num_vgpr, 62
	.set _ZN2at6native12_GLOBAL__N_135GammaBetaBackwardCUDAKernelTemplateIddLj64ELj1ELj8ELb1ELb1ELb0EEEvllPKT_S5_PKT0_S8_PS3_S9_.num_agpr, 0
	.set _ZN2at6native12_GLOBAL__N_135GammaBetaBackwardCUDAKernelTemplateIddLj64ELj1ELj8ELb1ELb1ELb0EEEvllPKT_S5_PKT0_S8_PS3_S9_.numbered_sgpr, 40
	.set _ZN2at6native12_GLOBAL__N_135GammaBetaBackwardCUDAKernelTemplateIddLj64ELj1ELj8ELb1ELb1ELb0EEEvllPKT_S5_PKT0_S8_PS3_S9_.num_named_barrier, 0
	.set _ZN2at6native12_GLOBAL__N_135GammaBetaBackwardCUDAKernelTemplateIddLj64ELj1ELj8ELb1ELb1ELb0EEEvllPKT_S5_PKT0_S8_PS3_S9_.private_seg_size, 0
	.set _ZN2at6native12_GLOBAL__N_135GammaBetaBackwardCUDAKernelTemplateIddLj64ELj1ELj8ELb1ELb1ELb0EEEvllPKT_S5_PKT0_S8_PS3_S9_.uses_vcc, 1
	.set _ZN2at6native12_GLOBAL__N_135GammaBetaBackwardCUDAKernelTemplateIddLj64ELj1ELj8ELb1ELb1ELb0EEEvllPKT_S5_PKT0_S8_PS3_S9_.uses_flat_scratch, 0
	.set _ZN2at6native12_GLOBAL__N_135GammaBetaBackwardCUDAKernelTemplateIddLj64ELj1ELj8ELb1ELb1ELb0EEEvllPKT_S5_PKT0_S8_PS3_S9_.has_dyn_sized_stack, 0
	.set _ZN2at6native12_GLOBAL__N_135GammaBetaBackwardCUDAKernelTemplateIddLj64ELj1ELj8ELb1ELb1ELb0EEEvllPKT_S5_PKT0_S8_PS3_S9_.has_recursion, 0
	.set _ZN2at6native12_GLOBAL__N_135GammaBetaBackwardCUDAKernelTemplateIddLj64ELj1ELj8ELb1ELb1ELb0EEEvllPKT_S5_PKT0_S8_PS3_S9_.has_indirect_call, 0
	.section	.AMDGPU.csdata,"",@progbits
; Kernel info:
; codeLenInByte = 1508
; TotalNumSgprs: 46
; NumVgprs: 62
; NumAgprs: 0
; TotalNumVgprs: 62
; ScratchSize: 0
; MemoryBound: 0
; FloatMode: 240
; IeeeMode: 1
; LDSByteSize: 0 bytes/workgroup (compile time only)
; SGPRBlocks: 5
; VGPRBlocks: 7
; NumSGPRsForWavesPerEU: 46
; NumVGPRsForWavesPerEU: 62
; AccumOffset: 64
; Occupancy: 8
; WaveLimiterHint : 0
; COMPUTE_PGM_RSRC2:SCRATCH_EN: 0
; COMPUTE_PGM_RSRC2:USER_SGPR: 2
; COMPUTE_PGM_RSRC2:TRAP_HANDLER: 0
; COMPUTE_PGM_RSRC2:TGID_X_EN: 1
; COMPUTE_PGM_RSRC2:TGID_Y_EN: 1
; COMPUTE_PGM_RSRC2:TGID_Z_EN: 0
; COMPUTE_PGM_RSRC2:TIDIG_COMP_CNT: 1
; COMPUTE_PGM_RSRC3_GFX90A:ACCUM_OFFSET: 15
; COMPUTE_PGM_RSRC3_GFX90A:TG_SPLIT: 0
	.section	.text._ZN2at6native12_GLOBAL__N_135GammaBetaBackwardCUDAKernelTemplateIddLj64ELj1ELj8ELb1ELb0ELb0EEEvllPKT_S5_PKT0_S8_PS3_S9_,"axG",@progbits,_ZN2at6native12_GLOBAL__N_135GammaBetaBackwardCUDAKernelTemplateIddLj64ELj1ELj8ELb1ELb0ELb0EEEvllPKT_S5_PKT0_S8_PS3_S9_,comdat
	.globl	_ZN2at6native12_GLOBAL__N_135GammaBetaBackwardCUDAKernelTemplateIddLj64ELj1ELj8ELb1ELb0ELb0EEEvllPKT_S5_PKT0_S8_PS3_S9_ ; -- Begin function _ZN2at6native12_GLOBAL__N_135GammaBetaBackwardCUDAKernelTemplateIddLj64ELj1ELj8ELb1ELb0ELb0EEEvllPKT_S5_PKT0_S8_PS3_S9_
	.p2align	8
	.type	_ZN2at6native12_GLOBAL__N_135GammaBetaBackwardCUDAKernelTemplateIddLj64ELj1ELj8ELb1ELb0ELb0EEEvllPKT_S5_PKT0_S8_PS3_S9_,@function
_ZN2at6native12_GLOBAL__N_135GammaBetaBackwardCUDAKernelTemplateIddLj64ELj1ELj8ELb1ELb0ELb0EEEvllPKT_S5_PKT0_S8_PS3_S9_: ; @_ZN2at6native12_GLOBAL__N_135GammaBetaBackwardCUDAKernelTemplateIddLj64ELj1ELj8ELb1ELb0ELb0EEEvllPKT_S5_PKT0_S8_PS3_S9_
; %bb.0:
	s_load_dwordx8 s[12:19], s[0:1], 0x0
	s_load_dwordx4 s[20:23], s[0:1], 0x20
	s_mov_b32 s8, s3
	s_lshl_b32 s3, s2, 6
	s_or_b32 s4, s3, 63
	s_mov_b32 s11, 0
	v_mov_b32_e32 v2, s4
	v_mov_b32_e32 v3, 0
	s_lshl_b32 s10, s8, 3
	s_waitcnt lgkmcnt(0)
	v_cmp_le_i64_e32 vcc, s[14:15], v[2:3]
	v_mov_b64_e32 v[2:3], s[10:11]
	v_cmp_gt_i64_e64 s[4:5], s[12:13], v[2:3]
	s_nop 1
	v_cndmask_b32_e64 v1, 0, 1, s[4:5]
	v_cmp_ne_u32_e64 s[4:5], 1, v1
	s_cbranch_vccz .LBB30_49
; %bb.1:
	v_mov_b64_e32 v[36:37], 0
	s_and_b64 vcc, exec, s[4:5]
	v_mov_b64_e32 v[38:39], 0
	s_cbranch_vccnz .LBB30_50
; %bb.2:
	v_and_b32_e32 v1, 0x3ff, v0
	v_mov_b32_e32 v2, 0
	v_bfe_u32 v84, v0, 10, 10
	v_add_u32_e32 v4, s3, v1
	v_mov_b32_e32 v5, v2
	v_lshlrev_b32_e32 v40, 3, v84
	v_mov_b32_e32 v41, v2
	v_cmp_gt_i64_e64 s[6:7], s[14:15], v[4:5]
	v_lshlrev_b64 v[42:43], 3, v[4:5]
	v_lshl_add_u64 v[4:5], v[40:41], 0, s[10:11]
	v_mul_lo_u32 v3, s15, v4
	v_mul_lo_u32 v8, s14, v5
	v_mad_u64_u32 v[6:7], s[28:29], s14, v4, 0
	v_add3_u32 v7, v7, v8, v3
	v_lshlrev_b64 v[6:7], 3, v[6:7]
	v_lshl_add_u64 v[44:45], s[16:17], 0, v[6:7]
	v_lshl_add_u64 v[46:47], s[18:19], 0, v[6:7]
	v_lshl_add_u64 v[6:7], v[4:5], 0, 7
	v_mul_lo_u32 v9, s15, v6
	v_mul_lo_u32 v10, s14, v7
	v_mad_u64_u32 v[6:7], s[34:35], s14, v6, 0
	v_add3_u32 v7, v7, v10, v9
	v_lshlrev_b64 v[6:7], 3, v[6:7]
	v_lshl_add_u64 v[48:49], s[16:17], 0, v[6:7]
	v_lshl_add_u64 v[50:51], s[18:19], 0, v[6:7]
	;; [unrolled: 8-line block ×6, first 2 shown]
	v_lshl_add_u64 v[6:7], v[4:5], 0, 2
	s_load_dword s9, s[0:1], 0x44
	v_mul_lo_u32 v5, s15, v6
	v_mul_lo_u32 v9, s14, v7
	v_mad_u64_u32 v[6:7], s[34:35], s14, v6, 0
	v_add3_u32 v7, v7, v9, v5
	v_lshlrev_b64 v[6:7], 3, v[6:7]
	v_lshl_add_u64 v[68:69], s[16:17], 0, v[6:7]
	v_lshl_add_u64 v[70:71], s[18:19], 0, v[6:7]
	v_mov_b64_e32 v[6:7], s[14:15]
	s_add_u32 s26, s0, 64
	v_mad_u64_u32 v[4:5], s[34:35], s14, v4, v[6:7]
	s_addc_u32 s27, s1, 0
	s_waitcnt lgkmcnt(0)
	s_lshl_b32 s24, s9, 3
	v_add3_u32 v5, v3, v5, v8
	v_mbcnt_lo_u32_b32 v3, -1, 0
	s_mul_i32 s9, s15, s24
	s_mul_hi_u32 s28, s14, s24
	v_mbcnt_hi_u32_b32 v3, -1, v3
	s_add_i32 s29, s28, s9
	s_mul_i32 s28, s14, s24
	v_lshlrev_b64 v[4:5], 3, v[4:5]
	v_lshlrev_b32_e32 v3, 2, v3
	s_mov_b32 s25, 0
	s_lshl_b64 s[28:29], s[28:29], 3
	s_mov_b64 s[30:31], 7
	v_lshl_add_u64 v[72:73], s[16:17], 0, v[4:5]
	v_lshl_add_u64 v[74:75], s[18:19], 0, v[4:5]
	v_mov_b64_e32 v[76:77], 0
	v_and_b32_e32 v85, 0x100, v3
	v_mov_b64_e32 v[36:37], 0
	s_mov_b64 s[34:35], s[10:11]
.LBB30_3:                               ; =>This Inner Loop Header: Depth=1
	s_add_u32 s36, s10, s30
	s_addc_u32 s37, 0, s31
	v_mov_b64_e32 v[4:5], s[12:13]
	v_cmp_ge_i64_e32 vcc, s[36:37], v[4:5]
	v_lshl_add_u64 v[78:79], s[10:11], 0, v[40:41]
	s_mov_b64 s[36:37], -1
	s_and_b64 vcc, exec, vcc
                                        ; implicit-def: $vgpr4_vgpr5_vgpr6_vgpr7_vgpr8_vgpr9_vgpr10_vgpr11_vgpr12_vgpr13_vgpr14_vgpr15_vgpr16_vgpr17_vgpr18_vgpr19
                                        ; implicit-def: $vgpr82_vgpr83
                                        ; implicit-def: $vgpr20_vgpr21_vgpr22_vgpr23_vgpr24_vgpr25_vgpr26_vgpr27_vgpr28_vgpr29_vgpr30_vgpr31_vgpr32_vgpr33_vgpr34_vgpr35
                                        ; implicit-def: $vgpr4
                                        ; implicit-def: $vgpr6_vgpr7
                                        ; implicit-def: $vgpr38_vgpr39
	s_cbranch_vccz .LBB30_25
; %bb.4:                                ;   in Loop: Header=BB30_3 Depth=1
	s_load_dword s9, s[26:27], 0xc
	v_mov_b64_e32 v[82:83], 0
	v_mov_b64_e32 v[80:81], 0
	s_waitcnt lgkmcnt(0)
	s_and_b32 s9, s9, 0xffff
	v_mad_u32_u24 v3, v84, s9, v1
	v_and_b32_e32 v4, 63, v3
	v_cmp_gt_u32_e32 vcc, 8, v4
	s_and_saveexec_b64 s[36:37], vcc
	s_cbranch_execz .LBB30_8
; %bb.5:                                ;   in Loop: Header=BB30_3 Depth=1
	v_mov_b32_e32 v5, v2
	v_lshl_add_u64 v[4:5], v[78:79], 0, v[4:5]
	v_cmp_gt_i64_e32 vcc, s[12:13], v[4:5]
	v_mov_b64_e32 v[80:81], 0
	v_mov_b64_e32 v[82:83], 0
	s_and_saveexec_b64 s[38:39], vcc
	s_cbranch_execz .LBB30_7
; %bb.6:                                ;   in Loop: Header=BB30_3 Depth=1
	v_lshlrev_b64 v[4:5], 3, v[4:5]
	v_lshl_add_u64 v[6:7], s[22:23], 0, v[4:5]
	v_lshl_add_u64 v[4:5], s[20:21], 0, v[4:5]
	global_load_dwordx2 v[80:81], v[4:5], off
	global_load_dwordx2 v[82:83], v[6:7], off
.LBB30_7:                               ;   in Loop: Header=BB30_3 Depth=1
	s_or_b64 exec, exec, s[38:39]
.LBB30_8:                               ;   in Loop: Header=BB30_3 Depth=1
	s_or_b64 exec, exec, s[36:37]
	v_mov_b32_e32 v16, v2
	v_mov_b32_e32 v17, v2
	;; [unrolled: 1-line block ×15, first 2 shown]
	v_mov_b64_e32 v[34:35], v[16:17]
	v_cmp_gt_i64_e32 vcc, s[12:13], v[78:79]
	v_mov_b64_e32 v[32:33], v[14:15]
	v_mov_b64_e32 v[30:31], v[12:13]
	;; [unrolled: 1-line block ×8, first 2 shown]
	s_and_b64 s[38:39], s[6:7], vcc
	v_mov_b64_e32 v[16:17], v[14:15]
	v_mov_b64_e32 v[14:15], v[12:13]
	;; [unrolled: 1-line block ×7, first 2 shown]
	s_and_saveexec_b64 s[36:37], s[38:39]
	s_cbranch_execz .LBB30_10
; %bb.9:                                ;   in Loop: Header=BB30_3 Depth=1
	v_lshl_add_u64 v[4:5], v[44:45], 0, v[42:43]
	v_lshl_add_u64 v[6:7], v[46:47], 0, v[42:43]
	global_load_dwordx2 v[4:5], v[4:5], off
	v_mov_b32_e32 v8, v2
	global_load_dwordx2 v[20:21], v[6:7], off
	v_mov_b32_e32 v6, v2
	v_mov_b32_e32 v7, v2
	;; [unrolled: 1-line block ×27, first 2 shown]
.LBB30_10:                              ;   in Loop: Header=BB30_3 Depth=1
	s_or_b64 exec, exec, s[36:37]
	v_lshl_add_u64 v[38:39], v[78:79], 0, 1
	v_cmp_gt_i64_e32 vcc, s[12:13], v[38:39]
	s_and_b64 s[38:39], s[6:7], vcc
	s_and_saveexec_b64 s[36:37], s[38:39]
	s_cbranch_execz .LBB30_12
; %bb.11:                               ;   in Loop: Header=BB30_3 Depth=1
	v_lshl_add_u64 v[6:7], v[72:73], 0, v[42:43]
	v_lshl_add_u64 v[22:23], v[74:75], 0, v[42:43]
	global_load_dwordx2 v[6:7], v[6:7], off
	s_nop 0
	global_load_dwordx2 v[22:23], v[22:23], off
.LBB30_12:                              ;   in Loop: Header=BB30_3 Depth=1
	s_or_b64 exec, exec, s[36:37]
	v_lshl_add_u64 v[38:39], v[78:79], 0, 2
	v_cmp_gt_i64_e32 vcc, s[12:13], v[38:39]
	s_and_b64 s[38:39], s[6:7], vcc
	s_and_saveexec_b64 s[36:37], s[38:39]
	s_cbranch_execz .LBB30_14
; %bb.13:                               ;   in Loop: Header=BB30_3 Depth=1
	v_lshl_add_u64 v[8:9], v[68:69], 0, v[42:43]
	v_lshl_add_u64 v[24:25], v[70:71], 0, v[42:43]
	global_load_dwordx2 v[8:9], v[8:9], off
	s_nop 0
	global_load_dwordx2 v[24:25], v[24:25], off
.LBB30_14:                              ;   in Loop: Header=BB30_3 Depth=1
	;; [unrolled: 13-line block ×7, first 2 shown]
	s_or_b64 exec, exec, s[36:37]
	s_waitcnt vmcnt(1)
	ds_bpermute_b32 v38, v85, v80
	ds_bpermute_b32 v39, v85, v81
	s_waitcnt vmcnt(0)
	ds_bpermute_b32 v86, v85, v82
	ds_bpermute_b32 v87, v85, v83
	ds_bpermute_b32 v88, v85, v80 offset:4
	ds_bpermute_b32 v89, v85, v81 offset:4
	s_waitcnt lgkmcnt(4)
	v_add_f64 v[20:21], v[20:21], -v[38:39]
	v_mul_f64 v[20:21], v[4:5], v[20:21]
	s_waitcnt lgkmcnt(2)
	v_fma_f64 v[38:39], v[20:21], v[86:87], v[76:77]
	ds_bpermute_b32 v20, v85, v82 offset:4
	ds_bpermute_b32 v21, v85, v83 offset:4
	;; [unrolled: 1-line block ×4, first 2 shown]
	v_add_f64 v[4:5], v[36:37], v[4:5]
	s_waitcnt lgkmcnt(4)
	v_add_f64 v[22:23], v[22:23], -v[88:89]
	v_mul_f64 v[22:23], v[6:7], v[22:23]
	v_add_f64 v[4:5], v[6:7], v[4:5]
	ds_bpermute_b32 v6, v85, v82 offset:8
	ds_bpermute_b32 v7, v85, v83 offset:8
	s_waitcnt lgkmcnt(4)
	v_fmac_f64_e32 v[38:39], v[22:23], v[20:21]
	s_waitcnt lgkmcnt(2)
	v_add_f64 v[20:21], v[24:25], -v[86:87]
	ds_bpermute_b32 v22, v85, v80 offset:12
	ds_bpermute_b32 v23, v85, v81 offset:12
	v_mul_f64 v[20:21], v[8:9], v[20:21]
	s_waitcnt lgkmcnt(2)
	v_fmac_f64_e32 v[38:39], v[20:21], v[6:7]
	ds_bpermute_b32 v6, v85, v82 offset:12
	ds_bpermute_b32 v7, v85, v83 offset:12
	v_add_f64 v[4:5], v[8:9], v[4:5]
	s_waitcnt lgkmcnt(2)
	v_add_f64 v[8:9], v[26:27], -v[22:23]
	ds_bpermute_b32 v20, v85, v80 offset:16
	ds_bpermute_b32 v21, v85, v81 offset:16
	v_mul_f64 v[8:9], v[10:11], v[8:9]
	s_waitcnt lgkmcnt(2)
	v_fmac_f64_e32 v[38:39], v[8:9], v[6:7]
	ds_bpermute_b32 v6, v85, v82 offset:16
	ds_bpermute_b32 v7, v85, v83 offset:16
	v_add_f64 v[4:5], v[10:11], v[4:5]
	s_waitcnt lgkmcnt(2)
	v_add_f64 v[8:9], v[28:29], -v[20:21]
	ds_bpermute_b32 v10, v85, v80 offset:20
	ds_bpermute_b32 v11, v85, v81 offset:20
	v_mul_f64 v[8:9], v[12:13], v[8:9]
	s_waitcnt lgkmcnt(2)
	v_fmac_f64_e32 v[38:39], v[8:9], v[6:7]
	ds_bpermute_b32 v6, v85, v82 offset:20
	ds_bpermute_b32 v7, v85, v83 offset:20
	s_waitcnt lgkmcnt(2)
	v_add_f64 v[8:9], v[30:31], -v[10:11]
	ds_bpermute_b32 v10, v85, v80 offset:24
	ds_bpermute_b32 v11, v85, v81 offset:24
	v_mul_f64 v[8:9], v[14:15], v[8:9]
	v_add_f64 v[4:5], v[12:13], v[4:5]
	s_waitcnt lgkmcnt(2)
	v_fmac_f64_e32 v[38:39], v[8:9], v[6:7]
	ds_bpermute_b32 v8, v85, v82 offset:24
	ds_bpermute_b32 v9, v85, v83 offset:24
	v_add_f64 v[6:7], v[14:15], v[4:5]
	ds_bpermute_b32 v82, v85, v82 offset:28
	ds_bpermute_b32 v83, v85, v83 offset:28
	;; [unrolled: 1-line block ×4, first 2 shown]
	s_waitcnt lgkmcnt(6)
	v_add_f64 v[10:11], v[32:33], -v[10:11]
	v_mul_f64 v[10:11], v[16:17], v[10:11]
	s_waitcnt lgkmcnt(4)
	v_fmac_f64_e32 v[38:39], v[10:11], v[8:9]
	v_add_f64 v[6:7], v[16:17], v[6:7]
	s_mov_b64 s[36:37], 0
.LBB30_25:                              ;   in Loop: Header=BB30_3 Depth=1
	s_and_b64 vcc, exec, s[36:37]
	s_cbranch_vccz .LBB30_40
; %bb.26:                               ;   in Loop: Header=BB30_3 Depth=1
	s_load_dword s9, s[26:27], 0x0
	v_mov_b64_e32 v[80:81], 0
	v_mov_b64_e32 v[38:39], 0
	s_waitcnt lgkmcnt(0)
	s_cmp_lt_u32 s2, s9
	s_cselect_b32 s9, 12, 18
	s_add_u32 s36, s26, s9
	s_addc_u32 s37, s27, 0
	global_load_ushort v3, v2, s[36:37]
	s_waitcnt vmcnt(0)
	v_mad_u32_u24 v3, v84, v3, v1
	v_and_b32_e32 v4, 63, v3
	v_cmp_gt_u32_e32 vcc, 8, v4
	s_and_saveexec_b64 s[36:37], vcc
	s_cbranch_execz .LBB30_30
; %bb.27:                               ;   in Loop: Header=BB30_3 Depth=1
	v_mov_b32_e32 v5, v2
	v_lshl_add_u64 v[4:5], v[78:79], 0, v[4:5]
	v_cmp_gt_i64_e32 vcc, s[12:13], v[4:5]
	v_mov_b64_e32 v[38:39], 0
	v_mov_b64_e32 v[80:81], 0
	s_and_saveexec_b64 s[38:39], vcc
	s_cbranch_execz .LBB30_29
; %bb.28:                               ;   in Loop: Header=BB30_3 Depth=1
	v_lshlrev_b64 v[4:5], 3, v[4:5]
	v_lshl_add_u64 v[6:7], s[22:23], 0, v[4:5]
	v_lshl_add_u64 v[4:5], s[20:21], 0, v[4:5]
	global_load_dwordx2 v[38:39], v[4:5], off
	global_load_dwordx2 v[80:81], v[6:7], off
.LBB30_29:                              ;   in Loop: Header=BB30_3 Depth=1
	s_or_b64 exec, exec, s[38:39]
.LBB30_30:                              ;   in Loop: Header=BB30_3 Depth=1
	s_or_b64 exec, exec, s[36:37]
	v_mov_b32_e32 v16, v2
	v_mov_b32_e32 v17, v2
	v_mov_b32_e32 v3, v2
	v_mov_b32_e32 v4, v2
	v_mov_b32_e32 v5, v2
	v_mov_b32_e32 v6, v2
	v_mov_b32_e32 v7, v2
	v_mov_b32_e32 v8, v2
	v_mov_b32_e32 v9, v2
	v_mov_b32_e32 v10, v2
	v_mov_b32_e32 v11, v2
	v_mov_b32_e32 v12, v2
	v_mov_b32_e32 v13, v2
	v_mov_b32_e32 v14, v2
	v_mov_b32_e32 v15, v2
	v_mov_b64_e32 v[34:35], v[16:17]
	v_mov_b64_e32 v[32:33], v[14:15]
	;; [unrolled: 1-line block ×16, first 2 shown]
	s_and_saveexec_b64 s[36:37], s[6:7]
	s_cbranch_execnz .LBB30_42
; %bb.31:                               ;   in Loop: Header=BB30_3 Depth=1
	s_or_b64 exec, exec, s[36:37]
	s_and_saveexec_b64 s[36:37], s[6:7]
	s_cbranch_execnz .LBB30_43
.LBB30_32:                              ;   in Loop: Header=BB30_3 Depth=1
	s_or_b64 exec, exec, s[36:37]
	s_and_saveexec_b64 s[36:37], s[6:7]
	s_cbranch_execnz .LBB30_44
.LBB30_33:                              ;   in Loop: Header=BB30_3 Depth=1
	s_or_b64 exec, exec, s[36:37]
	s_and_saveexec_b64 s[36:37], s[6:7]
	s_cbranch_execnz .LBB30_45
.LBB30_34:                              ;   in Loop: Header=BB30_3 Depth=1
	s_or_b64 exec, exec, s[36:37]
	s_and_saveexec_b64 s[36:37], s[6:7]
	s_cbranch_execnz .LBB30_46
.LBB30_35:                              ;   in Loop: Header=BB30_3 Depth=1
	s_or_b64 exec, exec, s[36:37]
	s_and_saveexec_b64 s[36:37], s[6:7]
	s_cbranch_execnz .LBB30_47
.LBB30_36:                              ;   in Loop: Header=BB30_3 Depth=1
	s_or_b64 exec, exec, s[36:37]
	s_and_saveexec_b64 s[36:37], s[6:7]
	s_cbranch_execnz .LBB30_48
.LBB30_37:                              ;   in Loop: Header=BB30_3 Depth=1
	s_or_b64 exec, exec, s[36:37]
	s_and_saveexec_b64 s[36:37], s[6:7]
	s_cbranch_execz .LBB30_39
.LBB30_38:                              ;   in Loop: Header=BB30_3 Depth=1
	v_lshl_add_u64 v[18:19], v[48:49], 0, v[42:43]
	v_lshl_add_u64 v[34:35], v[50:51], 0, v[42:43]
	global_load_dwordx2 v[18:19], v[18:19], off
	s_nop 0
	global_load_dwordx2 v[34:35], v[34:35], off
.LBB30_39:                              ;   in Loop: Header=BB30_3 Depth=1
	s_or_b64 exec, exec, s[36:37]
	s_waitcnt vmcnt(1)
	ds_bpermute_b32 v78, v85, v38
	ds_bpermute_b32 v79, v85, v39
	s_waitcnt vmcnt(0)
	ds_bpermute_b32 v82, v85, v80
	ds_bpermute_b32 v83, v85, v81
	ds_bpermute_b32 v86, v85, v38 offset:4
	ds_bpermute_b32 v87, v85, v39 offset:4
	s_waitcnt lgkmcnt(4)
	v_add_f64 v[20:21], v[20:21], -v[78:79]
	v_mul_f64 v[20:21], v[4:5], v[20:21]
	s_waitcnt lgkmcnt(2)
	v_fmac_f64_e32 v[76:77], v[20:21], v[82:83]
	v_add_f64 v[4:5], v[36:37], v[4:5]
	ds_bpermute_b32 v20, v85, v80 offset:4
	ds_bpermute_b32 v21, v85, v81 offset:4
	;; [unrolled: 1-line block ×4, first 2 shown]
	s_waitcnt lgkmcnt(4)
	v_add_f64 v[22:23], v[22:23], -v[86:87]
	v_mul_f64 v[22:23], v[6:7], v[22:23]
	v_add_f64 v[4:5], v[6:7], v[4:5]
	ds_bpermute_b32 v6, v85, v80 offset:8
	ds_bpermute_b32 v7, v85, v81 offset:8
	s_waitcnt lgkmcnt(4)
	v_fmac_f64_e32 v[76:77], v[22:23], v[20:21]
	s_waitcnt lgkmcnt(2)
	v_add_f64 v[20:21], v[24:25], -v[36:37]
	ds_bpermute_b32 v22, v85, v38 offset:12
	ds_bpermute_b32 v23, v85, v39 offset:12
	v_mul_f64 v[20:21], v[8:9], v[20:21]
	s_waitcnt lgkmcnt(2)
	v_fmac_f64_e32 v[76:77], v[20:21], v[6:7]
	ds_bpermute_b32 v6, v85, v80 offset:12
	ds_bpermute_b32 v7, v85, v81 offset:12
	v_add_f64 v[4:5], v[8:9], v[4:5]
	s_waitcnt lgkmcnt(2)
	v_add_f64 v[8:9], v[26:27], -v[22:23]
	ds_bpermute_b32 v20, v85, v38 offset:16
	ds_bpermute_b32 v21, v85, v39 offset:16
	v_mul_f64 v[8:9], v[10:11], v[8:9]
	s_waitcnt lgkmcnt(2)
	v_fmac_f64_e32 v[76:77], v[8:9], v[6:7]
	ds_bpermute_b32 v6, v85, v80 offset:16
	ds_bpermute_b32 v7, v85, v81 offset:16
	v_add_f64 v[4:5], v[10:11], v[4:5]
	s_waitcnt lgkmcnt(2)
	v_add_f64 v[8:9], v[28:29], -v[20:21]
	ds_bpermute_b32 v10, v85, v38 offset:20
	ds_bpermute_b32 v11, v85, v39 offset:20
	v_mul_f64 v[8:9], v[12:13], v[8:9]
	s_waitcnt lgkmcnt(2)
	v_fmac_f64_e32 v[76:77], v[8:9], v[6:7]
	ds_bpermute_b32 v6, v85, v80 offset:20
	ds_bpermute_b32 v7, v85, v81 offset:20
	s_waitcnt lgkmcnt(2)
	v_add_f64 v[8:9], v[30:31], -v[10:11]
	ds_bpermute_b32 v10, v85, v38 offset:24
	ds_bpermute_b32 v11, v85, v39 offset:24
	v_mul_f64 v[8:9], v[14:15], v[8:9]
	s_waitcnt lgkmcnt(2)
	v_fmac_f64_e32 v[76:77], v[8:9], v[6:7]
	ds_bpermute_b32 v8, v85, v80 offset:24
	ds_bpermute_b32 v9, v85, v81 offset:24
	v_add_f64 v[4:5], v[12:13], v[4:5]
	v_add_f64 v[6:7], v[14:15], v[4:5]
	ds_bpermute_b32 v82, v85, v80 offset:28
	ds_bpermute_b32 v83, v85, v81 offset:28
	;; [unrolled: 1-line block ×4, first 2 shown]
	s_waitcnt lgkmcnt(6)
	v_add_f64 v[10:11], v[32:33], -v[10:11]
	v_mul_f64 v[10:11], v[16:17], v[10:11]
	s_waitcnt lgkmcnt(4)
	v_fmac_f64_e32 v[76:77], v[10:11], v[8:9]
	v_add_f64 v[6:7], v[16:17], v[6:7]
	v_mov_b64_e32 v[38:39], v[76:77]
.LBB30_40:                              ;   in Loop: Header=BB30_3 Depth=1
	s_waitcnt lgkmcnt(0)
	v_add_f64 v[4:5], v[34:35], -v[4:5]
	v_mul_f64 v[4:5], v[18:19], v[4:5]
	s_add_u32 s34, s34, s24
	v_fmac_f64_e32 v[38:39], v[4:5], v[82:83]
	s_addc_u32 s35, s35, 0
	v_mov_b64_e32 v[4:5], s[12:13]
	s_add_u32 s30, s30, s24
	v_cmp_lt_i64_e32 vcc, s[34:35], v[4:5]
	v_add_f64 v[36:37], v[6:7], v[18:19]
	v_lshl_add_u64 v[44:45], v[44:45], 0, s[28:29]
	v_lshl_add_u64 v[46:47], v[46:47], 0, s[28:29]
	;; [unrolled: 1-line block ×17, first 2 shown]
	s_addc_u32 s31, 0, s31
	s_cbranch_vccz .LBB30_50
; %bb.41:                               ;   in Loop: Header=BB30_3 Depth=1
	v_mov_b64_e32 v[76:77], v[38:39]
	s_branch .LBB30_3
.LBB30_42:                              ;   in Loop: Header=BB30_3 Depth=1
	v_lshl_add_u64 v[4:5], v[44:45], 0, v[42:43]
	v_lshl_add_u64 v[6:7], v[46:47], 0, v[42:43]
	global_load_dwordx2 v[4:5], v[4:5], off
	v_mov_b32_e32 v8, v2
	global_load_dwordx2 v[20:21], v[6:7], off
	v_mov_b32_e32 v6, v2
	v_mov_b32_e32 v7, v2
	;; [unrolled: 1-line block ×27, first 2 shown]
	s_or_b64 exec, exec, s[36:37]
	s_and_saveexec_b64 s[36:37], s[6:7]
	s_cbranch_execz .LBB30_32
.LBB30_43:                              ;   in Loop: Header=BB30_3 Depth=1
	v_lshl_add_u64 v[6:7], v[72:73], 0, v[42:43]
	v_lshl_add_u64 v[22:23], v[74:75], 0, v[42:43]
	global_load_dwordx2 v[6:7], v[6:7], off
	s_nop 0
	global_load_dwordx2 v[22:23], v[22:23], off
	s_or_b64 exec, exec, s[36:37]
	s_and_saveexec_b64 s[36:37], s[6:7]
	s_cbranch_execz .LBB30_33
.LBB30_44:                              ;   in Loop: Header=BB30_3 Depth=1
	v_lshl_add_u64 v[8:9], v[68:69], 0, v[42:43]
	v_lshl_add_u64 v[24:25], v[70:71], 0, v[42:43]
	global_load_dwordx2 v[8:9], v[8:9], off
	s_nop 0
	global_load_dwordx2 v[24:25], v[24:25], off
	s_or_b64 exec, exec, s[36:37]
	s_and_saveexec_b64 s[36:37], s[6:7]
	s_cbranch_execz .LBB30_34
.LBB30_45:                              ;   in Loop: Header=BB30_3 Depth=1
	v_lshl_add_u64 v[10:11], v[64:65], 0, v[42:43]
	v_lshl_add_u64 v[26:27], v[66:67], 0, v[42:43]
	global_load_dwordx2 v[10:11], v[10:11], off
	s_nop 0
	global_load_dwordx2 v[26:27], v[26:27], off
	s_or_b64 exec, exec, s[36:37]
	s_and_saveexec_b64 s[36:37], s[6:7]
	s_cbranch_execz .LBB30_35
.LBB30_46:                              ;   in Loop: Header=BB30_3 Depth=1
	v_lshl_add_u64 v[12:13], v[60:61], 0, v[42:43]
	v_lshl_add_u64 v[28:29], v[62:63], 0, v[42:43]
	global_load_dwordx2 v[12:13], v[12:13], off
	s_nop 0
	global_load_dwordx2 v[28:29], v[28:29], off
	s_or_b64 exec, exec, s[36:37]
	s_and_saveexec_b64 s[36:37], s[6:7]
	s_cbranch_execz .LBB30_36
.LBB30_47:                              ;   in Loop: Header=BB30_3 Depth=1
	v_lshl_add_u64 v[14:15], v[56:57], 0, v[42:43]
	v_lshl_add_u64 v[30:31], v[58:59], 0, v[42:43]
	global_load_dwordx2 v[14:15], v[14:15], off
	s_nop 0
	global_load_dwordx2 v[30:31], v[30:31], off
	s_or_b64 exec, exec, s[36:37]
	s_and_saveexec_b64 s[36:37], s[6:7]
	s_cbranch_execz .LBB30_37
.LBB30_48:                              ;   in Loop: Header=BB30_3 Depth=1
	v_lshl_add_u64 v[16:17], v[52:53], 0, v[42:43]
	v_lshl_add_u64 v[32:33], v[54:55], 0, v[42:43]
	global_load_dwordx2 v[16:17], v[16:17], off
	s_nop 0
	global_load_dwordx2 v[32:33], v[32:33], off
	s_or_b64 exec, exec, s[36:37]
	s_and_saveexec_b64 s[36:37], s[6:7]
	s_cbranch_execnz .LBB30_38
	s_branch .LBB30_39
.LBB30_49:
                                        ; implicit-def: $vgpr36_vgpr37
                                        ; implicit-def: $vgpr38_vgpr39
	s_branch .LBB30_51
.LBB30_50:
	s_cbranch_execnz .LBB30_82
.LBB30_51:
	v_mov_b64_e32 v[36:37], 0
	s_and_b64 vcc, exec, s[4:5]
	v_mov_b64_e32 v[38:39], 0
	s_cbranch_vccnz .LBB30_82
; %bb.52:
	v_mov_b32_e32 v2, 0
	v_bfe_u32 v1, v0, 10, 10
	v_lshlrev_b32_e32 v6, 6, v1
	v_mov_b32_e32 v7, v2
	v_lshl_add_u64 v[6:7], s[10:11], 3, v[6:7]
	v_lshl_add_u64 v[8:9], v[6:7], 0, 8
	v_mov_b64_e32 v[10:11], s[16:17]
	v_mov_b64_e32 v[22:23], s[18:19]
	v_lshlrev_b32_e32 v40, 3, v1
	v_mov_b32_e32 v41, v2
	v_mad_u64_u32 v[42:43], s[4:5], s14, v8, v[10:11]
	v_mul_lo_u32 v3, s14, v9
	v_mul_lo_u32 v9, s15, v8
	v_lshl_add_u64 v[12:13], v[6:7], 0, 16
	v_lshl_add_u64 v[14:15], v[6:7], 0, 24
	;; [unrolled: 1-line block ×5, first 2 shown]
	v_mad_u64_u32 v[52:53], s[4:5], s14, v8, v[22:23]
	v_lshl_add_u64 v[6:7], v[6:7], 0, 56
	v_lshl_add_u64 v[4:5], v[40:41], 0, s[10:11]
	v_add3_u32 v43, v9, v43, v3
	v_add3_u32 v53, v9, v53, v3
	v_mad_u64_u32 v[58:59], s[4:5], s14, v6, v[10:11]
	v_mul_lo_u32 v7, s14, v7
	v_mul_lo_u32 v9, s15, v6
	v_mad_u64_u32 v[68:69], s[4:5], s14, v6, v[22:23]
	v_mad_u64_u32 v[54:55], s[4:5], s14, v20, v[10:11]
	v_mul_lo_u32 v3, s14, v21
	v_mul_lo_u32 v8, s15, v20
	v_add3_u32 v59, v9, v59, v7
	v_mad_u64_u32 v[66:67], s[4:5], s14, v20, v[22:23]
	v_add3_u32 v69, v9, v69, v7
	v_lshl_add_u64 v[6:7], v[4:5], 0, 7
	v_add3_u32 v55, v8, v55, v3
	v_add3_u32 v67, v8, v67, v3
	v_mul_lo_u32 v3, s15, v6
	v_mul_lo_u32 v8, s14, v7
	v_mad_u64_u32 v[6:7], s[4:5], s14, v6, 0
	v_add3_u32 v7, v7, v8, v3
	v_lshl_add_u64 v[8:9], v[4:5], 0, 6
	v_mad_u64_u32 v[44:45], s[4:5], s14, v12, v[10:11]
	v_mad_u64_u32 v[46:47], s[4:5], s14, v14, v[10:11]
	;; [unrolled: 1-line block ×4, first 2 shown]
	v_mul_lo_u32 v3, s15, v8
	v_mul_lo_u32 v10, s14, v9
	v_mad_u64_u32 v[8:9], s[4:5], s14, v8, 0
	v_add3_u32 v9, v9, v10, v3
	v_lshl_add_u64 v[10:11], v[4:5], 0, 5
	v_mul_lo_u32 v13, s14, v13
	v_mul_lo_u32 v24, s15, v12
	v_mad_u64_u32 v[56:57], s[4:5], s14, v12, v[22:23]
	v_mul_lo_u32 v3, s15, v10
	v_mul_lo_u32 v12, s14, v11
	v_mad_u64_u32 v[10:11], s[4:5], s14, v10, 0
	v_add3_u32 v45, v24, v45, v13
	v_add3_u32 v57, v24, v57, v13
	v_add3_u32 v11, v11, v12, v3
	v_lshl_add_u64 v[12:13], v[4:5], 0, 4
	v_mul_lo_u32 v15, s14, v15
	v_mul_lo_u32 v25, s15, v14
	v_mad_u64_u32 v[60:61], s[4:5], s14, v14, v[22:23]
	v_mul_lo_u32 v3, s15, v12
	v_mul_lo_u32 v14, s14, v13
	v_mad_u64_u32 v[12:13], s[4:5], s14, v12, 0
	v_add3_u32 v47, v25, v47, v15
	v_add3_u32 v61, v25, v61, v15
	;; [unrolled: 10-line block ×4, first 2 shown]
	v_add3_u32 v17, v17, v18, v3
	v_mov_b64_e32 v[18:19], s[14:15]
	v_mad_u64_u32 v[18:19], s[4:5], s14, v4, v[18:19]
	v_mul_lo_u32 v3, s15, v4
	v_mul_lo_u32 v20, s14, v5
	v_mad_u64_u32 v[4:5], s[4:5], s14, v4, 0
	v_add3_u32 v5, v5, v20, v3
	s_load_dword s4, s[0:1], 0x44
	v_lshlrev_b64 v[4:5], 3, v[4:5]
	v_lshl_add_u64 v[72:73], s[16:17], 0, v[4:5]
	v_lshl_add_u64 v[74:75], s[18:19], 0, v[4:5]
	v_lshlrev_b64 v[4:5], 3, v[6:7]
	v_lshl_add_u64 v[76:77], s[16:17], 0, v[4:5]
	v_lshl_add_u64 v[78:79], s[18:19], 0, v[4:5]
	;; [unrolled: 3-line block ×3, first 2 shown]
	v_lshlrev_b64 v[4:5], 3, v[10:11]
	s_add_u32 s6, s0, 64
	v_lshl_add_u64 v[84:85], s[16:17], 0, v[4:5]
	v_lshl_add_u64 v[86:87], s[18:19], 0, v[4:5]
	v_lshlrev_b64 v[4:5], 3, v[12:13]
	v_add3_u32 v19, v3, v19, v20
	v_and_b32_e32 v110, 0x3ff, v0
	s_addc_u32 s7, s1, 0
	s_waitcnt lgkmcnt(0)
	s_lshl_b32 s4, s4, 3
	v_lshl_add_u64 v[88:89], s[16:17], 0, v[4:5]
	v_lshl_add_u64 v[90:91], s[18:19], 0, v[4:5]
	v_lshlrev_b64 v[4:5], 3, v[14:15]
	v_mbcnt_lo_u32_b32 v3, -1, 0
	v_add_u32_e32 v20, s3, v110
	s_mul_i32 s3, s15, s4
	s_mul_hi_u32 s9, s14, s4
	v_lshl_add_u64 v[92:93], s[16:17], 0, v[4:5]
	v_lshl_add_u64 v[94:95], s[18:19], 0, v[4:5]
	v_lshlrev_b64 v[4:5], 3, v[16:17]
	v_mbcnt_hi_u32_b32 v3, -1, v3
	v_mov_b32_e32 v21, v2
	s_add_i32 s25, s9, s3
	s_mul_i32 s24, s14, s4
	v_lshl_add_u64 v[96:97], s[16:17], 0, v[4:5]
	v_lshl_add_u64 v[98:99], s[18:19], 0, v[4:5]
	v_lshlrev_b64 v[4:5], 3, v[18:19]
	v_lshlrev_b32_e32 v3, 2, v3
	s_mov_b32 s5, 0
	v_lshlrev_b64 v[70:71], 3, v[20:21]
	s_lshl_b64 s[24:25], s[24:25], 3
	s_mov_b64 s[26:27], 7
	v_lshl_add_u64 v[100:101], s[16:17], 0, v[4:5]
	v_lshl_add_u64 v[102:103], s[18:19], 0, v[4:5]
	v_and_b32_e32 v111, 0x100, v3
	s_mov_b64 s[16:17], s[10:11]
	v_mov_b64_e32 v[38:39], 0
	v_mov_b64_e32 v[36:37], 0
	s_branch .LBB30_56
.LBB30_53:                              ;   in Loop: Header=BB30_56 Depth=1
	s_or_b64 exec, exec, s[28:29]
.LBB30_54:                              ;   in Loop: Header=BB30_56 Depth=1
	s_or_b64 exec, exec, s[18:19]
	v_lshl_add_u64 v[10:11], v[52:53], 0, v[70:71]
	v_lshl_add_u64 v[8:9], v[74:75], 0, v[70:71]
	global_load_dwordx2 v[10:11], v[10:11], off
	v_lshl_add_u64 v[18:19], v[72:73], 0, v[70:71]
	global_load_dwordx2 v[8:9], v[8:9], off
	;; [unrolled: 2-line block ×7, first 2 shown]
	global_load_dwordx2 v[26:27], v[22:23], off
	v_lshl_add_u64 v[30:31], v[64:65], 0, v[70:71]
	s_waitcnt vmcnt(9)
	ds_bpermute_b32 v104, v111, v6 offset:4
	ds_bpermute_b32 v105, v111, v7 offset:4
	global_load_dwordx2 v[30:31], v[30:31], off
	ds_bpermute_b32 v34, v111, v6
	ds_bpermute_b32 v35, v111, v7
	v_lshl_add_u64 v[20:21], v[46:47], 0, v[70:71]
	global_load_dwordx2 v[20:21], v[20:21], off
	v_lshl_add_u64 v[118:119], v[66:67], 0, v[70:71]
	v_lshl_add_u64 v[22:23], v[48:49], 0, v[70:71]
	global_load_dwordx2 v[118:119], v[118:119], off
	v_lshl_add_u64 v[28:29], v[50:51], 0, v[70:71]
	v_lshl_add_u64 v[32:33], v[54:55], 0, v[70:71]
	global_load_dwordx2 v[120:121], v[22:23], off
	global_load_dwordx2 v[122:123], v[28:29], off
	;; [unrolled: 1-line block ×3, first 2 shown]
	ds_bpermute_b32 v106, v111, v6 offset:8
	ds_bpermute_b32 v107, v111, v7 offset:8
	;; [unrolled: 1-line block ×12, first 2 shown]
	s_waitcnt vmcnt(13) lgkmcnt(14)
	v_add_f64 v[10:11], v[10:11], -v[104:105]
	v_lshl_add_u64 v[104:105], v[68:69], 0, v[70:71]
	s_waitcnt vmcnt(12) lgkmcnt(12)
	v_add_f64 v[8:9], v[8:9], -v[34:35]
	v_lshl_add_u64 v[34:35], v[58:59], 0, v[70:71]
	global_load_dwordx2 v[22:23], v[104:105], off
	s_waitcnt vmcnt(12)
	v_add_f64 v[28:29], v[36:37], v[18:19]
	v_mul_f64 v[8:9], v[18:19], v[8:9]
	global_load_dwordx2 v[18:19], v[34:35], off
	s_waitcnt vmcnt(12) lgkmcnt(10)
	v_add_f64 v[12:13], v[12:13], -v[106:107]
	ds_bpermute_b32 v106, v111, v4
	ds_bpermute_b32 v107, v111, v5
	s_waitcnt vmcnt(11) lgkmcnt(10)
	v_add_f64 v[14:15], v[14:15], -v[108:109]
	ds_bpermute_b32 v108, v111, v4 offset:4
	ds_bpermute_b32 v109, v111, v5 offset:4
	s_waitcnt vmcnt(10) lgkmcnt(10)
	v_add_f64 v[16:17], v[16:17], -v[112:113]
	ds_bpermute_b32 v112, v111, v4 offset:8
	ds_bpermute_b32 v113, v111, v5 offset:8
	s_waitcnt vmcnt(9)
	v_mul_f64 v[10:11], v[24:25], v[10:11]
	s_waitcnt lgkmcnt(4)
	v_fmac_f64_e32 v[38:39], v[8:9], v[106:107]
	s_waitcnt lgkmcnt(2)
	v_fmac_f64_e32 v[38:39], v[10:11], v[108:109]
	ds_bpermute_b32 v10, v111, v4 offset:12
	ds_bpermute_b32 v11, v111, v5 offset:12
	s_waitcnt vmcnt(7)
	v_add_f64 v[8:9], v[30:31], -v[114:115]
	ds_bpermute_b32 v30, v111, v4 offset:16
	ds_bpermute_b32 v31, v111, v5 offset:16
	v_add_f64 v[24:25], v[28:29], v[24:25]
	ds_bpermute_b32 v28, v111, v4 offset:20
	ds_bpermute_b32 v29, v111, v5 offset:20
	v_mul_f64 v[12:13], v[26:27], v[12:13]
	v_add_f64 v[24:25], v[24:25], v[26:27]
	ds_bpermute_b32 v26, v111, v4 offset:24
	ds_bpermute_b32 v27, v111, v5 offset:24
	s_waitcnt lgkmcnt(8)
	v_fmac_f64_e32 v[38:39], v[12:13], v[112:113]
	s_waitcnt vmcnt(6)
	v_mul_f64 v[14:15], v[20:21], v[14:15]
	v_add_f64 v[20:21], v[24:25], v[20:21]
	ds_bpermute_b32 v24, v111, v4 offset:28
	ds_bpermute_b32 v25, v111, v5 offset:28
	s_waitcnt vmcnt(4)
	v_mul_f64 v[16:17], v[120:121], v[16:17]
	s_waitcnt lgkmcnt(8)
	v_fmac_f64_e32 v[38:39], v[14:15], v[10:11]
	v_add_f64 v[12:13], v[118:119], -v[116:117]
	s_waitcnt vmcnt(3)
	v_mul_f64 v[8:9], v[122:123], v[8:9]
	s_waitcnt lgkmcnt(6)
	v_fmac_f64_e32 v[38:39], v[16:17], v[30:31]
	s_waitcnt vmcnt(2)
	v_mul_f64 v[12:13], v[124:125], v[12:13]
	v_add_f64 v[20:21], v[20:21], v[120:121]
	s_waitcnt lgkmcnt(4)
	v_fmac_f64_e32 v[38:39], v[8:9], v[28:29]
	v_add_f64 v[10:11], v[20:21], v[122:123]
	s_waitcnt lgkmcnt(2)
	v_fmac_f64_e32 v[38:39], v[12:13], v[26:27]
	v_add_f64 v[4:5], v[10:11], v[124:125]
	v_mov_b64_e32 v[20:21], v[38:39]
	s_waitcnt vmcnt(1)
	v_add_f64 v[6:7], v[22:23], -v[6:7]
	s_waitcnt vmcnt(0)
	v_mul_f64 v[6:7], v[18:19], v[6:7]
	s_waitcnt lgkmcnt(0)
	v_mul_f64 v[6:7], v[6:7], v[24:25]
.LBB30_55:                              ;   in Loop: Header=BB30_56 Depth=1
	s_add_u32 s16, s16, s4
	v_add_f64 v[36:37], v[4:5], v[18:19]
	s_addc_u32 s17, s17, 0
	v_mov_b64_e32 v[4:5], s[12:13]
	s_add_u32 s26, s26, s4
	v_cmp_ge_i64_e32 vcc, s[16:17], v[4:5]
	v_add_f64 v[38:39], v[20:21], v[6:7]
	v_lshl_add_u64 v[72:73], v[72:73], 0, s[24:25]
	v_lshl_add_u64 v[74:75], v[74:75], 0, s[24:25]
	;; [unrolled: 1-line block ×31, first 2 shown]
	s_addc_u32 s27, 0, s27
	s_cbranch_vccnz .LBB30_82
.LBB30_56:                              ; =>This Inner Loop Header: Depth=1
	s_add_u32 s18, s10, s26
	s_addc_u32 s19, 0, s27
	v_mov_b64_e32 v[4:5], s[12:13]
	v_cmp_ge_i64_e32 vcc, s[18:19], v[4:5]
	v_lshl_add_u64 v[104:105], s[10:11], 0, v[40:41]
	s_mov_b64 s[18:19], -1
	s_and_b64 vcc, exec, vcc
                                        ; implicit-def: $vgpr18_vgpr19
                                        ; implicit-def: $vgpr6_vgpr7
                                        ; implicit-def: $vgpr4_vgpr5
                                        ; implicit-def: $vgpr20_vgpr21
	s_cbranch_vccz .LBB30_78
; %bb.57:                               ;   in Loop: Header=BB30_56 Depth=1
	s_load_dword s3, s[6:7], 0xc
	v_mov_b64_e32 v[106:107], 0
	v_mov_b64_e32 v[108:109], 0
	s_waitcnt lgkmcnt(0)
	s_and_b32 s3, s3, 0xffff
	v_mad_u32_u24 v3, v1, s3, v110
	v_and_b32_e32 v4, 63, v3
	v_cmp_gt_u32_e32 vcc, 8, v4
	s_and_saveexec_b64 s[18:19], vcc
	s_cbranch_execz .LBB30_61
; %bb.58:                               ;   in Loop: Header=BB30_56 Depth=1
	v_mov_b32_e32 v5, v2
	v_lshl_add_u64 v[4:5], v[104:105], 0, v[4:5]
	v_cmp_gt_i64_e32 vcc, s[12:13], v[4:5]
	v_mov_b64_e32 v[108:109], 0
	v_mov_b64_e32 v[106:107], 0
	s_and_saveexec_b64 s[28:29], vcc
	s_cbranch_execz .LBB30_60
; %bb.59:                               ;   in Loop: Header=BB30_56 Depth=1
	v_lshlrev_b64 v[4:5], 3, v[4:5]
	v_lshl_add_u64 v[6:7], s[22:23], 0, v[4:5]
	v_lshl_add_u64 v[4:5], s[20:21], 0, v[4:5]
	global_load_dwordx2 v[108:109], v[4:5], off
	global_load_dwordx2 v[106:107], v[6:7], off
.LBB30_60:                              ;   in Loop: Header=BB30_56 Depth=1
	s_or_b64 exec, exec, s[28:29]
.LBB30_61:                              ;   in Loop: Header=BB30_56 Depth=1
	s_or_b64 exec, exec, s[18:19]
	v_mov_b32_e32 v16, v2
	v_mov_b32_e32 v17, v2
	;; [unrolled: 1-line block ×15, first 2 shown]
	v_mov_b64_e32 v[34:35], v[16:17]
	v_mov_b64_e32 v[32:33], v[14:15]
	v_mov_b64_e32 v[30:31], v[12:13]
	v_mov_b64_e32 v[28:29], v[10:11]
	v_mov_b64_e32 v[26:27], v[8:9]
	v_mov_b64_e32 v[24:25], v[6:7]
	v_mov_b64_e32 v[22:23], v[4:5]
	v_mov_b64_e32 v[20:21], v[2:3]
	v_mov_b64_e32 v[18:19], v[16:17]
	v_cmp_gt_i64_e32 vcc, s[12:13], v[104:105]
	v_mov_b64_e32 v[16:17], v[14:15]
	v_mov_b64_e32 v[14:15], v[12:13]
	;; [unrolled: 1-line block ×7, first 2 shown]
	s_and_saveexec_b64 s[18:19], vcc
	s_cbranch_execz .LBB30_63
; %bb.62:                               ;   in Loop: Header=BB30_56 Depth=1
	v_lshl_add_u64 v[4:5], v[72:73], 0, v[70:71]
	v_lshl_add_u64 v[6:7], v[74:75], 0, v[70:71]
	global_load_dwordx2 v[4:5], v[4:5], off
	v_mov_b32_e32 v8, v2
	global_load_dwordx2 v[20:21], v[6:7], off
	v_mov_b32_e32 v6, v2
	v_mov_b32_e32 v7, v2
	;; [unrolled: 1-line block ×27, first 2 shown]
.LBB30_63:                              ;   in Loop: Header=BB30_56 Depth=1
	s_or_b64 exec, exec, s[18:19]
	v_lshl_add_u64 v[112:113], v[104:105], 0, 1
	v_cmp_gt_i64_e32 vcc, s[12:13], v[112:113]
	s_and_saveexec_b64 s[18:19], vcc
	s_cbranch_execz .LBB30_65
; %bb.64:                               ;   in Loop: Header=BB30_56 Depth=1
	v_lshl_add_u64 v[6:7], v[100:101], 0, v[70:71]
	v_lshl_add_u64 v[22:23], v[102:103], 0, v[70:71]
	global_load_dwordx2 v[6:7], v[6:7], off
	s_nop 0
	global_load_dwordx2 v[22:23], v[22:23], off
.LBB30_65:                              ;   in Loop: Header=BB30_56 Depth=1
	s_or_b64 exec, exec, s[18:19]
	v_lshl_add_u64 v[112:113], v[104:105], 0, 2
	v_cmp_gt_i64_e32 vcc, s[12:13], v[112:113]
	s_and_saveexec_b64 s[18:19], vcc
	s_cbranch_execz .LBB30_67
; %bb.66:                               ;   in Loop: Header=BB30_56 Depth=1
	v_lshl_add_u64 v[8:9], v[96:97], 0, v[70:71]
	v_lshl_add_u64 v[24:25], v[98:99], 0, v[70:71]
	global_load_dwordx2 v[8:9], v[8:9], off
	s_nop 0
	global_load_dwordx2 v[24:25], v[24:25], off
.LBB30_67:                              ;   in Loop: Header=BB30_56 Depth=1
	s_or_b64 exec, exec, s[18:19]
	v_lshl_add_u64 v[112:113], v[104:105], 0, 3
	v_cmp_gt_i64_e32 vcc, s[12:13], v[112:113]
	s_and_saveexec_b64 s[18:19], vcc
	s_cbranch_execz .LBB30_69
; %bb.68:                               ;   in Loop: Header=BB30_56 Depth=1
	v_lshl_add_u64 v[10:11], v[92:93], 0, v[70:71]
	v_lshl_add_u64 v[26:27], v[94:95], 0, v[70:71]
	global_load_dwordx2 v[10:11], v[10:11], off
	s_nop 0
	global_load_dwordx2 v[26:27], v[26:27], off
.LBB30_69:                              ;   in Loop: Header=BB30_56 Depth=1
	s_or_b64 exec, exec, s[18:19]
	v_lshl_add_u64 v[112:113], v[104:105], 0, 4
	v_cmp_gt_i64_e32 vcc, s[12:13], v[112:113]
	s_and_saveexec_b64 s[18:19], vcc
	s_cbranch_execz .LBB30_71
; %bb.70:                               ;   in Loop: Header=BB30_56 Depth=1
	v_lshl_add_u64 v[12:13], v[88:89], 0, v[70:71]
	v_lshl_add_u64 v[28:29], v[90:91], 0, v[70:71]
	global_load_dwordx2 v[12:13], v[12:13], off
	s_nop 0
	global_load_dwordx2 v[28:29], v[28:29], off
.LBB30_71:                              ;   in Loop: Header=BB30_56 Depth=1
	s_or_b64 exec, exec, s[18:19]
	v_lshl_add_u64 v[112:113], v[104:105], 0, 5
	v_cmp_gt_i64_e32 vcc, s[12:13], v[112:113]
	s_and_saveexec_b64 s[18:19], vcc
	s_cbranch_execz .LBB30_73
; %bb.72:                               ;   in Loop: Header=BB30_56 Depth=1
	v_lshl_add_u64 v[14:15], v[84:85], 0, v[70:71]
	v_lshl_add_u64 v[30:31], v[86:87], 0, v[70:71]
	global_load_dwordx2 v[14:15], v[14:15], off
	s_nop 0
	global_load_dwordx2 v[30:31], v[30:31], off
.LBB30_73:                              ;   in Loop: Header=BB30_56 Depth=1
	s_or_b64 exec, exec, s[18:19]
	v_lshl_add_u64 v[112:113], v[104:105], 0, 6
	v_cmp_gt_i64_e32 vcc, s[12:13], v[112:113]
	s_and_saveexec_b64 s[18:19], vcc
	s_cbranch_execz .LBB30_75
; %bb.74:                               ;   in Loop: Header=BB30_56 Depth=1
	v_lshl_add_u64 v[16:17], v[80:81], 0, v[70:71]
	v_lshl_add_u64 v[32:33], v[82:83], 0, v[70:71]
	global_load_dwordx2 v[16:17], v[16:17], off
	s_nop 0
	global_load_dwordx2 v[32:33], v[32:33], off
.LBB30_75:                              ;   in Loop: Header=BB30_56 Depth=1
	s_or_b64 exec, exec, s[18:19]
	v_lshl_add_u64 v[112:113], v[104:105], 0, 7
	v_cmp_gt_i64_e32 vcc, s[12:13], v[112:113]
	s_and_saveexec_b64 s[18:19], vcc
	s_cbranch_execz .LBB30_77
; %bb.76:                               ;   in Loop: Header=BB30_56 Depth=1
	v_lshl_add_u64 v[18:19], v[76:77], 0, v[70:71]
	v_lshl_add_u64 v[34:35], v[78:79], 0, v[70:71]
	global_load_dwordx2 v[18:19], v[18:19], off
	s_nop 0
	global_load_dwordx2 v[34:35], v[34:35], off
.LBB30_77:                              ;   in Loop: Header=BB30_56 Depth=1
	s_or_b64 exec, exec, s[18:19]
	s_waitcnt vmcnt(1)
	ds_bpermute_b32 v112, v111, v108
	ds_bpermute_b32 v113, v111, v109
	s_waitcnt vmcnt(0)
	ds_bpermute_b32 v114, v111, v106
	ds_bpermute_b32 v115, v111, v107
	ds_bpermute_b32 v116, v111, v108 offset:4
	ds_bpermute_b32 v117, v111, v109 offset:4
	s_waitcnt lgkmcnt(4)
	v_add_f64 v[20:21], v[20:21], -v[112:113]
	v_mul_f64 v[20:21], v[4:5], v[20:21]
	s_waitcnt lgkmcnt(2)
	v_fma_f64 v[20:21], v[20:21], v[114:115], v[38:39]
	ds_bpermute_b32 v112, v111, v106 offset:4
	ds_bpermute_b32 v113, v111, v107 offset:4
	;; [unrolled: 1-line block ×4, first 2 shown]
	v_add_f64 v[4:5], v[36:37], v[4:5]
	s_waitcnt lgkmcnt(4)
	v_add_f64 v[22:23], v[22:23], -v[116:117]
	v_mul_f64 v[22:23], v[6:7], v[22:23]
	v_add_f64 v[4:5], v[6:7], v[4:5]
	ds_bpermute_b32 v6, v111, v106 offset:8
	ds_bpermute_b32 v7, v111, v107 offset:8
	s_waitcnt lgkmcnt(4)
	v_fmac_f64_e32 v[20:21], v[22:23], v[112:113]
	s_waitcnt lgkmcnt(2)
	v_add_f64 v[22:23], v[24:25], -v[114:115]
	ds_bpermute_b32 v24, v111, v108 offset:12
	ds_bpermute_b32 v25, v111, v109 offset:12
	v_mul_f64 v[22:23], v[8:9], v[22:23]
	s_waitcnt lgkmcnt(2)
	v_fmac_f64_e32 v[20:21], v[22:23], v[6:7]
	ds_bpermute_b32 v6, v111, v106 offset:12
	ds_bpermute_b32 v7, v111, v107 offset:12
	v_add_f64 v[4:5], v[8:9], v[4:5]
	s_waitcnt lgkmcnt(2)
	v_add_f64 v[8:9], v[26:27], -v[24:25]
	ds_bpermute_b32 v22, v111, v108 offset:16
	ds_bpermute_b32 v23, v111, v109 offset:16
	v_mul_f64 v[8:9], v[10:11], v[8:9]
	s_waitcnt lgkmcnt(2)
	v_fmac_f64_e32 v[20:21], v[8:9], v[6:7]
	v_add_f64 v[4:5], v[10:11], v[4:5]
	ds_bpermute_b32 v6, v111, v106 offset:16
	ds_bpermute_b32 v7, v111, v107 offset:16
	;; [unrolled: 1-line block ×4, first 2 shown]
	s_waitcnt lgkmcnt(4)
	v_add_f64 v[8:9], v[28:29], -v[22:23]
	v_mul_f64 v[8:9], v[12:13], v[8:9]
	s_waitcnt lgkmcnt(2)
	v_fmac_f64_e32 v[20:21], v[8:9], v[6:7]
	ds_bpermute_b32 v6, v111, v106 offset:20
	ds_bpermute_b32 v7, v111, v107 offset:20
	s_waitcnt lgkmcnt(2)
	v_add_f64 v[8:9], v[30:31], -v[10:11]
	ds_bpermute_b32 v10, v111, v108 offset:24
	ds_bpermute_b32 v11, v111, v109 offset:24
	v_mul_f64 v[8:9], v[14:15], v[8:9]
	s_waitcnt lgkmcnt(2)
	v_fmac_f64_e32 v[20:21], v[8:9], v[6:7]
	ds_bpermute_b32 v6, v111, v106 offset:24
	ds_bpermute_b32 v7, v111, v107 offset:24
	s_waitcnt lgkmcnt(2)
	v_add_f64 v[8:9], v[32:33], -v[10:11]
	ds_bpermute_b32 v10, v111, v108 offset:28
	ds_bpermute_b32 v11, v111, v109 offset:28
	v_add_f64 v[4:5], v[12:13], v[4:5]
	ds_bpermute_b32 v12, v111, v106 offset:28
	ds_bpermute_b32 v13, v111, v107 offset:28
	v_mul_f64 v[8:9], v[16:17], v[8:9]
	s_waitcnt lgkmcnt(4)
	v_fmac_f64_e32 v[20:21], v[8:9], v[6:7]
	s_waitcnt lgkmcnt(2)
	v_add_f64 v[6:7], v[34:35], -v[10:11]
	v_add_f64 v[4:5], v[14:15], v[4:5]
	v_mul_f64 v[6:7], v[18:19], v[6:7]
	v_add_f64 v[4:5], v[16:17], v[4:5]
	s_waitcnt lgkmcnt(0)
	v_mul_f64 v[6:7], v[6:7], v[12:13]
	s_mov_b64 s[18:19], 0
.LBB30_78:                              ;   in Loop: Header=BB30_56 Depth=1
	s_and_b64 vcc, exec, s[18:19]
	s_cbranch_vccz .LBB30_55
; %bb.79:                               ;   in Loop: Header=BB30_56 Depth=1
	s_load_dword s3, s[6:7], 0x0
	v_mov_b64_e32 v[4:5], 0
	v_mov_b64_e32 v[6:7], 0
	s_waitcnt lgkmcnt(0)
	s_cmp_lt_u32 s2, s3
	s_cselect_b32 s3, 12, 18
	s_add_u32 s18, s6, s3
	s_addc_u32 s19, s7, 0
	global_load_ushort v3, v2, s[18:19]
	s_waitcnt vmcnt(0)
	v_mad_u32_u24 v3, v1, v3, v110
	v_and_b32_e32 v8, 63, v3
	v_cmp_gt_u32_e32 vcc, 8, v8
	s_and_saveexec_b64 s[18:19], vcc
	s_cbranch_execz .LBB30_54
; %bb.80:                               ;   in Loop: Header=BB30_56 Depth=1
	v_mov_b32_e32 v9, v2
	v_lshl_add_u64 v[8:9], v[104:105], 0, v[8:9]
	v_cmp_gt_i64_e32 vcc, s[12:13], v[8:9]
	v_mov_b64_e32 v[6:7], 0
	v_mov_b64_e32 v[4:5], 0
	s_and_saveexec_b64 s[28:29], vcc
	s_cbranch_execz .LBB30_53
; %bb.81:                               ;   in Loop: Header=BB30_56 Depth=1
	v_lshlrev_b64 v[4:5], 3, v[8:9]
	v_lshl_add_u64 v[10:11], s[20:21], 0, v[4:5]
	v_lshl_add_u64 v[8:9], s[22:23], 0, v[4:5]
	global_load_dwordx2 v[6:7], v[10:11], off
	global_load_dwordx2 v[4:5], v[8:9], off
	s_branch .LBB30_53
.LBB30_82:
	s_mov_b32 s3, 0
	s_lshl_b64 s[2:3], s[2:3], 6
	v_and_b32_e32 v1, 0x3ff, v0
	v_or_b32_e32 v2, s2, v1
	v_mov_b32_e32 v3, s3
	v_cmp_gt_i64_e32 vcc, s[14:15], v[2:3]
	s_and_saveexec_b64 s[2:3], vcc
	s_cbranch_execz .LBB30_87
; %bb.83:
	s_load_dword s2, s[0:1], 0x4c
	s_load_dwordx4 s[4:7], s[0:1], 0x30
	v_bfe_u32 v0, v0, 10, 10
	v_mov_b32_e32 v1, 0
	v_mov_b32_e32 v4, s8
	s_waitcnt lgkmcnt(0)
	s_lshr_b32 s0, s2, 16
	v_mad_u64_u32 v[0:1], s[0:1], s0, v4, v[0:1]
	s_cmp_eq_u64 s[4:5], 0
	v_mul_lo_u32 v1, v1, s14
	v_mul_lo_u32 v4, v0, s15
	s_cbranch_scc1 .LBB30_85
; %bb.84:
	v_mad_u64_u32 v[6:7], s[0:1], v0, s14, 0
	v_add3_u32 v7, v7, v4, v1
	v_lshl_add_u64 v[6:7], v[6:7], 3, s[4:5]
	v_lshl_add_u64 v[6:7], v[2:3], 3, v[6:7]
	global_store_dwordx2 v[6:7], v[38:39], off
.LBB30_85:
	s_cmp_eq_u64 s[6:7], 0
	s_cbranch_scc1 .LBB30_87
; %bb.86:
	v_mad_u64_u32 v[6:7], s[0:1], v0, s14, 0
	v_add3_u32 v7, v7, v4, v1
	v_lshl_add_u64 v[0:1], v[6:7], 3, s[6:7]
	v_lshl_add_u64 v[0:1], v[2:3], 3, v[0:1]
	global_store_dwordx2 v[0:1], v[36:37], off
.LBB30_87:
	s_endpgm
	.section	.rodata,"a",@progbits
	.p2align	6, 0x0
	.amdhsa_kernel _ZN2at6native12_GLOBAL__N_135GammaBetaBackwardCUDAKernelTemplateIddLj64ELj1ELj8ELb1ELb0ELb0EEEvllPKT_S5_PKT0_S8_PS3_S9_
		.amdhsa_group_segment_fixed_size 0
		.amdhsa_private_segment_fixed_size 0
		.amdhsa_kernarg_size 320
		.amdhsa_user_sgpr_count 2
		.amdhsa_user_sgpr_dispatch_ptr 0
		.amdhsa_user_sgpr_queue_ptr 0
		.amdhsa_user_sgpr_kernarg_segment_ptr 1
		.amdhsa_user_sgpr_dispatch_id 0
		.amdhsa_user_sgpr_kernarg_preload_length 0
		.amdhsa_user_sgpr_kernarg_preload_offset 0
		.amdhsa_user_sgpr_private_segment_size 0
		.amdhsa_uses_dynamic_stack 0
		.amdhsa_enable_private_segment 0
		.amdhsa_system_sgpr_workgroup_id_x 1
		.amdhsa_system_sgpr_workgroup_id_y 1
		.amdhsa_system_sgpr_workgroup_id_z 0
		.amdhsa_system_sgpr_workgroup_info 0
		.amdhsa_system_vgpr_workitem_id 1
		.amdhsa_next_free_vgpr 126
		.amdhsa_next_free_sgpr 40
		.amdhsa_accum_offset 128
		.amdhsa_reserve_vcc 1
		.amdhsa_float_round_mode_32 0
		.amdhsa_float_round_mode_16_64 0
		.amdhsa_float_denorm_mode_32 3
		.amdhsa_float_denorm_mode_16_64 3
		.amdhsa_dx10_clamp 1
		.amdhsa_ieee_mode 1
		.amdhsa_fp16_overflow 0
		.amdhsa_tg_split 0
		.amdhsa_exception_fp_ieee_invalid_op 0
		.amdhsa_exception_fp_denorm_src 0
		.amdhsa_exception_fp_ieee_div_zero 0
		.amdhsa_exception_fp_ieee_overflow 0
		.amdhsa_exception_fp_ieee_underflow 0
		.amdhsa_exception_fp_ieee_inexact 0
		.amdhsa_exception_int_div_zero 0
	.end_amdhsa_kernel
	.section	.text._ZN2at6native12_GLOBAL__N_135GammaBetaBackwardCUDAKernelTemplateIddLj64ELj1ELj8ELb1ELb0ELb0EEEvllPKT_S5_PKT0_S8_PS3_S9_,"axG",@progbits,_ZN2at6native12_GLOBAL__N_135GammaBetaBackwardCUDAKernelTemplateIddLj64ELj1ELj8ELb1ELb0ELb0EEEvllPKT_S5_PKT0_S8_PS3_S9_,comdat
.Lfunc_end30:
	.size	_ZN2at6native12_GLOBAL__N_135GammaBetaBackwardCUDAKernelTemplateIddLj64ELj1ELj8ELb1ELb0ELb0EEEvllPKT_S5_PKT0_S8_PS3_S9_, .Lfunc_end30-_ZN2at6native12_GLOBAL__N_135GammaBetaBackwardCUDAKernelTemplateIddLj64ELj1ELj8ELb1ELb0ELb0EEEvllPKT_S5_PKT0_S8_PS3_S9_
                                        ; -- End function
	.set _ZN2at6native12_GLOBAL__N_135GammaBetaBackwardCUDAKernelTemplateIddLj64ELj1ELj8ELb1ELb0ELb0EEEvllPKT_S5_PKT0_S8_PS3_S9_.num_vgpr, 126
	.set _ZN2at6native12_GLOBAL__N_135GammaBetaBackwardCUDAKernelTemplateIddLj64ELj1ELj8ELb1ELb0ELb0EEEvllPKT_S5_PKT0_S8_PS3_S9_.num_agpr, 0
	.set _ZN2at6native12_GLOBAL__N_135GammaBetaBackwardCUDAKernelTemplateIddLj64ELj1ELj8ELb1ELb0ELb0EEEvllPKT_S5_PKT0_S8_PS3_S9_.numbered_sgpr, 40
	.set _ZN2at6native12_GLOBAL__N_135GammaBetaBackwardCUDAKernelTemplateIddLj64ELj1ELj8ELb1ELb0ELb0EEEvllPKT_S5_PKT0_S8_PS3_S9_.num_named_barrier, 0
	.set _ZN2at6native12_GLOBAL__N_135GammaBetaBackwardCUDAKernelTemplateIddLj64ELj1ELj8ELb1ELb0ELb0EEEvllPKT_S5_PKT0_S8_PS3_S9_.private_seg_size, 0
	.set _ZN2at6native12_GLOBAL__N_135GammaBetaBackwardCUDAKernelTemplateIddLj64ELj1ELj8ELb1ELb0ELb0EEEvllPKT_S5_PKT0_S8_PS3_S9_.uses_vcc, 1
	.set _ZN2at6native12_GLOBAL__N_135GammaBetaBackwardCUDAKernelTemplateIddLj64ELj1ELj8ELb1ELb0ELb0EEEvllPKT_S5_PKT0_S8_PS3_S9_.uses_flat_scratch, 0
	.set _ZN2at6native12_GLOBAL__N_135GammaBetaBackwardCUDAKernelTemplateIddLj64ELj1ELj8ELb1ELb0ELb0EEEvllPKT_S5_PKT0_S8_PS3_S9_.has_dyn_sized_stack, 0
	.set _ZN2at6native12_GLOBAL__N_135GammaBetaBackwardCUDAKernelTemplateIddLj64ELj1ELj8ELb1ELb0ELb0EEEvllPKT_S5_PKT0_S8_PS3_S9_.has_recursion, 0
	.set _ZN2at6native12_GLOBAL__N_135GammaBetaBackwardCUDAKernelTemplateIddLj64ELj1ELj8ELb1ELb0ELb0EEEvllPKT_S5_PKT0_S8_PS3_S9_.has_indirect_call, 0
	.section	.AMDGPU.csdata,"",@progbits
; Kernel info:
; codeLenInByte = 7740
; TotalNumSgprs: 46
; NumVgprs: 126
; NumAgprs: 0
; TotalNumVgprs: 126
; ScratchSize: 0
; MemoryBound: 1
; FloatMode: 240
; IeeeMode: 1
; LDSByteSize: 0 bytes/workgroup (compile time only)
; SGPRBlocks: 5
; VGPRBlocks: 15
; NumSGPRsForWavesPerEU: 46
; NumVGPRsForWavesPerEU: 126
; AccumOffset: 128
; Occupancy: 4
; WaveLimiterHint : 0
; COMPUTE_PGM_RSRC2:SCRATCH_EN: 0
; COMPUTE_PGM_RSRC2:USER_SGPR: 2
; COMPUTE_PGM_RSRC2:TRAP_HANDLER: 0
; COMPUTE_PGM_RSRC2:TGID_X_EN: 1
; COMPUTE_PGM_RSRC2:TGID_Y_EN: 1
; COMPUTE_PGM_RSRC2:TGID_Z_EN: 0
; COMPUTE_PGM_RSRC2:TIDIG_COMP_CNT: 1
; COMPUTE_PGM_RSRC3_GFX90A:ACCUM_OFFSET: 31
; COMPUTE_PGM_RSRC3_GFX90A:TG_SPLIT: 0
	.section	.text._ZN2at6native12_GLOBAL__N_135GammaBetaBackwardCUDAKernelTemplateIddLj64ELj8ELj64ELb0ELb1ELb0EEEvllPKT_S5_PKT0_S8_PS3_S9_,"axG",@progbits,_ZN2at6native12_GLOBAL__N_135GammaBetaBackwardCUDAKernelTemplateIddLj64ELj8ELj64ELb0ELb1ELb0EEEvllPKT_S5_PKT0_S8_PS3_S9_,comdat
	.globl	_ZN2at6native12_GLOBAL__N_135GammaBetaBackwardCUDAKernelTemplateIddLj64ELj8ELj64ELb0ELb1ELb0EEEvllPKT_S5_PKT0_S8_PS3_S9_ ; -- Begin function _ZN2at6native12_GLOBAL__N_135GammaBetaBackwardCUDAKernelTemplateIddLj64ELj8ELj64ELb0ELb1ELb0EEEvllPKT_S5_PKT0_S8_PS3_S9_
	.p2align	8
	.type	_ZN2at6native12_GLOBAL__N_135GammaBetaBackwardCUDAKernelTemplateIddLj64ELj8ELj64ELb0ELb1ELb0EEEvllPKT_S5_PKT0_S8_PS3_S9_,@function
_ZN2at6native12_GLOBAL__N_135GammaBetaBackwardCUDAKernelTemplateIddLj64ELj8ELj64ELb0ELb1ELb0EEEvllPKT_S5_PKT0_S8_PS3_S9_: ; @_ZN2at6native12_GLOBAL__N_135GammaBetaBackwardCUDAKernelTemplateIddLj64ELj8ELj64ELb0ELb1ELb0EEEvllPKT_S5_PKT0_S8_PS3_S9_
; %bb.0:
	s_load_dwordx4 s[16:19], s[0:1], 0x0
	s_lshl_b32 s20, s3, 6
	s_mov_b32 s21, 0
	v_mov_b64_e32 v[2:3], s[20:21]
	v_bfe_u32 v18, v0, 10, 10
	s_waitcnt lgkmcnt(0)
	v_cmp_gt_i64_e32 vcc, s[16:17], v[2:3]
	s_cbranch_vccnz .LBB31_2
; %bb.1:
	s_mov_b64 s[4:5], 0
	v_bfe_u32 v1, v0, 10, 10
	s_branch .LBB31_3
.LBB31_2:
	s_mov_b64 s[4:5], -1
                                        ; implicit-def: $vgpr1
.LBB31_3:
	s_load_dwordx4 s[12:15], s[0:1], 0x30
	v_and_b32_e32 v16, 0x3ff, v0
	v_mov_b64_e32 v[12:13], 0
	s_andn2_b64 vcc, exec, s[4:5]
	v_mbcnt_lo_u32_b32 v17, -1, 0
	v_mov_b64_e32 v[4:5], 0
	s_cbranch_vccnz .LBB31_11
; %bb.4:
	s_load_dword s3, s[0:1], 0x4c
	s_load_dword s22, s[0:1], 0x44
	s_load_dwordx8 s[4:11], s[0:1], 0x10
	v_mbcnt_hi_u32_b32 v6, -1, v17
	v_lshlrev_b32_e32 v0, 3, v18
	s_waitcnt lgkmcnt(0)
	s_and_b32 s0, s3, 0xffff
	v_mad_u32_u24 v1, v18, s0, v16
	v_and_b32_e32 v2, 63, v1
	v_mov_b32_e32 v1, 0
	v_lshlrev_b32_e32 v6, 2, v6
	v_mov_b32_e32 v3, v1
	v_and_b32_e32 v19, 0x100, v6
	v_lshl_add_u64 v[6:7], v[0:1], 0, s[20:21]
	v_mov_b32_e32 v5, v1
	s_lshl_b32 s22, s22, 6
	v_lshl_add_u64 v[0:1], v[6:7], 0, v[2:3]
	v_mul_lo_u32 v8, s19, v6
	v_mul_lo_u32 v9, s18, v7
	v_mad_u64_u32 v[6:7], s[26:27], s18, v6, 0
	v_lshl_add_u32 v4, s2, 6, v16
	s_mul_i32 s3, s19, s22
	s_mul_hi_u32 s26, s18, s22
	s_mov_b32 s23, 0
	v_add3_u32 v7, v7, v9, v8
	v_lshlrev_b64 v[4:5], 3, v[4:5]
	s_add_i32 s27, s26, s3
	s_mul_i32 s26, s18, s22
	v_cmp_gt_u32_e64 s[0:1], 8, v2
	v_or_b32_e32 v20, 4, v19
	v_or_b32_e32 v21, 8, v19
	;; [unrolled: 1-line block ×7, first 2 shown]
	v_lshlrev_b64 v[2:3], 3, v[0:1]
	s_lshl_b64 s[24:25], s[22:23], 3
	v_lshl_add_u64 v[6:7], v[6:7], 3, v[4:5]
	s_lshl_b64 s[26:27], s[26:27], 3
	s_lshl_b64 s[18:19], s[18:19], 3
	v_mov_b64_e32 v[4:5], 0
	v_mov_b64_e32 v[8:9], s[16:17]
	;; [unrolled: 1-line block ×3, first 2 shown]
	s_branch .LBB31_7
.LBB31_5:                               ;   in Loop: Header=BB31_7 Depth=1
	s_or_b64 exec, exec, s[30:31]
.LBB31_6:                               ;   in Loop: Header=BB31_7 Depth=1
	s_or_b64 exec, exec, s[28:29]
	v_lshl_add_u64 v[28:29], s[6:7], 0, v[6:7]
	global_load_dwordx2 v[30:31], v[28:29], off
	v_lshl_add_u64 v[32:33], s[4:5], 0, v[6:7]
	global_load_dwordx2 v[34:35], v[32:33], off
	;; [unrolled: 2-line block ×6, first 2 shown]
	v_lshl_add_u64 v[28:29], v[28:29], 0, s[18:19]
	v_lshl_add_u64 v[32:33], v[32:33], 0, s[18:19]
	global_load_dwordx2 v[44:45], v[28:29], off
	global_load_dwordx2 v[46:47], v[32:33], off
	v_lshl_add_u64 v[28:29], v[28:29], 0, s[18:19]
	v_lshl_add_u64 v[32:33], v[32:33], 0, s[18:19]
	global_load_dwordx2 v[48:49], v[28:29], off
	global_load_dwordx2 v[50:51], v[32:33], off
	;; [unrolled: 4-line block ×3, first 2 shown]
	v_lshl_add_u64 v[28:29], v[28:29], 0, s[18:19]
	global_load_dwordx2 v[56:57], v[28:29], off
	v_lshl_add_u64 v[32:33], v[32:33], 0, s[18:19]
	global_load_dwordx2 v[58:59], v[32:33], off
	v_lshl_add_u64 v[28:29], v[28:29], 0, s[18:19]
	v_lshl_add_u64 v[32:33], v[32:33], 0, s[18:19]
	global_load_dwordx2 v[60:61], v[28:29], off
	global_load_dwordx2 v[62:63], v[32:33], off
	s_waitcnt vmcnt(17)
	ds_bpermute_b32 v28, v19, v14
	ds_bpermute_b32 v29, v19, v15
	s_waitcnt vmcnt(16)
	ds_bpermute_b32 v32, v19, v10
	ds_bpermute_b32 v33, v19, v11
	s_add_u32 s20, s20, s22
	s_addc_u32 s21, s21, 0
	v_cmp_lt_i64_e32 vcc, s[20:21], v[8:9]
	v_lshl_add_u64 v[2:3], v[2:3], 0, s[24:25]
	v_lshl_add_u64 v[0:1], v[0:1], 0, s[22:23]
	v_lshl_add_u64 v[6:7], v[6:7], 0, s[26:27]
	s_and_b64 vcc, exec, vcc
	s_waitcnt vmcnt(15) lgkmcnt(2)
	v_add_f64 v[28:29], v[30:31], -v[28:29]
	ds_bpermute_b32 v30, v20, v14
	ds_bpermute_b32 v31, v20, v15
	s_waitcnt vmcnt(14)
	v_mul_f64 v[28:29], v[34:35], v[28:29]
	s_waitcnt lgkmcnt(2)
	v_fmac_f64_e32 v[4:5], v[28:29], v[32:33]
	ds_bpermute_b32 v28, v20, v10
	ds_bpermute_b32 v29, v20, v11
	s_waitcnt vmcnt(13) lgkmcnt(2)
	v_add_f64 v[30:31], v[36:37], -v[30:31]
	ds_bpermute_b32 v36, v21, v14
	ds_bpermute_b32 v37, v21, v15
	;; [unrolled: 1-line block ×4, first 2 shown]
	s_waitcnt vmcnt(12)
	v_mul_f64 v[30:31], v[38:39], v[30:31]
	s_waitcnt lgkmcnt(4)
	v_fmac_f64_e32 v[4:5], v[30:31], v[28:29]
	ds_bpermute_b32 v28, v22, v14
	ds_bpermute_b32 v29, v22, v15
	s_waitcnt vmcnt(11) lgkmcnt(4)
	v_add_f64 v[36:37], v[40:41], -v[36:37]
	ds_bpermute_b32 v30, v23, v14
	ds_bpermute_b32 v31, v23, v15
	s_waitcnt vmcnt(10)
	v_mul_f64 v[36:37], v[42:43], v[36:37]
	ds_bpermute_b32 v40, v24, v14
	ds_bpermute_b32 v41, v24, v15
	s_waitcnt lgkmcnt(6)
	v_fmac_f64_e32 v[4:5], v[36:37], v[32:33]
	ds_bpermute_b32 v36, v22, v10
	ds_bpermute_b32 v37, v22, v11
	;; [unrolled: 1-line block ×4, first 2 shown]
	v_add_f64 v[12:13], v[12:13], v[34:35]
	ds_bpermute_b32 v34, v23, v10
	ds_bpermute_b32 v35, v23, v11
	;; [unrolled: 1-line block ×4, first 2 shown]
	v_add_f64 v[12:13], v[12:13], v[38:39]
	ds_bpermute_b32 v38, v24, v10
	ds_bpermute_b32 v39, v24, v11
	v_add_f64 v[12:13], v[12:13], v[42:43]
	ds_bpermute_b32 v42, v25, v10
	ds_bpermute_b32 v43, v25, v11
	s_waitcnt vmcnt(9) lgkmcnt(14)
	v_add_f64 v[28:29], v[44:45], -v[28:29]
	ds_bpermute_b32 v10, v26, v10
	s_waitcnt vmcnt(8)
	v_mul_f64 v[28:29], v[46:47], v[28:29]
	s_waitcnt vmcnt(7)
	v_add_f64 v[30:31], v[48:49], -v[30:31]
	ds_bpermute_b32 v11, v26, v11
	v_add_f64 v[12:13], v[12:13], v[46:47]
	s_waitcnt lgkmcnt(12)
	v_fmac_f64_e32 v[4:5], v[28:29], v[36:37]
	s_waitcnt vmcnt(6)
	v_mul_f64 v[28:29], v[50:51], v[30:31]
	s_waitcnt vmcnt(5)
	v_add_f64 v[30:31], v[52:53], -v[40:41]
	v_add_f64 v[12:13], v[12:13], v[50:51]
	s_waitcnt lgkmcnt(8)
	v_fmac_f64_e32 v[4:5], v[28:29], v[34:35]
	s_waitcnt vmcnt(4)
	v_mul_f64 v[28:29], v[54:55], v[30:31]
	s_waitcnt vmcnt(3)
	v_add_f64 v[30:31], v[56:57], -v[32:33]
	;; [unrolled: 7-line block ×3, first 2 shown]
	s_waitcnt lgkmcnt(2)
	v_fmac_f64_e32 v[4:5], v[28:29], v[42:43]
	v_add_f64 v[12:13], v[12:13], v[58:59]
	s_waitcnt vmcnt(0)
	v_mul_f64 v[14:15], v[62:63], v[14:15]
	s_waitcnt lgkmcnt(0)
	v_fmac_f64_e32 v[4:5], v[14:15], v[10:11]
	v_add_f64 v[12:13], v[12:13], v[62:63]
	s_cbranch_vccz .LBB31_10
.LBB31_7:                               ; =>This Inner Loop Header: Depth=1
	v_mov_b64_e32 v[10:11], 0
	v_mov_b64_e32 v[14:15], 0
	s_and_saveexec_b64 s[28:29], s[0:1]
	s_cbranch_execz .LBB31_6
; %bb.8:                                ;   in Loop: Header=BB31_7 Depth=1
	v_cmp_gt_i64_e32 vcc, s[16:17], v[0:1]
	v_mov_b64_e32 v[14:15], 0
	v_mov_b64_e32 v[10:11], 0
	s_and_saveexec_b64 s[30:31], vcc
	s_cbranch_execz .LBB31_5
; %bb.9:                                ;   in Loop: Header=BB31_7 Depth=1
	v_lshl_add_u64 v[30:31], s[8:9], 0, v[2:3]
	v_lshl_add_u64 v[28:29], s[10:11], 0, v[2:3]
	global_load_dwordx2 v[14:15], v[30:31], off
	global_load_dwordx2 v[10:11], v[28:29], off
	s_branch .LBB31_5
.LBB31_10:
	v_mov_b32_e32 v1, v18
.LBB31_11:
	s_movk_i32 s0, 0x41
	v_mad_u32_u24 v0, v1, s0, v16
	v_lshl_add_u32 v0, v0, 3, 0
	ds_write_b64 v0, v[4:5]
	ds_write_b64 v0, v[12:13] offset:4160
	v_lshrrev_b32_e32 v0, 6, v16
	v_add_u32_e32 v0, v0, v1
	v_cmp_gt_u32_e32 vcc, 64, v0
	s_waitcnt lgkmcnt(0)
	s_barrier
	s_and_saveexec_b64 s[0:1], vcc
	s_cbranch_execz .LBB31_75
; %bb.12:
	v_and_b32_e32 v1, 63, v16
	v_cmp_gt_u32_e64 s[0:1], 8, v1
	v_mul_u32_u24_e32 v8, 0x41, v1
                                        ; implicit-def: $vgpr2_vgpr3
                                        ; implicit-def: $vgpr4_vgpr5
	s_and_saveexec_b64 s[4:5], s[0:1]
	s_cbranch_execz .LBB31_14
; %bb.13:
	v_add_u32_e32 v1, v0, v8
	v_lshl_add_u32 v1, v1, 3, 0
	ds_read_b64 v[4:5], v1
	ds_read_b64 v[2:3], v1 offset:4160
.LBB31_14:
	s_or_b64 exec, exec, s[4:5]
	v_mbcnt_hi_u32_b32 v1, -1, v17
	v_and_b32_e32 v6, 64, v1
	v_add_u32_e32 v14, 64, v6
	v_xor_b32_e32 v6, 4, v1
	v_cmp_lt_i32_e32 vcc, v6, v14
	s_mov_b32 s3, 0
	s_lshl_b64 s[4:5], s[2:3], 6
	v_cndmask_b32_e32 v6, v1, v6, vcc
	v_lshlrev_b32_e32 v9, 2, v6
	s_waitcnt lgkmcnt(1)
	ds_bpermute_b32 v6, v9, v4
	ds_bpermute_b32 v7, v9, v5
	s_waitcnt lgkmcnt(2)
	ds_bpermute_b32 v10, v9, v2
	ds_bpermute_b32 v11, v9, v3
	s_cmp_lg_u64 s[12:13], 0
	s_cselect_b64 s[8:9], -1, 0
	s_waitcnt lgkmcnt(2)
	v_add_f64 v[4:5], v[4:5], v[6:7]
	v_xor_b32_e32 v6, 2, v1
	v_cmp_lt_i32_e32 vcc, v6, v14
	s_waitcnt lgkmcnt(0)
	v_add_f64 v[2:3], v[2:3], v[10:11]
	s_cmp_lg_u64 s[14:15], 0
	v_cndmask_b32_e32 v6, v1, v6, vcc
	v_lshlrev_b32_e32 v10, 2, v6
	ds_bpermute_b32 v6, v10, v4
	ds_bpermute_b32 v7, v10, v5
	;; [unrolled: 1-line block ×4, first 2 shown]
	v_cmp_eq_u32_e64 s[2:3], 0, v16
	s_cselect_b64 s[6:7], -1, 0
	s_waitcnt lgkmcnt(2)
	v_add_f64 v[4:5], v[4:5], v[6:7]
	s_waitcnt lgkmcnt(0)
	v_add_f64 v[6:7], v[2:3], v[12:13]
	v_xor_b32_e32 v2, 1, v1
	v_cmp_lt_i32_e32 vcc, v2, v14
	s_nop 1
	v_cndmask_b32_e32 v1, v1, v2, vcc
	v_lshlrev_b32_e32 v11, 2, v1
	ds_bpermute_b32 v2, v11, v4
	ds_bpermute_b32 v3, v11, v5
	;; [unrolled: 1-line block ×4, first 2 shown]
	v_mov_b32_e32 v1, 0
	s_waitcnt lgkmcnt(2)
	v_add_f64 v[2:3], v[4:5], v[2:3]
	s_waitcnt lgkmcnt(0)
	v_add_f64 v[4:5], v[6:7], v[12:13]
	s_and_saveexec_b64 s[10:11], s[2:3]
	s_cbranch_execz .LBB31_19
; %bb.15:
	v_mov_b32_e32 v7, s5
	s_andn2_b64 vcc, exec, s[8:9]
	v_or_b32_e32 v6, s4, v0
	s_cbranch_vccnz .LBB31_17
; %bb.16:
	v_lshl_add_u64 v[12:13], v[6:7], 3, s[12:13]
	global_store_dwordx2 v[12:13], v[2:3], off
.LBB31_17:
	s_andn2_b64 vcc, exec, s[6:7]
	s_cbranch_vccnz .LBB31_19
; %bb.18:
	v_lshl_add_u64 v[6:7], v[6:7], 3, s[14:15]
	global_store_dwordx2 v[6:7], v[4:5], off
.LBB31_19:
	s_or_b64 exec, exec, s[10:11]
	v_cmp_gt_u32_e32 vcc, 56, v0
	s_and_b64 exec, exec, vcc
	s_cbranch_execz .LBB31_75
; %bb.20:
	s_and_saveexec_b64 s[10:11], s[0:1]
	s_cbranch_execz .LBB31_22
; %bb.21:
	v_add_u32_e32 v2, v0, v8
	v_lshl_add_u32 v4, v2, 3, 0
	ds_read_b64 v[2:3], v4 offset:64
	ds_read_b64 v[4:5], v4 offset:4224
.LBB31_22:
	s_or_b64 exec, exec, s[10:11]
	s_waitcnt lgkmcnt(1)
	ds_bpermute_b32 v6, v9, v2
	ds_bpermute_b32 v7, v9, v3
	s_waitcnt lgkmcnt(2)
	ds_bpermute_b32 v12, v9, v4
	ds_bpermute_b32 v13, v9, v5
	s_waitcnt lgkmcnt(2)
	v_add_f64 v[2:3], v[2:3], v[6:7]
	ds_bpermute_b32 v6, v10, v2
	s_waitcnt lgkmcnt(1)
	v_add_f64 v[4:5], v[4:5], v[12:13]
	ds_bpermute_b32 v7, v10, v3
	ds_bpermute_b32 v12, v10, v4
	ds_bpermute_b32 v13, v10, v5
	s_waitcnt lgkmcnt(2)
	v_add_f64 v[2:3], v[2:3], v[6:7]
	ds_bpermute_b32 v6, v11, v2
	s_waitcnt lgkmcnt(1)
	v_add_f64 v[4:5], v[4:5], v[12:13]
	ds_bpermute_b32 v7, v11, v3
	ds_bpermute_b32 v12, v11, v4
	ds_bpermute_b32 v13, v11, v5
	s_waitcnt lgkmcnt(2)
	v_add_f64 v[2:3], v[2:3], v[6:7]
	s_waitcnt lgkmcnt(0)
	v_add_f64 v[4:5], v[4:5], v[12:13]
	s_and_saveexec_b64 s[10:11], s[2:3]
	s_cbranch_execz .LBB31_27
; %bb.23:
	s_andn2_b64 vcc, exec, s[8:9]
	s_cbranch_vccnz .LBB31_25
; %bb.24:
	v_lshl_add_u64 v[6:7], s[4:5], 0, v[0:1]
	v_lshl_add_u64 v[6:7], v[6:7], 3, s[12:13]
	global_store_dwordx2 v[6:7], v[2:3], off offset:64
.LBB31_25:
	s_andn2_b64 vcc, exec, s[6:7]
	s_cbranch_vccnz .LBB31_27
; %bb.26:
	v_lshl_add_u64 v[6:7], s[4:5], 0, v[0:1]
	v_lshl_add_u64 v[6:7], v[6:7], 3, s[14:15]
	global_store_dwordx2 v[6:7], v[4:5], off offset:64
.LBB31_27:
	s_or_b64 exec, exec, s[10:11]
	v_cmp_gt_u32_e32 vcc, 48, v0
	s_and_b64 exec, exec, vcc
	s_cbranch_execz .LBB31_75
; %bb.28:
	s_and_saveexec_b64 s[10:11], s[0:1]
	s_cbranch_execz .LBB31_30
; %bb.29:
	v_add_u32_e32 v2, v0, v8
	v_lshl_add_u32 v4, v2, 3, 0
	ds_read_b64 v[2:3], v4 offset:128
	ds_read_b64 v[4:5], v4 offset:4288
.LBB31_30:
	s_or_b64 exec, exec, s[10:11]
	s_waitcnt lgkmcnt(1)
	ds_bpermute_b32 v6, v9, v2
	ds_bpermute_b32 v7, v9, v3
	s_waitcnt lgkmcnt(2)
	ds_bpermute_b32 v12, v9, v4
	ds_bpermute_b32 v13, v9, v5
	s_waitcnt lgkmcnt(2)
	v_add_f64 v[2:3], v[2:3], v[6:7]
	ds_bpermute_b32 v6, v10, v2
	s_waitcnt lgkmcnt(1)
	v_add_f64 v[4:5], v[4:5], v[12:13]
	ds_bpermute_b32 v7, v10, v3
	ds_bpermute_b32 v12, v10, v4
	ds_bpermute_b32 v13, v10, v5
	s_waitcnt lgkmcnt(2)
	v_add_f64 v[2:3], v[2:3], v[6:7]
	ds_bpermute_b32 v6, v11, v2
	s_waitcnt lgkmcnt(1)
	v_add_f64 v[4:5], v[4:5], v[12:13]
	ds_bpermute_b32 v7, v11, v3
	ds_bpermute_b32 v12, v11, v4
	ds_bpermute_b32 v13, v11, v5
	s_waitcnt lgkmcnt(2)
	v_add_f64 v[2:3], v[2:3], v[6:7]
	s_waitcnt lgkmcnt(0)
	v_add_f64 v[4:5], v[4:5], v[12:13]
	s_and_saveexec_b64 s[10:11], s[2:3]
	s_cbranch_execz .LBB31_35
; %bb.31:
	s_andn2_b64 vcc, exec, s[8:9]
	s_cbranch_vccnz .LBB31_33
; %bb.32:
	v_lshl_add_u64 v[6:7], s[4:5], 0, v[0:1]
	v_lshl_add_u64 v[6:7], v[6:7], 3, s[12:13]
	global_store_dwordx2 v[6:7], v[2:3], off offset:128
.LBB31_33:
	s_andn2_b64 vcc, exec, s[6:7]
	s_cbranch_vccnz .LBB31_35
; %bb.34:
	v_lshl_add_u64 v[6:7], s[4:5], 0, v[0:1]
	v_lshl_add_u64 v[6:7], v[6:7], 3, s[14:15]
	global_store_dwordx2 v[6:7], v[4:5], off offset:128
.LBB31_35:
	;; [unrolled: 57-line block ×6, first 2 shown]
	s_or_b64 exec, exec, s[10:11]
	v_cmp_gt_u32_e32 vcc, 8, v0
	s_and_b64 exec, exec, vcc
	s_cbranch_execz .LBB31_75
; %bb.68:
	s_and_saveexec_b64 s[10:11], s[0:1]
	s_cbranch_execz .LBB31_70
; %bb.69:
	v_add_u32_e32 v2, v0, v8
	v_lshl_add_u32 v4, v2, 3, 0
	ds_read_b64 v[2:3], v4 offset:448
	ds_read_b64 v[4:5], v4 offset:4608
.LBB31_70:
	s_or_b64 exec, exec, s[10:11]
	s_waitcnt lgkmcnt(1)
	ds_bpermute_b32 v6, v9, v2
	ds_bpermute_b32 v7, v9, v3
	s_waitcnt lgkmcnt(2)
	ds_bpermute_b32 v8, v9, v4
	ds_bpermute_b32 v9, v9, v5
	s_waitcnt lgkmcnt(2)
	v_add_f64 v[2:3], v[2:3], v[6:7]
	ds_bpermute_b32 v6, v10, v2
	s_waitcnt lgkmcnt(1)
	v_add_f64 v[4:5], v[4:5], v[8:9]
	ds_bpermute_b32 v7, v10, v3
	ds_bpermute_b32 v8, v10, v4
	ds_bpermute_b32 v9, v10, v5
	s_waitcnt lgkmcnt(2)
	v_add_f64 v[6:7], v[2:3], v[6:7]
	s_waitcnt lgkmcnt(0)
	v_add_f64 v[2:3], v[4:5], v[8:9]
	ds_bpermute_b32 v8, v11, v6
	ds_bpermute_b32 v9, v11, v7
	ds_bpermute_b32 v4, v11, v2
	ds_bpermute_b32 v5, v11, v3
	s_and_b64 exec, exec, s[2:3]
	s_cbranch_execz .LBB31_75
; %bb.71:
	s_andn2_b64 vcc, exec, s[8:9]
	v_lshl_add_u64 v[0:1], s[4:5], 0, v[0:1]
	s_cbranch_vccnz .LBB31_73
; %bb.72:
	s_waitcnt lgkmcnt(2)
	v_add_f64 v[6:7], v[6:7], v[8:9]
	v_lshl_add_u64 v[8:9], v[0:1], 3, s[12:13]
	global_store_dwordx2 v[8:9], v[6:7], off offset:448
.LBB31_73:
	s_andn2_b64 vcc, exec, s[6:7]
	s_cbranch_vccnz .LBB31_75
; %bb.74:
	s_waitcnt lgkmcnt(0)
	v_add_f64 v[2:3], v[2:3], v[4:5]
	v_lshl_add_u64 v[0:1], v[0:1], 3, s[14:15]
	global_store_dwordx2 v[0:1], v[2:3], off offset:448
.LBB31_75:
	s_endpgm
	.section	.rodata,"a",@progbits
	.p2align	6, 0x0
	.amdhsa_kernel _ZN2at6native12_GLOBAL__N_135GammaBetaBackwardCUDAKernelTemplateIddLj64ELj8ELj64ELb0ELb1ELb0EEEvllPKT_S5_PKT0_S8_PS3_S9_
		.amdhsa_group_segment_fixed_size 0
		.amdhsa_private_segment_fixed_size 0
		.amdhsa_kernarg_size 320
		.amdhsa_user_sgpr_count 2
		.amdhsa_user_sgpr_dispatch_ptr 0
		.amdhsa_user_sgpr_queue_ptr 0
		.amdhsa_user_sgpr_kernarg_segment_ptr 1
		.amdhsa_user_sgpr_dispatch_id 0
		.amdhsa_user_sgpr_kernarg_preload_length 0
		.amdhsa_user_sgpr_kernarg_preload_offset 0
		.amdhsa_user_sgpr_private_segment_size 0
		.amdhsa_uses_dynamic_stack 0
		.amdhsa_enable_private_segment 0
		.amdhsa_system_sgpr_workgroup_id_x 1
		.amdhsa_system_sgpr_workgroup_id_y 1
		.amdhsa_system_sgpr_workgroup_id_z 0
		.amdhsa_system_sgpr_workgroup_info 0
		.amdhsa_system_vgpr_workitem_id 1
		.amdhsa_next_free_vgpr 64
		.amdhsa_next_free_sgpr 32
		.amdhsa_accum_offset 64
		.amdhsa_reserve_vcc 1
		.amdhsa_float_round_mode_32 0
		.amdhsa_float_round_mode_16_64 0
		.amdhsa_float_denorm_mode_32 3
		.amdhsa_float_denorm_mode_16_64 3
		.amdhsa_dx10_clamp 1
		.amdhsa_ieee_mode 1
		.amdhsa_fp16_overflow 0
		.amdhsa_tg_split 0
		.amdhsa_exception_fp_ieee_invalid_op 0
		.amdhsa_exception_fp_denorm_src 0
		.amdhsa_exception_fp_ieee_div_zero 0
		.amdhsa_exception_fp_ieee_overflow 0
		.amdhsa_exception_fp_ieee_underflow 0
		.amdhsa_exception_fp_ieee_inexact 0
		.amdhsa_exception_int_div_zero 0
	.end_amdhsa_kernel
	.section	.text._ZN2at6native12_GLOBAL__N_135GammaBetaBackwardCUDAKernelTemplateIddLj64ELj8ELj64ELb0ELb1ELb0EEEvllPKT_S5_PKT0_S8_PS3_S9_,"axG",@progbits,_ZN2at6native12_GLOBAL__N_135GammaBetaBackwardCUDAKernelTemplateIddLj64ELj8ELj64ELb0ELb1ELb0EEEvllPKT_S5_PKT0_S8_PS3_S9_,comdat
.Lfunc_end31:
	.size	_ZN2at6native12_GLOBAL__N_135GammaBetaBackwardCUDAKernelTemplateIddLj64ELj8ELj64ELb0ELb1ELb0EEEvllPKT_S5_PKT0_S8_PS3_S9_, .Lfunc_end31-_ZN2at6native12_GLOBAL__N_135GammaBetaBackwardCUDAKernelTemplateIddLj64ELj8ELj64ELb0ELb1ELb0EEEvllPKT_S5_PKT0_S8_PS3_S9_
                                        ; -- End function
	.set _ZN2at6native12_GLOBAL__N_135GammaBetaBackwardCUDAKernelTemplateIddLj64ELj8ELj64ELb0ELb1ELb0EEEvllPKT_S5_PKT0_S8_PS3_S9_.num_vgpr, 64
	.set _ZN2at6native12_GLOBAL__N_135GammaBetaBackwardCUDAKernelTemplateIddLj64ELj8ELj64ELb0ELb1ELb0EEEvllPKT_S5_PKT0_S8_PS3_S9_.num_agpr, 0
	.set _ZN2at6native12_GLOBAL__N_135GammaBetaBackwardCUDAKernelTemplateIddLj64ELj8ELj64ELb0ELb1ELb0EEEvllPKT_S5_PKT0_S8_PS3_S9_.numbered_sgpr, 32
	.set _ZN2at6native12_GLOBAL__N_135GammaBetaBackwardCUDAKernelTemplateIddLj64ELj8ELj64ELb0ELb1ELb0EEEvllPKT_S5_PKT0_S8_PS3_S9_.num_named_barrier, 0
	.set _ZN2at6native12_GLOBAL__N_135GammaBetaBackwardCUDAKernelTemplateIddLj64ELj8ELj64ELb0ELb1ELb0EEEvllPKT_S5_PKT0_S8_PS3_S9_.private_seg_size, 0
	.set _ZN2at6native12_GLOBAL__N_135GammaBetaBackwardCUDAKernelTemplateIddLj64ELj8ELj64ELb0ELb1ELb0EEEvllPKT_S5_PKT0_S8_PS3_S9_.uses_vcc, 1
	.set _ZN2at6native12_GLOBAL__N_135GammaBetaBackwardCUDAKernelTemplateIddLj64ELj8ELj64ELb0ELb1ELb0EEEvllPKT_S5_PKT0_S8_PS3_S9_.uses_flat_scratch, 0
	.set _ZN2at6native12_GLOBAL__N_135GammaBetaBackwardCUDAKernelTemplateIddLj64ELj8ELj64ELb0ELb1ELb0EEEvllPKT_S5_PKT0_S8_PS3_S9_.has_dyn_sized_stack, 0
	.set _ZN2at6native12_GLOBAL__N_135GammaBetaBackwardCUDAKernelTemplateIddLj64ELj8ELj64ELb0ELb1ELb0EEEvllPKT_S5_PKT0_S8_PS3_S9_.has_recursion, 0
	.set _ZN2at6native12_GLOBAL__N_135GammaBetaBackwardCUDAKernelTemplateIddLj64ELj8ELj64ELb0ELb1ELb0EEEvllPKT_S5_PKT0_S8_PS3_S9_.has_indirect_call, 0
	.section	.AMDGPU.csdata,"",@progbits
; Kernel info:
; codeLenInByte = 3912
; TotalNumSgprs: 38
; NumVgprs: 64
; NumAgprs: 0
; TotalNumVgprs: 64
; ScratchSize: 0
; MemoryBound: 0
; FloatMode: 240
; IeeeMode: 1
; LDSByteSize: 0 bytes/workgroup (compile time only)
; SGPRBlocks: 4
; VGPRBlocks: 7
; NumSGPRsForWavesPerEU: 38
; NumVGPRsForWavesPerEU: 64
; AccumOffset: 64
; Occupancy: 8
; WaveLimiterHint : 0
; COMPUTE_PGM_RSRC2:SCRATCH_EN: 0
; COMPUTE_PGM_RSRC2:USER_SGPR: 2
; COMPUTE_PGM_RSRC2:TRAP_HANDLER: 0
; COMPUTE_PGM_RSRC2:TGID_X_EN: 1
; COMPUTE_PGM_RSRC2:TGID_Y_EN: 1
; COMPUTE_PGM_RSRC2:TGID_Z_EN: 0
; COMPUTE_PGM_RSRC2:TIDIG_COMP_CNT: 1
; COMPUTE_PGM_RSRC3_GFX90A:ACCUM_OFFSET: 15
; COMPUTE_PGM_RSRC3_GFX90A:TG_SPLIT: 0
	.section	.text._ZN2at6native12_GLOBAL__N_135GammaBetaBackwardCUDAKernelTemplateIddLj64ELj8ELj64ELb0ELb0ELb0EEEvllPKT_S5_PKT0_S8_PS3_S9_,"axG",@progbits,_ZN2at6native12_GLOBAL__N_135GammaBetaBackwardCUDAKernelTemplateIddLj64ELj8ELj64ELb0ELb0ELb0EEEvllPKT_S5_PKT0_S8_PS3_S9_,comdat
	.globl	_ZN2at6native12_GLOBAL__N_135GammaBetaBackwardCUDAKernelTemplateIddLj64ELj8ELj64ELb0ELb0ELb0EEEvllPKT_S5_PKT0_S8_PS3_S9_ ; -- Begin function _ZN2at6native12_GLOBAL__N_135GammaBetaBackwardCUDAKernelTemplateIddLj64ELj8ELj64ELb0ELb0ELb0EEEvllPKT_S5_PKT0_S8_PS3_S9_
	.p2align	8
	.type	_ZN2at6native12_GLOBAL__N_135GammaBetaBackwardCUDAKernelTemplateIddLj64ELj8ELj64ELb0ELb0ELb0EEEvllPKT_S5_PKT0_S8_PS3_S9_,@function
_ZN2at6native12_GLOBAL__N_135GammaBetaBackwardCUDAKernelTemplateIddLj64ELj8ELj64ELb0ELb0ELb0EEEvllPKT_S5_PKT0_S8_PS3_S9_: ; @_ZN2at6native12_GLOBAL__N_135GammaBetaBackwardCUDAKernelTemplateIddLj64ELj8ELj64ELb0ELb0ELb0EEEvllPKT_S5_PKT0_S8_PS3_S9_
; %bb.0:
	s_load_dwordx8 s[8:15], s[0:1], 0x0
	s_load_dwordx4 s[16:19], s[0:1], 0x20
	s_lshl_b32 s33, s2, 6
	s_or_b32 s4, s33, 63
	s_mov_b32 s21, 0
	v_mov_b32_e32 v2, s4
	v_mov_b32_e32 v3, 0
	s_lshl_b32 s20, s3, 6
	s_waitcnt lgkmcnt(0)
	v_cmp_le_i64_e32 vcc, s[10:11], v[2:3]
	v_mov_b64_e32 v[2:3], s[20:21]
	v_cmp_gt_i64_e64 s[4:5], s[8:9], v[2:3]
	s_nop 1
	v_cndmask_b32_e64 v1, 0, 1, s[4:5]
	v_cmp_ne_u32_e64 s[4:5], 1, v1
	s_cbranch_vccz .LBB32_49
; %bb.1:
	v_mov_b64_e32 v[36:37], 0
	s_and_b64 vcc, exec, s[4:5]
	v_mov_b64_e32 v[38:39], 0
	s_cbranch_vccnz .LBB32_50
; %bb.2:
	v_and_b32_e32 v1, 0x3ff, v0
	v_mov_b32_e32 v2, 0
	v_bfe_u32 v84, v0, 10, 10
	v_add_u32_e32 v4, s33, v1
	v_mov_b32_e32 v5, v2
	v_lshlrev_b32_e32 v40, 3, v84
	v_mov_b32_e32 v41, v2
	v_cmp_gt_i64_e64 s[6:7], s[10:11], v[4:5]
	v_lshlrev_b64 v[42:43], 3, v[4:5]
	v_lshl_add_u64 v[4:5], v[40:41], 0, s[20:21]
	v_mul_lo_u32 v3, s11, v4
	v_mul_lo_u32 v8, s10, v5
	v_mad_u64_u32 v[6:7], s[24:25], s10, v4, 0
	v_add3_u32 v7, v7, v8, v3
	v_lshlrev_b64 v[6:7], 3, v[6:7]
	v_lshl_add_u64 v[44:45], s[12:13], 0, v[6:7]
	v_lshl_add_u64 v[46:47], s[14:15], 0, v[6:7]
	v_lshl_add_u64 v[6:7], v[4:5], 0, 7
	v_mul_lo_u32 v9, s11, v6
	v_mul_lo_u32 v10, s10, v7
	v_mad_u64_u32 v[6:7], s[26:27], s10, v6, 0
	v_add3_u32 v7, v7, v10, v9
	v_lshlrev_b64 v[6:7], 3, v[6:7]
	v_lshl_add_u64 v[48:49], s[12:13], 0, v[6:7]
	v_lshl_add_u64 v[50:51], s[14:15], 0, v[6:7]
	v_lshl_add_u64 v[6:7], v[4:5], 0, 6
	v_mul_lo_u32 v9, s11, v6
	v_mul_lo_u32 v10, s10, v7
	v_mad_u64_u32 v[6:7], s[26:27], s10, v6, 0
	v_add3_u32 v7, v7, v10, v9
	v_lshlrev_b64 v[6:7], 3, v[6:7]
	v_lshl_add_u64 v[52:53], s[12:13], 0, v[6:7]
	v_lshl_add_u64 v[54:55], s[14:15], 0, v[6:7]
	v_lshl_add_u64 v[6:7], v[4:5], 0, 5
	v_mul_lo_u32 v9, s11, v6
	v_mul_lo_u32 v10, s10, v7
	v_mad_u64_u32 v[6:7], s[26:27], s10, v6, 0
	v_add3_u32 v7, v7, v10, v9
	v_lshlrev_b64 v[6:7], 3, v[6:7]
	v_lshl_add_u64 v[56:57], s[12:13], 0, v[6:7]
	v_lshl_add_u64 v[58:59], s[14:15], 0, v[6:7]
	v_lshl_add_u64 v[6:7], v[4:5], 0, 4
	v_mul_lo_u32 v9, s11, v6
	v_mul_lo_u32 v10, s10, v7
	v_mad_u64_u32 v[6:7], s[26:27], s10, v6, 0
	v_add3_u32 v7, v7, v10, v9
	v_lshlrev_b64 v[6:7], 3, v[6:7]
	v_lshl_add_u64 v[60:61], s[12:13], 0, v[6:7]
	v_lshl_add_u64 v[62:63], s[14:15], 0, v[6:7]
	v_lshl_add_u64 v[6:7], v[4:5], 0, 3
	v_mul_lo_u32 v9, s11, v6
	v_mul_lo_u32 v10, s10, v7
	v_mad_u64_u32 v[6:7], s[26:27], s10, v6, 0
	v_add3_u32 v7, v7, v10, v9
	s_load_dword s3, s[0:1], 0x44
	v_lshlrev_b64 v[6:7], 3, v[6:7]
	v_lshl_add_u64 v[64:65], s[12:13], 0, v[6:7]
	v_lshl_add_u64 v[66:67], s[14:15], 0, v[6:7]
	;; [unrolled: 1-line block ×3, first 2 shown]
	v_mul_lo_u32 v5, s11, v6
	v_mul_lo_u32 v9, s10, v7
	v_mad_u64_u32 v[6:7], s[26:27], s10, v6, 0
	v_add3_u32 v7, v7, v9, v5
	s_add_u32 s22, s0, 64
	v_lshlrev_b64 v[6:7], 3, v[6:7]
	s_addc_u32 s23, s1, 0
	s_waitcnt lgkmcnt(0)
	s_lshl_b32 s3, s3, 6
	v_lshl_add_u64 v[68:69], s[12:13], 0, v[6:7]
	v_lshl_add_u64 v[70:71], s[14:15], 0, v[6:7]
	v_mov_b64_e32 v[6:7], s[10:11]
	s_mul_i32 s24, s11, s3
	s_mul_hi_u32 s25, s10, s3
	v_mad_u64_u32 v[4:5], s[26:27], s10, v4, v[6:7]
	s_add_i32 s25, s25, s24
	s_mul_i32 s24, s10, s3
	v_add3_u32 v5, v3, v5, v8
	v_mbcnt_lo_u32_b32 v3, -1, 0
	s_lshl_b64 s[24:25], s[24:25], 3
	v_mbcnt_hi_u32_b32 v3, -1, v3
	v_lshlrev_b64 v[4:5], 3, v[4:5]
	s_add_u32 s26, s20, 63
	s_movk_i32 s28, 0xffc1
	s_movk_i32 s30, 0xffc2
	;; [unrolled: 1-line block ×8, first 2 shown]
	v_lshlrev_b32_e32 v3, 2, v3
	v_lshl_add_u64 v[72:73], s[12:13], 0, v[4:5]
	v_lshl_add_u64 v[74:75], s[14:15], 0, v[4:5]
	s_addc_u32 s27, 0, 0
	v_mov_b64_e32 v[76:77], 0
	s_mov_b32 s29, -1
	s_mov_b32 s31, -1
	;; [unrolled: 1-line block ×8, first 2 shown]
	v_and_b32_e32 v85, 0x100, v3
	v_mov_b64_e32 v[36:37], 0
	s_mov_b64 s[46:47], s[20:21]
.LBB32_3:                               ; =>This Inner Loop Header: Depth=1
	v_mov_b64_e32 v[4:5], s[8:9]
	v_cmp_ge_i64_e32 vcc, s[26:27], v[4:5]
	v_lshl_add_u64 v[78:79], v[40:41], 0, s[26:27]
	s_mov_b64 s[48:49], -1
	s_and_b64 vcc, exec, vcc
                                        ; implicit-def: $vgpr4_vgpr5_vgpr6_vgpr7_vgpr8_vgpr9_vgpr10_vgpr11_vgpr12_vgpr13_vgpr14_vgpr15_vgpr16_vgpr17_vgpr18_vgpr19
                                        ; implicit-def: $vgpr82_vgpr83
                                        ; implicit-def: $vgpr20_vgpr21_vgpr22_vgpr23_vgpr24_vgpr25_vgpr26_vgpr27_vgpr28_vgpr29_vgpr30_vgpr31_vgpr32_vgpr33_vgpr34_vgpr35
                                        ; implicit-def: $vgpr4
                                        ; implicit-def: $vgpr6_vgpr7
                                        ; implicit-def: $vgpr38_vgpr39
	s_cbranch_vccz .LBB32_25
; %bb.4:                                ;   in Loop: Header=BB32_3 Depth=1
	s_load_dword s48, s[22:23], 0xc
	v_mov_b64_e32 v[82:83], 0
	v_mov_b64_e32 v[80:81], 0
	s_waitcnt lgkmcnt(0)
	s_and_b32 s48, s48, 0xffff
	v_mad_u32_u24 v3, v84, s48, v1
	v_and_b32_e32 v4, 63, v3
	v_cmp_gt_u32_e32 vcc, 8, v4
	s_and_saveexec_b64 s[48:49], vcc
	s_cbranch_execz .LBB32_8
; %bb.5:                                ;   in Loop: Header=BB32_3 Depth=1
	v_mov_b32_e32 v5, v2
	v_lshl_add_u64 v[4:5], v[78:79], 0, v[4:5]
	v_lshl_add_u64 v[4:5], v[4:5], 0, s[28:29]
	v_cmp_gt_i64_e32 vcc, s[8:9], v[4:5]
	v_mov_b64_e32 v[80:81], 0
	v_mov_b64_e32 v[82:83], 0
	s_and_saveexec_b64 s[50:51], vcc
	s_cbranch_execz .LBB32_7
; %bb.6:                                ;   in Loop: Header=BB32_3 Depth=1
	v_lshlrev_b64 v[4:5], 3, v[4:5]
	v_lshl_add_u64 v[6:7], s[18:19], 0, v[4:5]
	v_lshl_add_u64 v[4:5], s[16:17], 0, v[4:5]
	global_load_dwordx2 v[80:81], v[4:5], off
	global_load_dwordx2 v[82:83], v[6:7], off
.LBB32_7:                               ;   in Loop: Header=BB32_3 Depth=1
	s_or_b64 exec, exec, s[50:51]
.LBB32_8:                               ;   in Loop: Header=BB32_3 Depth=1
	s_or_b64 exec, exec, s[48:49]
	v_lshl_add_u64 v[4:5], v[78:79], 0, s[28:29]
	v_mov_b32_e32 v16, v2
	v_mov_b32_e32 v17, v2
	v_cmp_gt_i64_e32 vcc, s[8:9], v[4:5]
	v_mov_b32_e32 v3, v2
	v_mov_b32_e32 v4, v2
	v_mov_b32_e32 v5, v2
	v_mov_b32_e32 v6, v2
	v_mov_b32_e32 v7, v2
	v_mov_b32_e32 v8, v2
	v_mov_b32_e32 v9, v2
	v_mov_b32_e32 v10, v2
	v_mov_b32_e32 v11, v2
	v_mov_b32_e32 v12, v2
	v_mov_b32_e32 v13, v2
	v_mov_b32_e32 v14, v2
	v_mov_b32_e32 v15, v2
	v_mov_b64_e32 v[34:35], v[16:17]
	v_mov_b64_e32 v[32:33], v[14:15]
	;; [unrolled: 1-line block ×9, first 2 shown]
	s_and_b64 s[50:51], s[6:7], vcc
	v_mov_b64_e32 v[16:17], v[14:15]
	v_mov_b64_e32 v[14:15], v[12:13]
	;; [unrolled: 1-line block ×7, first 2 shown]
	s_and_saveexec_b64 s[48:49], s[50:51]
	s_cbranch_execz .LBB32_10
; %bb.9:                                ;   in Loop: Header=BB32_3 Depth=1
	v_lshl_add_u64 v[4:5], v[44:45], 0, v[42:43]
	v_lshl_add_u64 v[6:7], v[46:47], 0, v[42:43]
	global_load_dwordx2 v[4:5], v[4:5], off
	v_mov_b32_e32 v8, v2
	global_load_dwordx2 v[20:21], v[6:7], off
	v_mov_b32_e32 v6, v2
	v_mov_b32_e32 v7, v2
	;; [unrolled: 1-line block ×27, first 2 shown]
.LBB32_10:                              ;   in Loop: Header=BB32_3 Depth=1
	s_or_b64 exec, exec, s[48:49]
	v_lshl_add_u64 v[38:39], v[78:79], 0, s[30:31]
	v_cmp_gt_i64_e32 vcc, s[8:9], v[38:39]
	s_and_b64 s[50:51], s[6:7], vcc
	s_and_saveexec_b64 s[48:49], s[50:51]
	s_cbranch_execz .LBB32_12
; %bb.11:                               ;   in Loop: Header=BB32_3 Depth=1
	v_lshl_add_u64 v[6:7], v[72:73], 0, v[42:43]
	v_lshl_add_u64 v[22:23], v[74:75], 0, v[42:43]
	global_load_dwordx2 v[6:7], v[6:7], off
	s_nop 0
	global_load_dwordx2 v[22:23], v[22:23], off
.LBB32_12:                              ;   in Loop: Header=BB32_3 Depth=1
	s_or_b64 exec, exec, s[48:49]
	v_lshl_add_u64 v[38:39], v[78:79], 0, s[34:35]
	v_cmp_gt_i64_e32 vcc, s[8:9], v[38:39]
	s_and_b64 s[50:51], s[6:7], vcc
	s_and_saveexec_b64 s[48:49], s[50:51]
	s_cbranch_execz .LBB32_14
; %bb.13:                               ;   in Loop: Header=BB32_3 Depth=1
	v_lshl_add_u64 v[8:9], v[68:69], 0, v[42:43]
	v_lshl_add_u64 v[24:25], v[70:71], 0, v[42:43]
	global_load_dwordx2 v[8:9], v[8:9], off
	s_nop 0
	global_load_dwordx2 v[24:25], v[24:25], off
.LBB32_14:                              ;   in Loop: Header=BB32_3 Depth=1
	;; [unrolled: 13-line block ×7, first 2 shown]
	s_or_b64 exec, exec, s[48:49]
	s_waitcnt vmcnt(1)
	ds_bpermute_b32 v38, v85, v80
	ds_bpermute_b32 v39, v85, v81
	s_waitcnt vmcnt(0)
	ds_bpermute_b32 v86, v85, v82
	ds_bpermute_b32 v87, v85, v83
	ds_bpermute_b32 v88, v85, v80 offset:4
	ds_bpermute_b32 v89, v85, v81 offset:4
	s_waitcnt lgkmcnt(4)
	v_add_f64 v[20:21], v[20:21], -v[38:39]
	v_mul_f64 v[20:21], v[4:5], v[20:21]
	s_waitcnt lgkmcnt(2)
	v_fma_f64 v[38:39], v[20:21], v[86:87], v[76:77]
	ds_bpermute_b32 v20, v85, v82 offset:4
	ds_bpermute_b32 v21, v85, v83 offset:4
	;; [unrolled: 1-line block ×4, first 2 shown]
	v_add_f64 v[4:5], v[36:37], v[4:5]
	s_waitcnt lgkmcnt(4)
	v_add_f64 v[22:23], v[22:23], -v[88:89]
	v_mul_f64 v[22:23], v[6:7], v[22:23]
	v_add_f64 v[4:5], v[6:7], v[4:5]
	ds_bpermute_b32 v6, v85, v82 offset:8
	ds_bpermute_b32 v7, v85, v83 offset:8
	s_waitcnt lgkmcnt(4)
	v_fmac_f64_e32 v[38:39], v[22:23], v[20:21]
	s_waitcnt lgkmcnt(2)
	v_add_f64 v[20:21], v[24:25], -v[86:87]
	ds_bpermute_b32 v22, v85, v80 offset:12
	ds_bpermute_b32 v23, v85, v81 offset:12
	v_mul_f64 v[20:21], v[8:9], v[20:21]
	s_waitcnt lgkmcnt(2)
	v_fmac_f64_e32 v[38:39], v[20:21], v[6:7]
	ds_bpermute_b32 v6, v85, v82 offset:12
	ds_bpermute_b32 v7, v85, v83 offset:12
	v_add_f64 v[4:5], v[8:9], v[4:5]
	s_waitcnt lgkmcnt(2)
	v_add_f64 v[8:9], v[26:27], -v[22:23]
	ds_bpermute_b32 v20, v85, v80 offset:16
	ds_bpermute_b32 v21, v85, v81 offset:16
	v_mul_f64 v[8:9], v[10:11], v[8:9]
	s_waitcnt lgkmcnt(2)
	v_fmac_f64_e32 v[38:39], v[8:9], v[6:7]
	ds_bpermute_b32 v6, v85, v82 offset:16
	ds_bpermute_b32 v7, v85, v83 offset:16
	v_add_f64 v[4:5], v[10:11], v[4:5]
	s_waitcnt lgkmcnt(2)
	v_add_f64 v[8:9], v[28:29], -v[20:21]
	ds_bpermute_b32 v10, v85, v80 offset:20
	ds_bpermute_b32 v11, v85, v81 offset:20
	v_mul_f64 v[8:9], v[12:13], v[8:9]
	s_waitcnt lgkmcnt(2)
	v_fmac_f64_e32 v[38:39], v[8:9], v[6:7]
	ds_bpermute_b32 v6, v85, v82 offset:20
	ds_bpermute_b32 v7, v85, v83 offset:20
	s_waitcnt lgkmcnt(2)
	v_add_f64 v[8:9], v[30:31], -v[10:11]
	ds_bpermute_b32 v10, v85, v80 offset:24
	ds_bpermute_b32 v11, v85, v81 offset:24
	v_mul_f64 v[8:9], v[14:15], v[8:9]
	v_add_f64 v[4:5], v[12:13], v[4:5]
	s_waitcnt lgkmcnt(2)
	v_fmac_f64_e32 v[38:39], v[8:9], v[6:7]
	ds_bpermute_b32 v8, v85, v82 offset:24
	ds_bpermute_b32 v9, v85, v83 offset:24
	v_add_f64 v[6:7], v[14:15], v[4:5]
	ds_bpermute_b32 v82, v85, v82 offset:28
	ds_bpermute_b32 v83, v85, v83 offset:28
	;; [unrolled: 1-line block ×4, first 2 shown]
	s_waitcnt lgkmcnt(6)
	v_add_f64 v[10:11], v[32:33], -v[10:11]
	v_mul_f64 v[10:11], v[16:17], v[10:11]
	s_waitcnt lgkmcnt(4)
	v_fmac_f64_e32 v[38:39], v[10:11], v[8:9]
	v_add_f64 v[6:7], v[16:17], v[6:7]
	s_mov_b64 s[48:49], 0
.LBB32_25:                              ;   in Loop: Header=BB32_3 Depth=1
	s_and_b64 vcc, exec, s[48:49]
	s_cbranch_vccz .LBB32_40
; %bb.26:                               ;   in Loop: Header=BB32_3 Depth=1
	s_load_dword s48, s[22:23], 0x0
	v_mov_b64_e32 v[80:81], 0
	v_mov_b64_e32 v[38:39], 0
	s_waitcnt lgkmcnt(0)
	s_cmp_lt_u32 s2, s48
	s_cselect_b32 s48, 12, 18
	s_add_u32 s48, s22, s48
	s_addc_u32 s49, s23, 0
	global_load_ushort v3, v2, s[48:49]
	s_waitcnt vmcnt(0)
	v_mad_u32_u24 v3, v84, v3, v1
	v_and_b32_e32 v4, 63, v3
	v_cmp_gt_u32_e32 vcc, 8, v4
	s_and_saveexec_b64 s[48:49], vcc
	s_cbranch_execz .LBB32_30
; %bb.27:                               ;   in Loop: Header=BB32_3 Depth=1
	v_mov_b32_e32 v5, v2
	v_lshl_add_u64 v[4:5], v[78:79], 0, v[4:5]
	v_lshl_add_u64 v[4:5], v[4:5], 0, s[28:29]
	v_cmp_gt_i64_e32 vcc, s[8:9], v[4:5]
	v_mov_b64_e32 v[38:39], 0
	v_mov_b64_e32 v[80:81], 0
	s_and_saveexec_b64 s[50:51], vcc
	s_cbranch_execz .LBB32_29
; %bb.28:                               ;   in Loop: Header=BB32_3 Depth=1
	v_lshlrev_b64 v[4:5], 3, v[4:5]
	v_lshl_add_u64 v[6:7], s[18:19], 0, v[4:5]
	v_lshl_add_u64 v[4:5], s[16:17], 0, v[4:5]
	global_load_dwordx2 v[38:39], v[4:5], off
	global_load_dwordx2 v[80:81], v[6:7], off
.LBB32_29:                              ;   in Loop: Header=BB32_3 Depth=1
	s_or_b64 exec, exec, s[50:51]
.LBB32_30:                              ;   in Loop: Header=BB32_3 Depth=1
	s_or_b64 exec, exec, s[48:49]
	v_mov_b32_e32 v16, v2
	v_mov_b32_e32 v17, v2
	;; [unrolled: 1-line block ×15, first 2 shown]
	v_mov_b64_e32 v[34:35], v[16:17]
	v_mov_b64_e32 v[32:33], v[14:15]
	;; [unrolled: 1-line block ×16, first 2 shown]
	s_and_saveexec_b64 s[48:49], s[6:7]
	s_cbranch_execnz .LBB32_42
; %bb.31:                               ;   in Loop: Header=BB32_3 Depth=1
	s_or_b64 exec, exec, s[48:49]
	s_and_saveexec_b64 s[48:49], s[6:7]
	s_cbranch_execnz .LBB32_43
.LBB32_32:                              ;   in Loop: Header=BB32_3 Depth=1
	s_or_b64 exec, exec, s[48:49]
	s_and_saveexec_b64 s[48:49], s[6:7]
	s_cbranch_execnz .LBB32_44
.LBB32_33:                              ;   in Loop: Header=BB32_3 Depth=1
	s_or_b64 exec, exec, s[48:49]
	s_and_saveexec_b64 s[48:49], s[6:7]
	s_cbranch_execnz .LBB32_45
.LBB32_34:                              ;   in Loop: Header=BB32_3 Depth=1
	s_or_b64 exec, exec, s[48:49]
	s_and_saveexec_b64 s[48:49], s[6:7]
	s_cbranch_execnz .LBB32_46
.LBB32_35:                              ;   in Loop: Header=BB32_3 Depth=1
	s_or_b64 exec, exec, s[48:49]
	s_and_saveexec_b64 s[48:49], s[6:7]
	s_cbranch_execnz .LBB32_47
.LBB32_36:                              ;   in Loop: Header=BB32_3 Depth=1
	s_or_b64 exec, exec, s[48:49]
	s_and_saveexec_b64 s[48:49], s[6:7]
	s_cbranch_execnz .LBB32_48
.LBB32_37:                              ;   in Loop: Header=BB32_3 Depth=1
	s_or_b64 exec, exec, s[48:49]
	s_and_saveexec_b64 s[48:49], s[6:7]
	s_cbranch_execz .LBB32_39
.LBB32_38:                              ;   in Loop: Header=BB32_3 Depth=1
	v_lshl_add_u64 v[18:19], v[48:49], 0, v[42:43]
	v_lshl_add_u64 v[34:35], v[50:51], 0, v[42:43]
	global_load_dwordx2 v[18:19], v[18:19], off
	s_nop 0
	global_load_dwordx2 v[34:35], v[34:35], off
.LBB32_39:                              ;   in Loop: Header=BB32_3 Depth=1
	s_or_b64 exec, exec, s[48:49]
	s_waitcnt vmcnt(1)
	ds_bpermute_b32 v78, v85, v38
	ds_bpermute_b32 v79, v85, v39
	s_waitcnt vmcnt(0)
	ds_bpermute_b32 v82, v85, v80
	ds_bpermute_b32 v83, v85, v81
	ds_bpermute_b32 v86, v85, v38 offset:4
	ds_bpermute_b32 v87, v85, v39 offset:4
	s_waitcnt lgkmcnt(4)
	v_add_f64 v[20:21], v[20:21], -v[78:79]
	v_mul_f64 v[20:21], v[4:5], v[20:21]
	s_waitcnt lgkmcnt(2)
	v_fmac_f64_e32 v[76:77], v[20:21], v[82:83]
	v_add_f64 v[4:5], v[36:37], v[4:5]
	ds_bpermute_b32 v20, v85, v80 offset:4
	ds_bpermute_b32 v21, v85, v81 offset:4
	;; [unrolled: 1-line block ×4, first 2 shown]
	s_waitcnt lgkmcnt(4)
	v_add_f64 v[22:23], v[22:23], -v[86:87]
	v_mul_f64 v[22:23], v[6:7], v[22:23]
	v_add_f64 v[4:5], v[6:7], v[4:5]
	ds_bpermute_b32 v6, v85, v80 offset:8
	ds_bpermute_b32 v7, v85, v81 offset:8
	s_waitcnt lgkmcnt(4)
	v_fmac_f64_e32 v[76:77], v[22:23], v[20:21]
	s_waitcnt lgkmcnt(2)
	v_add_f64 v[20:21], v[24:25], -v[36:37]
	ds_bpermute_b32 v22, v85, v38 offset:12
	ds_bpermute_b32 v23, v85, v39 offset:12
	v_mul_f64 v[20:21], v[8:9], v[20:21]
	s_waitcnt lgkmcnt(2)
	v_fmac_f64_e32 v[76:77], v[20:21], v[6:7]
	ds_bpermute_b32 v6, v85, v80 offset:12
	ds_bpermute_b32 v7, v85, v81 offset:12
	v_add_f64 v[4:5], v[8:9], v[4:5]
	s_waitcnt lgkmcnt(2)
	v_add_f64 v[8:9], v[26:27], -v[22:23]
	ds_bpermute_b32 v20, v85, v38 offset:16
	ds_bpermute_b32 v21, v85, v39 offset:16
	v_mul_f64 v[8:9], v[10:11], v[8:9]
	s_waitcnt lgkmcnt(2)
	v_fmac_f64_e32 v[76:77], v[8:9], v[6:7]
	ds_bpermute_b32 v6, v85, v80 offset:16
	ds_bpermute_b32 v7, v85, v81 offset:16
	v_add_f64 v[4:5], v[10:11], v[4:5]
	s_waitcnt lgkmcnt(2)
	v_add_f64 v[8:9], v[28:29], -v[20:21]
	ds_bpermute_b32 v10, v85, v38 offset:20
	ds_bpermute_b32 v11, v85, v39 offset:20
	v_mul_f64 v[8:9], v[12:13], v[8:9]
	s_waitcnt lgkmcnt(2)
	v_fmac_f64_e32 v[76:77], v[8:9], v[6:7]
	ds_bpermute_b32 v6, v85, v80 offset:20
	ds_bpermute_b32 v7, v85, v81 offset:20
	s_waitcnt lgkmcnt(2)
	v_add_f64 v[8:9], v[30:31], -v[10:11]
	ds_bpermute_b32 v10, v85, v38 offset:24
	ds_bpermute_b32 v11, v85, v39 offset:24
	v_mul_f64 v[8:9], v[14:15], v[8:9]
	s_waitcnt lgkmcnt(2)
	v_fmac_f64_e32 v[76:77], v[8:9], v[6:7]
	ds_bpermute_b32 v8, v85, v80 offset:24
	ds_bpermute_b32 v9, v85, v81 offset:24
	v_add_f64 v[4:5], v[12:13], v[4:5]
	v_add_f64 v[6:7], v[14:15], v[4:5]
	ds_bpermute_b32 v82, v85, v80 offset:28
	ds_bpermute_b32 v83, v85, v81 offset:28
	;; [unrolled: 1-line block ×4, first 2 shown]
	s_waitcnt lgkmcnt(6)
	v_add_f64 v[10:11], v[32:33], -v[10:11]
	v_mul_f64 v[10:11], v[16:17], v[10:11]
	s_waitcnt lgkmcnt(4)
	v_fmac_f64_e32 v[76:77], v[10:11], v[8:9]
	v_add_f64 v[6:7], v[16:17], v[6:7]
	v_mov_b64_e32 v[38:39], v[76:77]
.LBB32_40:                              ;   in Loop: Header=BB32_3 Depth=1
	s_waitcnt lgkmcnt(0)
	v_add_f64 v[4:5], v[34:35], -v[4:5]
	v_mul_f64 v[4:5], v[18:19], v[4:5]
	s_add_u32 s46, s46, s3
	v_fmac_f64_e32 v[38:39], v[4:5], v[82:83]
	s_addc_u32 s47, s47, 0
	v_mov_b64_e32 v[4:5], s[8:9]
	s_add_u32 s26, s26, s3
	v_cmp_lt_i64_e32 vcc, s[46:47], v[4:5]
	v_add_f64 v[36:37], v[6:7], v[18:19]
	v_lshl_add_u64 v[44:45], v[44:45], 0, s[24:25]
	v_lshl_add_u64 v[46:47], v[46:47], 0, s[24:25]
	;; [unrolled: 1-line block ×16, first 2 shown]
	s_addc_u32 s27, s27, 0
	s_cbranch_vccz .LBB32_50
; %bb.41:                               ;   in Loop: Header=BB32_3 Depth=1
	v_mov_b64_e32 v[76:77], v[38:39]
	s_branch .LBB32_3
.LBB32_42:                              ;   in Loop: Header=BB32_3 Depth=1
	v_lshl_add_u64 v[4:5], v[44:45], 0, v[42:43]
	v_lshl_add_u64 v[6:7], v[46:47], 0, v[42:43]
	global_load_dwordx2 v[4:5], v[4:5], off
	v_mov_b32_e32 v8, v2
	global_load_dwordx2 v[20:21], v[6:7], off
	v_mov_b32_e32 v6, v2
	v_mov_b32_e32 v7, v2
	;; [unrolled: 1-line block ×27, first 2 shown]
	s_or_b64 exec, exec, s[48:49]
	s_and_saveexec_b64 s[48:49], s[6:7]
	s_cbranch_execz .LBB32_32
.LBB32_43:                              ;   in Loop: Header=BB32_3 Depth=1
	v_lshl_add_u64 v[6:7], v[72:73], 0, v[42:43]
	v_lshl_add_u64 v[22:23], v[74:75], 0, v[42:43]
	global_load_dwordx2 v[6:7], v[6:7], off
	s_nop 0
	global_load_dwordx2 v[22:23], v[22:23], off
	s_or_b64 exec, exec, s[48:49]
	s_and_saveexec_b64 s[48:49], s[6:7]
	s_cbranch_execz .LBB32_33
.LBB32_44:                              ;   in Loop: Header=BB32_3 Depth=1
	v_lshl_add_u64 v[8:9], v[68:69], 0, v[42:43]
	v_lshl_add_u64 v[24:25], v[70:71], 0, v[42:43]
	global_load_dwordx2 v[8:9], v[8:9], off
	s_nop 0
	global_load_dwordx2 v[24:25], v[24:25], off
	s_or_b64 exec, exec, s[48:49]
	s_and_saveexec_b64 s[48:49], s[6:7]
	s_cbranch_execz .LBB32_34
.LBB32_45:                              ;   in Loop: Header=BB32_3 Depth=1
	v_lshl_add_u64 v[10:11], v[64:65], 0, v[42:43]
	v_lshl_add_u64 v[26:27], v[66:67], 0, v[42:43]
	global_load_dwordx2 v[10:11], v[10:11], off
	s_nop 0
	global_load_dwordx2 v[26:27], v[26:27], off
	s_or_b64 exec, exec, s[48:49]
	s_and_saveexec_b64 s[48:49], s[6:7]
	s_cbranch_execz .LBB32_35
.LBB32_46:                              ;   in Loop: Header=BB32_3 Depth=1
	v_lshl_add_u64 v[12:13], v[60:61], 0, v[42:43]
	v_lshl_add_u64 v[28:29], v[62:63], 0, v[42:43]
	global_load_dwordx2 v[12:13], v[12:13], off
	s_nop 0
	global_load_dwordx2 v[28:29], v[28:29], off
	s_or_b64 exec, exec, s[48:49]
	s_and_saveexec_b64 s[48:49], s[6:7]
	s_cbranch_execz .LBB32_36
.LBB32_47:                              ;   in Loop: Header=BB32_3 Depth=1
	v_lshl_add_u64 v[14:15], v[56:57], 0, v[42:43]
	v_lshl_add_u64 v[30:31], v[58:59], 0, v[42:43]
	global_load_dwordx2 v[14:15], v[14:15], off
	s_nop 0
	global_load_dwordx2 v[30:31], v[30:31], off
	s_or_b64 exec, exec, s[48:49]
	s_and_saveexec_b64 s[48:49], s[6:7]
	s_cbranch_execz .LBB32_37
.LBB32_48:                              ;   in Loop: Header=BB32_3 Depth=1
	v_lshl_add_u64 v[16:17], v[52:53], 0, v[42:43]
	v_lshl_add_u64 v[32:33], v[54:55], 0, v[42:43]
	global_load_dwordx2 v[16:17], v[16:17], off
	s_nop 0
	global_load_dwordx2 v[32:33], v[32:33], off
	s_or_b64 exec, exec, s[48:49]
	s_and_saveexec_b64 s[48:49], s[6:7]
	s_cbranch_execnz .LBB32_38
	s_branch .LBB32_39
.LBB32_49:
                                        ; implicit-def: $vgpr36_vgpr37
                                        ; implicit-def: $vgpr38_vgpr39
	s_branch .LBB32_51
.LBB32_50:
	s_cbranch_execnz .LBB32_82
.LBB32_51:
	v_mov_b64_e32 v[36:37], 0
	s_and_b64 vcc, exec, s[4:5]
	v_mov_b64_e32 v[38:39], 0
	s_cbranch_vccnz .LBB32_82
; %bb.52:
	v_mov_b32_e32 v2, 0
	v_bfe_u32 v1, v0, 10, 10
	v_lshlrev_b32_e32 v6, 6, v1
	v_mov_b32_e32 v7, v2
	v_lshl_add_u64 v[6:7], s[20:21], 3, v[6:7]
	v_lshl_add_u64 v[8:9], v[6:7], 0, 8
	v_mov_b64_e32 v[10:11], s[12:13]
	v_mov_b64_e32 v[22:23], s[14:15]
	v_lshlrev_b32_e32 v40, 3, v1
	v_mov_b32_e32 v41, v2
	v_mad_u64_u32 v[42:43], s[4:5], s10, v8, v[10:11]
	v_mul_lo_u32 v3, s10, v9
	v_mul_lo_u32 v9, s11, v8
	v_lshl_add_u64 v[12:13], v[6:7], 0, 16
	v_lshl_add_u64 v[14:15], v[6:7], 0, 24
	;; [unrolled: 1-line block ×5, first 2 shown]
	v_mad_u64_u32 v[52:53], s[4:5], s10, v8, v[22:23]
	v_lshl_add_u64 v[6:7], v[6:7], 0, 56
	v_lshl_add_u64 v[4:5], v[40:41], 0, s[20:21]
	v_add3_u32 v43, v9, v43, v3
	v_add3_u32 v53, v9, v53, v3
	v_mad_u64_u32 v[58:59], s[4:5], s10, v6, v[10:11]
	v_mul_lo_u32 v7, s10, v7
	v_mul_lo_u32 v9, s11, v6
	v_mad_u64_u32 v[68:69], s[4:5], s10, v6, v[22:23]
	v_mad_u64_u32 v[54:55], s[4:5], s10, v20, v[10:11]
	v_mul_lo_u32 v3, s10, v21
	v_mul_lo_u32 v8, s11, v20
	v_add3_u32 v59, v9, v59, v7
	v_mad_u64_u32 v[66:67], s[4:5], s10, v20, v[22:23]
	v_add3_u32 v69, v9, v69, v7
	v_lshl_add_u64 v[6:7], v[4:5], 0, 7
	v_add3_u32 v55, v8, v55, v3
	v_add3_u32 v67, v8, v67, v3
	v_mul_lo_u32 v3, s11, v6
	v_mul_lo_u32 v8, s10, v7
	v_mad_u64_u32 v[6:7], s[4:5], s10, v6, 0
	v_add3_u32 v7, v7, v8, v3
	v_lshl_add_u64 v[8:9], v[4:5], 0, 6
	v_mad_u64_u32 v[44:45], s[4:5], s10, v12, v[10:11]
	v_mad_u64_u32 v[46:47], s[4:5], s10, v14, v[10:11]
	v_mad_u64_u32 v[48:49], s[4:5], s10, v16, v[10:11]
	v_mad_u64_u32 v[50:51], s[4:5], s10, v18, v[10:11]
	v_mul_lo_u32 v3, s11, v8
	v_mul_lo_u32 v10, s10, v9
	v_mad_u64_u32 v[8:9], s[4:5], s10, v8, 0
	v_add3_u32 v9, v9, v10, v3
	v_lshl_add_u64 v[10:11], v[4:5], 0, 5
	v_mul_lo_u32 v13, s10, v13
	v_mul_lo_u32 v24, s11, v12
	v_mad_u64_u32 v[56:57], s[4:5], s10, v12, v[22:23]
	v_mul_lo_u32 v3, s11, v10
	v_mul_lo_u32 v12, s10, v11
	v_mad_u64_u32 v[10:11], s[4:5], s10, v10, 0
	v_add3_u32 v45, v24, v45, v13
	v_add3_u32 v57, v24, v57, v13
	v_add3_u32 v11, v11, v12, v3
	v_lshl_add_u64 v[12:13], v[4:5], 0, 4
	v_mul_lo_u32 v15, s10, v15
	v_mul_lo_u32 v25, s11, v14
	v_mad_u64_u32 v[60:61], s[4:5], s10, v14, v[22:23]
	v_mul_lo_u32 v3, s11, v12
	v_mul_lo_u32 v14, s10, v13
	v_mad_u64_u32 v[12:13], s[4:5], s10, v12, 0
	v_add3_u32 v47, v25, v47, v15
	v_add3_u32 v61, v25, v61, v15
	;; [unrolled: 10-line block ×4, first 2 shown]
	v_add3_u32 v17, v17, v18, v3
	v_mov_b64_e32 v[18:19], s[10:11]
	v_mad_u64_u32 v[18:19], s[4:5], s10, v4, v[18:19]
	v_mul_lo_u32 v3, s11, v4
	v_mul_lo_u32 v20, s10, v5
	v_mad_u64_u32 v[4:5], s[4:5], s10, v4, 0
	v_add3_u32 v5, v5, v20, v3
	s_load_dword s3, s[0:1], 0x44
	v_lshlrev_b64 v[4:5], 3, v[4:5]
	v_lshl_add_u64 v[72:73], s[12:13], 0, v[4:5]
	v_lshl_add_u64 v[74:75], s[14:15], 0, v[4:5]
	v_lshlrev_b64 v[4:5], 3, v[6:7]
	v_lshl_add_u64 v[76:77], s[12:13], 0, v[4:5]
	v_lshl_add_u64 v[78:79], s[14:15], 0, v[4:5]
	v_lshlrev_b64 v[4:5], 3, v[8:9]
	s_add_u32 s4, s0, 64
	v_lshl_add_u64 v[80:81], s[12:13], 0, v[4:5]
	v_lshl_add_u64 v[82:83], s[14:15], 0, v[4:5]
	v_lshlrev_b64 v[4:5], 3, v[10:11]
	s_addc_u32 s5, s1, 0
	s_waitcnt lgkmcnt(0)
	s_lshl_b32 s3, s3, 6
	v_lshl_add_u64 v[84:85], s[12:13], 0, v[4:5]
	v_lshl_add_u64 v[86:87], s[14:15], 0, v[4:5]
	v_lshlrev_b64 v[4:5], 3, v[12:13]
	s_mul_i32 s6, s11, s3
	s_mul_hi_u32 s7, s10, s3
	v_lshl_add_u64 v[88:89], s[12:13], 0, v[4:5]
	v_lshl_add_u64 v[90:91], s[14:15], 0, v[4:5]
	v_lshlrev_b64 v[4:5], 3, v[14:15]
	v_add3_u32 v19, v3, v19, v20
	s_add_i32 s7, s7, s6
	s_mul_i32 s6, s10, s3
	v_lshl_add_u64 v[92:93], s[12:13], 0, v[4:5]
	v_lshl_add_u64 v[94:95], s[14:15], 0, v[4:5]
	v_lshlrev_b64 v[4:5], 3, v[16:17]
	v_mbcnt_lo_u32_b32 v3, -1, 0
	v_and_b32_e32 v110, 0x3ff, v0
	s_lshl_b64 s[6:7], s[6:7], 3
	v_lshl_add_u64 v[96:97], s[12:13], 0, v[4:5]
	v_lshl_add_u64 v[98:99], s[14:15], 0, v[4:5]
	v_lshlrev_b64 v[4:5], 3, v[18:19]
	v_mbcnt_hi_u32_b32 v3, -1, v3
	v_add_u32_e32 v20, s33, v110
	v_mov_b32_e32 v21, v2
	s_add_u32 s22, s20, 63
	v_lshl_add_u64 v[100:101], s[12:13], 0, v[4:5]
	v_lshl_add_u64 v[102:103], s[14:15], 0, v[4:5]
	s_movk_i32 s12, 0xffc1
	s_movk_i32 s14, 0xffc2
	;; [unrolled: 1-line block ×8, first 2 shown]
	v_lshlrev_b32_e32 v3, 2, v3
	v_lshlrev_b64 v[70:71], 3, v[20:21]
	s_addc_u32 s23, 0, 0
	s_mov_b32 s13, -1
	s_mov_b32 s15, -1
	;; [unrolled: 1-line block ×8, first 2 shown]
	v_and_b32_e32 v111, 0x100, v3
	v_mov_b64_e32 v[38:39], 0
	v_mov_b64_e32 v[36:37], 0
	s_branch .LBB32_56
.LBB32_53:                              ;   in Loop: Header=BB32_56 Depth=1
	s_or_b64 exec, exec, s[40:41]
.LBB32_54:                              ;   in Loop: Header=BB32_56 Depth=1
	s_or_b64 exec, exec, s[38:39]
	v_lshl_add_u64 v[10:11], v[52:53], 0, v[70:71]
	v_lshl_add_u64 v[8:9], v[74:75], 0, v[70:71]
	global_load_dwordx2 v[10:11], v[10:11], off
	v_lshl_add_u64 v[18:19], v[72:73], 0, v[70:71]
	global_load_dwordx2 v[8:9], v[8:9], off
	;; [unrolled: 2-line block ×7, first 2 shown]
	global_load_dwordx2 v[26:27], v[22:23], off
	v_lshl_add_u64 v[30:31], v[64:65], 0, v[70:71]
	s_waitcnt vmcnt(9)
	ds_bpermute_b32 v104, v111, v6 offset:4
	ds_bpermute_b32 v105, v111, v7 offset:4
	global_load_dwordx2 v[30:31], v[30:31], off
	ds_bpermute_b32 v34, v111, v6
	ds_bpermute_b32 v35, v111, v7
	v_lshl_add_u64 v[20:21], v[46:47], 0, v[70:71]
	global_load_dwordx2 v[20:21], v[20:21], off
	v_lshl_add_u64 v[118:119], v[66:67], 0, v[70:71]
	v_lshl_add_u64 v[22:23], v[48:49], 0, v[70:71]
	global_load_dwordx2 v[118:119], v[118:119], off
	v_lshl_add_u64 v[28:29], v[50:51], 0, v[70:71]
	v_lshl_add_u64 v[32:33], v[54:55], 0, v[70:71]
	global_load_dwordx2 v[120:121], v[22:23], off
	global_load_dwordx2 v[122:123], v[28:29], off
	;; [unrolled: 1-line block ×3, first 2 shown]
	ds_bpermute_b32 v106, v111, v6 offset:8
	ds_bpermute_b32 v107, v111, v7 offset:8
	;; [unrolled: 1-line block ×12, first 2 shown]
	s_waitcnt vmcnt(13) lgkmcnt(14)
	v_add_f64 v[10:11], v[10:11], -v[104:105]
	v_lshl_add_u64 v[104:105], v[68:69], 0, v[70:71]
	s_waitcnt vmcnt(12) lgkmcnt(12)
	v_add_f64 v[8:9], v[8:9], -v[34:35]
	v_lshl_add_u64 v[34:35], v[58:59], 0, v[70:71]
	global_load_dwordx2 v[22:23], v[104:105], off
	s_waitcnt vmcnt(12)
	v_add_f64 v[28:29], v[36:37], v[18:19]
	v_mul_f64 v[8:9], v[18:19], v[8:9]
	global_load_dwordx2 v[18:19], v[34:35], off
	s_waitcnt vmcnt(12) lgkmcnt(10)
	v_add_f64 v[12:13], v[12:13], -v[106:107]
	ds_bpermute_b32 v106, v111, v4
	ds_bpermute_b32 v107, v111, v5
	s_waitcnt vmcnt(11) lgkmcnt(10)
	v_add_f64 v[14:15], v[14:15], -v[108:109]
	ds_bpermute_b32 v108, v111, v4 offset:4
	ds_bpermute_b32 v109, v111, v5 offset:4
	s_waitcnt vmcnt(10) lgkmcnt(10)
	v_add_f64 v[16:17], v[16:17], -v[112:113]
	ds_bpermute_b32 v112, v111, v4 offset:8
	ds_bpermute_b32 v113, v111, v5 offset:8
	s_waitcnt vmcnt(9)
	v_mul_f64 v[10:11], v[24:25], v[10:11]
	s_waitcnt lgkmcnt(4)
	v_fmac_f64_e32 v[38:39], v[8:9], v[106:107]
	s_waitcnt lgkmcnt(2)
	v_fmac_f64_e32 v[38:39], v[10:11], v[108:109]
	ds_bpermute_b32 v10, v111, v4 offset:12
	ds_bpermute_b32 v11, v111, v5 offset:12
	s_waitcnt vmcnt(7)
	v_add_f64 v[8:9], v[30:31], -v[114:115]
	ds_bpermute_b32 v30, v111, v4 offset:16
	ds_bpermute_b32 v31, v111, v5 offset:16
	v_add_f64 v[24:25], v[28:29], v[24:25]
	ds_bpermute_b32 v28, v111, v4 offset:20
	ds_bpermute_b32 v29, v111, v5 offset:20
	v_mul_f64 v[12:13], v[26:27], v[12:13]
	v_add_f64 v[24:25], v[24:25], v[26:27]
	ds_bpermute_b32 v26, v111, v4 offset:24
	ds_bpermute_b32 v27, v111, v5 offset:24
	s_waitcnt lgkmcnt(8)
	v_fmac_f64_e32 v[38:39], v[12:13], v[112:113]
	s_waitcnt vmcnt(6)
	v_mul_f64 v[14:15], v[20:21], v[14:15]
	v_add_f64 v[20:21], v[24:25], v[20:21]
	ds_bpermute_b32 v24, v111, v4 offset:28
	ds_bpermute_b32 v25, v111, v5 offset:28
	s_waitcnt vmcnt(4)
	v_mul_f64 v[16:17], v[120:121], v[16:17]
	s_waitcnt lgkmcnt(8)
	v_fmac_f64_e32 v[38:39], v[14:15], v[10:11]
	v_add_f64 v[12:13], v[118:119], -v[116:117]
	s_waitcnt vmcnt(3)
	v_mul_f64 v[8:9], v[122:123], v[8:9]
	s_waitcnt lgkmcnt(6)
	v_fmac_f64_e32 v[38:39], v[16:17], v[30:31]
	s_waitcnt vmcnt(2)
	v_mul_f64 v[12:13], v[124:125], v[12:13]
	v_add_f64 v[20:21], v[20:21], v[120:121]
	s_waitcnt lgkmcnt(4)
	v_fmac_f64_e32 v[38:39], v[8:9], v[28:29]
	v_add_f64 v[10:11], v[20:21], v[122:123]
	s_waitcnt lgkmcnt(2)
	v_fmac_f64_e32 v[38:39], v[12:13], v[26:27]
	v_add_f64 v[4:5], v[10:11], v[124:125]
	v_mov_b64_e32 v[20:21], v[38:39]
	s_waitcnt vmcnt(1)
	v_add_f64 v[6:7], v[22:23], -v[6:7]
	s_waitcnt vmcnt(0)
	v_mul_f64 v[6:7], v[18:19], v[6:7]
	s_waitcnt lgkmcnt(0)
	v_mul_f64 v[6:7], v[6:7], v[24:25]
.LBB32_55:                              ;   in Loop: Header=BB32_56 Depth=1
	s_add_u32 s20, s20, s3
	v_add_f64 v[36:37], v[4:5], v[18:19]
	s_addc_u32 s21, s21, 0
	v_mov_b64_e32 v[4:5], s[8:9]
	s_add_u32 s22, s22, s3
	v_cmp_ge_i64_e32 vcc, s[20:21], v[4:5]
	v_add_f64 v[38:39], v[20:21], v[6:7]
	v_lshl_add_u64 v[72:73], v[72:73], 0, s[6:7]
	v_lshl_add_u64 v[74:75], v[74:75], 0, s[6:7]
	s_addc_u32 s23, s23, 0
	v_lshl_add_u64 v[42:43], v[42:43], 0, s[6:7]
	v_lshl_add_u64 v[44:45], v[44:45], 0, s[6:7]
	;; [unrolled: 1-line block ×28, first 2 shown]
	s_cbranch_vccnz .LBB32_82
.LBB32_56:                              ; =>This Inner Loop Header: Depth=1
	v_mov_b64_e32 v[4:5], s[8:9]
	v_cmp_ge_i64_e32 vcc, s[22:23], v[4:5]
	v_lshl_add_u64 v[104:105], v[40:41], 0, s[22:23]
	s_mov_b64 s[38:39], -1
	s_and_b64 vcc, exec, vcc
                                        ; implicit-def: $vgpr18_vgpr19
                                        ; implicit-def: $vgpr6_vgpr7
                                        ; implicit-def: $vgpr4_vgpr5
                                        ; implicit-def: $vgpr20_vgpr21
	s_cbranch_vccz .LBB32_78
; %bb.57:                               ;   in Loop: Header=BB32_56 Depth=1
	s_load_dword s33, s[4:5], 0xc
	v_mov_b64_e32 v[106:107], 0
	v_mov_b64_e32 v[108:109], 0
	s_waitcnt lgkmcnt(0)
	s_and_b32 s33, s33, 0xffff
	v_mad_u32_u24 v3, v1, s33, v110
	v_and_b32_e32 v4, 63, v3
	v_cmp_gt_u32_e32 vcc, 8, v4
	s_and_saveexec_b64 s[38:39], vcc
	s_cbranch_execz .LBB32_61
; %bb.58:                               ;   in Loop: Header=BB32_56 Depth=1
	v_mov_b32_e32 v5, v2
	v_lshl_add_u64 v[4:5], v[104:105], 0, v[4:5]
	v_lshl_add_u64 v[4:5], v[4:5], 0, s[12:13]
	v_cmp_gt_i64_e32 vcc, s[8:9], v[4:5]
	v_mov_b64_e32 v[108:109], 0
	v_mov_b64_e32 v[106:107], 0
	s_and_saveexec_b64 s[40:41], vcc
	s_cbranch_execz .LBB32_60
; %bb.59:                               ;   in Loop: Header=BB32_56 Depth=1
	v_lshlrev_b64 v[4:5], 3, v[4:5]
	v_lshl_add_u64 v[6:7], s[18:19], 0, v[4:5]
	v_lshl_add_u64 v[4:5], s[16:17], 0, v[4:5]
	global_load_dwordx2 v[108:109], v[4:5], off
	global_load_dwordx2 v[106:107], v[6:7], off
.LBB32_60:                              ;   in Loop: Header=BB32_56 Depth=1
	s_or_b64 exec, exec, s[40:41]
.LBB32_61:                              ;   in Loop: Header=BB32_56 Depth=1
	s_or_b64 exec, exec, s[38:39]
	v_lshl_add_u64 v[4:5], v[104:105], 0, s[12:13]
	v_mov_b32_e32 v16, v2
	v_mov_b32_e32 v17, v2
	v_cmp_gt_i64_e32 vcc, s[8:9], v[4:5]
	v_mov_b32_e32 v3, v2
	v_mov_b32_e32 v4, v2
	;; [unrolled: 1-line block ×13, first 2 shown]
	v_mov_b64_e32 v[34:35], v[16:17]
	v_mov_b64_e32 v[32:33], v[14:15]
	;; [unrolled: 1-line block ×16, first 2 shown]
	s_and_saveexec_b64 s[38:39], vcc
	s_cbranch_execz .LBB32_63
; %bb.62:                               ;   in Loop: Header=BB32_56 Depth=1
	v_lshl_add_u64 v[4:5], v[72:73], 0, v[70:71]
	v_lshl_add_u64 v[6:7], v[74:75], 0, v[70:71]
	global_load_dwordx2 v[4:5], v[4:5], off
	v_mov_b32_e32 v8, v2
	global_load_dwordx2 v[20:21], v[6:7], off
	v_mov_b32_e32 v6, v2
	v_mov_b32_e32 v7, v2
	;; [unrolled: 1-line block ×27, first 2 shown]
.LBB32_63:                              ;   in Loop: Header=BB32_56 Depth=1
	s_or_b64 exec, exec, s[38:39]
	v_lshl_add_u64 v[112:113], v[104:105], 0, s[14:15]
	v_cmp_gt_i64_e32 vcc, s[8:9], v[112:113]
	s_and_saveexec_b64 s[38:39], vcc
	s_cbranch_execz .LBB32_65
; %bb.64:                               ;   in Loop: Header=BB32_56 Depth=1
	v_lshl_add_u64 v[6:7], v[100:101], 0, v[70:71]
	v_lshl_add_u64 v[22:23], v[102:103], 0, v[70:71]
	global_load_dwordx2 v[6:7], v[6:7], off
	s_nop 0
	global_load_dwordx2 v[22:23], v[22:23], off
.LBB32_65:                              ;   in Loop: Header=BB32_56 Depth=1
	s_or_b64 exec, exec, s[38:39]
	v_lshl_add_u64 v[112:113], v[104:105], 0, s[24:25]
	v_cmp_gt_i64_e32 vcc, s[8:9], v[112:113]
	s_and_saveexec_b64 s[38:39], vcc
	s_cbranch_execz .LBB32_67
; %bb.66:                               ;   in Loop: Header=BB32_56 Depth=1
	v_lshl_add_u64 v[8:9], v[96:97], 0, v[70:71]
	v_lshl_add_u64 v[24:25], v[98:99], 0, v[70:71]
	global_load_dwordx2 v[8:9], v[8:9], off
	s_nop 0
	global_load_dwordx2 v[24:25], v[24:25], off
.LBB32_67:                              ;   in Loop: Header=BB32_56 Depth=1
	;; [unrolled: 12-line block ×7, first 2 shown]
	s_or_b64 exec, exec, s[38:39]
	s_waitcnt vmcnt(1)
	ds_bpermute_b32 v112, v111, v108
	ds_bpermute_b32 v113, v111, v109
	s_waitcnt vmcnt(0)
	ds_bpermute_b32 v114, v111, v106
	ds_bpermute_b32 v115, v111, v107
	ds_bpermute_b32 v116, v111, v108 offset:4
	ds_bpermute_b32 v117, v111, v109 offset:4
	s_waitcnt lgkmcnt(4)
	v_add_f64 v[20:21], v[20:21], -v[112:113]
	v_mul_f64 v[20:21], v[4:5], v[20:21]
	s_waitcnt lgkmcnt(2)
	v_fma_f64 v[20:21], v[20:21], v[114:115], v[38:39]
	ds_bpermute_b32 v112, v111, v106 offset:4
	ds_bpermute_b32 v113, v111, v107 offset:4
	;; [unrolled: 1-line block ×4, first 2 shown]
	v_add_f64 v[4:5], v[36:37], v[4:5]
	s_waitcnt lgkmcnt(4)
	v_add_f64 v[22:23], v[22:23], -v[116:117]
	v_mul_f64 v[22:23], v[6:7], v[22:23]
	v_add_f64 v[4:5], v[6:7], v[4:5]
	ds_bpermute_b32 v6, v111, v106 offset:8
	ds_bpermute_b32 v7, v111, v107 offset:8
	s_waitcnt lgkmcnt(4)
	v_fmac_f64_e32 v[20:21], v[22:23], v[112:113]
	s_waitcnt lgkmcnt(2)
	v_add_f64 v[22:23], v[24:25], -v[114:115]
	ds_bpermute_b32 v24, v111, v108 offset:12
	ds_bpermute_b32 v25, v111, v109 offset:12
	v_mul_f64 v[22:23], v[8:9], v[22:23]
	s_waitcnt lgkmcnt(2)
	v_fmac_f64_e32 v[20:21], v[22:23], v[6:7]
	ds_bpermute_b32 v6, v111, v106 offset:12
	ds_bpermute_b32 v7, v111, v107 offset:12
	v_add_f64 v[4:5], v[8:9], v[4:5]
	s_waitcnt lgkmcnt(2)
	v_add_f64 v[8:9], v[26:27], -v[24:25]
	ds_bpermute_b32 v22, v111, v108 offset:16
	ds_bpermute_b32 v23, v111, v109 offset:16
	v_mul_f64 v[8:9], v[10:11], v[8:9]
	s_waitcnt lgkmcnt(2)
	v_fmac_f64_e32 v[20:21], v[8:9], v[6:7]
	v_add_f64 v[4:5], v[10:11], v[4:5]
	ds_bpermute_b32 v6, v111, v106 offset:16
	ds_bpermute_b32 v7, v111, v107 offset:16
	;; [unrolled: 1-line block ×4, first 2 shown]
	s_waitcnt lgkmcnt(4)
	v_add_f64 v[8:9], v[28:29], -v[22:23]
	v_mul_f64 v[8:9], v[12:13], v[8:9]
	s_waitcnt lgkmcnt(2)
	v_fmac_f64_e32 v[20:21], v[8:9], v[6:7]
	ds_bpermute_b32 v6, v111, v106 offset:20
	ds_bpermute_b32 v7, v111, v107 offset:20
	s_waitcnt lgkmcnt(2)
	v_add_f64 v[8:9], v[30:31], -v[10:11]
	ds_bpermute_b32 v10, v111, v108 offset:24
	ds_bpermute_b32 v11, v111, v109 offset:24
	v_mul_f64 v[8:9], v[14:15], v[8:9]
	s_waitcnt lgkmcnt(2)
	v_fmac_f64_e32 v[20:21], v[8:9], v[6:7]
	ds_bpermute_b32 v6, v111, v106 offset:24
	ds_bpermute_b32 v7, v111, v107 offset:24
	s_waitcnt lgkmcnt(2)
	v_add_f64 v[8:9], v[32:33], -v[10:11]
	ds_bpermute_b32 v10, v111, v108 offset:28
	ds_bpermute_b32 v11, v111, v109 offset:28
	v_add_f64 v[4:5], v[12:13], v[4:5]
	ds_bpermute_b32 v12, v111, v106 offset:28
	ds_bpermute_b32 v13, v111, v107 offset:28
	v_mul_f64 v[8:9], v[16:17], v[8:9]
	s_waitcnt lgkmcnt(4)
	v_fmac_f64_e32 v[20:21], v[8:9], v[6:7]
	s_waitcnt lgkmcnt(2)
	v_add_f64 v[6:7], v[34:35], -v[10:11]
	v_add_f64 v[4:5], v[14:15], v[4:5]
	v_mul_f64 v[6:7], v[18:19], v[6:7]
	v_add_f64 v[4:5], v[16:17], v[4:5]
	s_waitcnt lgkmcnt(0)
	v_mul_f64 v[6:7], v[6:7], v[12:13]
	s_mov_b64 s[38:39], 0
.LBB32_78:                              ;   in Loop: Header=BB32_56 Depth=1
	s_and_b64 vcc, exec, s[38:39]
	s_cbranch_vccz .LBB32_55
; %bb.79:                               ;   in Loop: Header=BB32_56 Depth=1
	s_load_dword s33, s[4:5], 0x0
	v_mov_b64_e32 v[4:5], 0
	v_mov_b64_e32 v[6:7], 0
	s_waitcnt lgkmcnt(0)
	s_cmp_lt_u32 s2, s33
	s_cselect_b32 s33, 12, 18
	s_add_u32 s38, s4, s33
	s_addc_u32 s39, s5, 0
	global_load_ushort v3, v2, s[38:39]
	s_waitcnt vmcnt(0)
	v_mad_u32_u24 v3, v1, v3, v110
	v_and_b32_e32 v8, 63, v3
	v_cmp_gt_u32_e32 vcc, 8, v8
	s_and_saveexec_b64 s[38:39], vcc
	s_cbranch_execz .LBB32_54
; %bb.80:                               ;   in Loop: Header=BB32_56 Depth=1
	v_mov_b32_e32 v9, v2
	v_lshl_add_u64 v[4:5], v[104:105], 0, v[8:9]
	v_lshl_add_u64 v[8:9], v[4:5], 0, s[12:13]
	v_cmp_gt_i64_e32 vcc, s[8:9], v[8:9]
	v_mov_b64_e32 v[6:7], 0
	v_mov_b64_e32 v[4:5], 0
	s_and_saveexec_b64 s[40:41], vcc
	s_cbranch_execz .LBB32_53
; %bb.81:                               ;   in Loop: Header=BB32_56 Depth=1
	v_lshlrev_b64 v[4:5], 3, v[8:9]
	v_lshl_add_u64 v[10:11], s[16:17], 0, v[4:5]
	v_lshl_add_u64 v[8:9], s[18:19], 0, v[4:5]
	global_load_dwordx2 v[6:7], v[10:11], off
	global_load_dwordx2 v[4:5], v[8:9], off
	s_branch .LBB32_53
.LBB32_82:
	v_and_b32_e32 v1, 0x3ff, v0
	v_bfe_u32 v2, v0, 10, 10
	s_movk_i32 s3, 0x41
	v_bfe_u32 v0, v0, 6, 4
	v_mad_u32_u24 v3, v2, s3, v1
	v_add_u32_e32 v0, v0, v2
	v_lshl_add_u32 v3, v3, 3, 0
	v_cmp_gt_u32_e32 vcc, 64, v0
	ds_write_b64 v3, v[38:39]
	ds_write_b64 v3, v[36:37] offset:4160
	s_waitcnt lgkmcnt(0)
	s_barrier
	s_and_saveexec_b64 s[4:5], vcc
	s_cbranch_execz .LBB32_146
; %bb.83:
	s_load_dwordx4 s[4:7], s[0:1], 0x30
	v_and_b32_e32 v2, 63, v1
	v_cmp_gt_u32_e64 s[0:1], 8, v2
	v_mul_u32_u24_e32 v8, 0x41, v2
                                        ; implicit-def: $vgpr2_vgpr3
                                        ; implicit-def: $vgpr4_vgpr5
	s_and_saveexec_b64 s[8:9], s[0:1]
	s_cbranch_execz .LBB32_85
; %bb.84:
	v_add_u32_e32 v2, v0, v8
	v_lshl_add_u32 v2, v2, 3, 0
	ds_read_b64 v[4:5], v2
	ds_read_b64 v[2:3], v2 offset:4160
.LBB32_85:
	s_or_b64 exec, exec, s[8:9]
	v_mbcnt_lo_u32_b32 v6, -1, 0
	v_mbcnt_hi_u32_b32 v14, -1, v6
	v_and_b32_e32 v6, 64, v14
	v_add_u32_e32 v15, 64, v6
	v_xor_b32_e32 v6, 4, v14
	v_cmp_lt_i32_e32 vcc, v6, v15
	s_mov_b32 s3, 0
	s_lshl_b64 s[8:9], s[2:3], 6
	v_cndmask_b32_e32 v6, v14, v6, vcc
	v_lshlrev_b32_e32 v9, 2, v6
	s_waitcnt lgkmcnt(0)
	ds_bpermute_b32 v6, v9, v4
	ds_bpermute_b32 v7, v9, v5
	;; [unrolled: 1-line block ×4, first 2 shown]
	v_cmp_eq_u32_e64 s[2:3], 0, v1
	v_xor_b32_e32 v1, 1, v14
	s_waitcnt lgkmcnt(2)
	v_add_f64 v[4:5], v[4:5], v[6:7]
	v_xor_b32_e32 v6, 2, v14
	v_cmp_lt_i32_e32 vcc, v6, v15
	s_waitcnt lgkmcnt(0)
	v_add_f64 v[2:3], v[2:3], v[10:11]
	s_cmp_lg_u64 s[4:5], 0
	v_cndmask_b32_e32 v6, v14, v6, vcc
	v_lshlrev_b32_e32 v10, 2, v6
	ds_bpermute_b32 v6, v10, v4
	ds_bpermute_b32 v7, v10, v5
	ds_bpermute_b32 v12, v10, v2
	ds_bpermute_b32 v13, v10, v3
	v_cmp_lt_i32_e32 vcc, v1, v15
	s_cselect_b64 s[14:15], -1, 0
	s_waitcnt lgkmcnt(2)
	v_add_f64 v[4:5], v[4:5], v[6:7]
	v_cndmask_b32_e32 v1, v14, v1, vcc
	s_waitcnt lgkmcnt(0)
	v_add_f64 v[6:7], v[2:3], v[12:13]
	v_lshlrev_b32_e32 v11, 2, v1
	ds_bpermute_b32 v2, v11, v4
	ds_bpermute_b32 v3, v11, v5
	;; [unrolled: 1-line block ×4, first 2 shown]
	s_cmp_lg_u64 s[6:7], 0
	s_cselect_b64 s[12:13], -1, 0
	s_waitcnt lgkmcnt(2)
	v_add_f64 v[2:3], v[4:5], v[2:3]
	v_mov_b32_e32 v1, 0
	s_waitcnt lgkmcnt(0)
	v_add_f64 v[4:5], v[6:7], v[12:13]
	v_or_b32_e32 v6, s8, v0
	v_mov_b32_e32 v7, s9
	v_cmp_gt_i64_e32 vcc, s[10:11], v[6:7]
	s_and_b64 s[18:19], s[2:3], vcc
	s_and_saveexec_b64 s[16:17], s[18:19]
	s_cbranch_execz .LBB32_90
; %bb.86:
	s_andn2_b64 vcc, exec, s[14:15]
	s_cbranch_vccnz .LBB32_88
; %bb.87:
	v_lshl_add_u64 v[12:13], v[6:7], 3, s[4:5]
	global_store_dwordx2 v[12:13], v[2:3], off
.LBB32_88:
	s_andn2_b64 vcc, exec, s[12:13]
	s_cbranch_vccnz .LBB32_90
; %bb.89:
	v_lshl_add_u64 v[6:7], v[6:7], 3, s[6:7]
	global_store_dwordx2 v[6:7], v[4:5], off
.LBB32_90:
	s_or_b64 exec, exec, s[16:17]
	v_cmp_gt_u32_e32 vcc, 56, v0
	s_and_b64 exec, exec, vcc
	s_cbranch_execz .LBB32_146
; %bb.91:
	s_and_saveexec_b64 s[16:17], s[0:1]
	s_cbranch_execz .LBB32_93
; %bb.92:
	v_add_u32_e32 v2, v0, v8
	v_lshl_add_u32 v4, v2, 3, 0
	ds_read_b64 v[2:3], v4 offset:64
	ds_read_b64 v[4:5], v4 offset:4224
.LBB32_93:
	s_or_b64 exec, exec, s[16:17]
	s_waitcnt lgkmcnt(1)
	ds_bpermute_b32 v6, v9, v2
	ds_bpermute_b32 v7, v9, v3
	s_waitcnt lgkmcnt(2)
	ds_bpermute_b32 v12, v9, v4
	ds_bpermute_b32 v13, v9, v5
	v_add_u32_e32 v14, 8, v0
	v_mov_b32_e32 v15, 0
	s_waitcnt lgkmcnt(2)
	v_add_f64 v[2:3], v[2:3], v[6:7]
	ds_bpermute_b32 v6, v10, v2
	ds_bpermute_b32 v7, v10, v3
	s_waitcnt lgkmcnt(2)
	v_add_f64 v[4:5], v[4:5], v[12:13]
	ds_bpermute_b32 v12, v10, v4
	ds_bpermute_b32 v13, v10, v5
	s_waitcnt lgkmcnt(2)
	v_add_f64 v[2:3], v[2:3], v[6:7]
	ds_bpermute_b32 v6, v11, v2
	ds_bpermute_b32 v7, v11, v3
	s_waitcnt lgkmcnt(2)
	v_add_f64 v[4:5], v[4:5], v[12:13]
	ds_bpermute_b32 v12, v11, v4
	ds_bpermute_b32 v13, v11, v5
	s_waitcnt lgkmcnt(2)
	v_add_f64 v[2:3], v[2:3], v[6:7]
	v_lshl_add_u64 v[6:7], s[8:9], 0, v[14:15]
	v_cmp_gt_i64_e32 vcc, s[10:11], v[6:7]
	s_waitcnt lgkmcnt(0)
	v_add_f64 v[4:5], v[4:5], v[12:13]
	s_and_b64 s[18:19], s[2:3], vcc
	s_and_saveexec_b64 s[16:17], s[18:19]
	s_cbranch_execz .LBB32_98
; %bb.94:
	s_andn2_b64 vcc, exec, s[14:15]
	s_cbranch_vccnz .LBB32_96
; %bb.95:
	v_lshl_add_u64 v[6:7], s[8:9], 0, v[0:1]
	v_lshl_add_u64 v[6:7], v[6:7], 3, s[4:5]
	global_store_dwordx2 v[6:7], v[2:3], off offset:64
.LBB32_96:
	s_andn2_b64 vcc, exec, s[12:13]
	s_cbranch_vccnz .LBB32_98
; %bb.97:
	v_lshl_add_u64 v[6:7], s[8:9], 0, v[0:1]
	v_lshl_add_u64 v[6:7], v[6:7], 3, s[6:7]
	global_store_dwordx2 v[6:7], v[4:5], off offset:64
.LBB32_98:
	s_or_b64 exec, exec, s[16:17]
	v_cmp_gt_u32_e32 vcc, 48, v0
	s_and_b64 exec, exec, vcc
	s_cbranch_execz .LBB32_146
; %bb.99:
	s_and_saveexec_b64 s[16:17], s[0:1]
	s_cbranch_execz .LBB32_101
; %bb.100:
	v_add_u32_e32 v2, v0, v8
	v_lshl_add_u32 v4, v2, 3, 0
	ds_read_b64 v[2:3], v4 offset:128
	ds_read_b64 v[4:5], v4 offset:4288
.LBB32_101:
	s_or_b64 exec, exec, s[16:17]
	s_waitcnt lgkmcnt(1)
	ds_bpermute_b32 v6, v9, v2
	ds_bpermute_b32 v7, v9, v3
	s_waitcnt lgkmcnt(2)
	ds_bpermute_b32 v12, v9, v4
	ds_bpermute_b32 v13, v9, v5
	v_add_u32_e32 v14, 16, v0
	v_mov_b32_e32 v15, 0
	s_waitcnt lgkmcnt(2)
	v_add_f64 v[2:3], v[2:3], v[6:7]
	ds_bpermute_b32 v6, v10, v2
	ds_bpermute_b32 v7, v10, v3
	s_waitcnt lgkmcnt(2)
	v_add_f64 v[4:5], v[4:5], v[12:13]
	ds_bpermute_b32 v12, v10, v4
	ds_bpermute_b32 v13, v10, v5
	s_waitcnt lgkmcnt(2)
	v_add_f64 v[2:3], v[2:3], v[6:7]
	ds_bpermute_b32 v6, v11, v2
	ds_bpermute_b32 v7, v11, v3
	s_waitcnt lgkmcnt(2)
	v_add_f64 v[4:5], v[4:5], v[12:13]
	ds_bpermute_b32 v12, v11, v4
	ds_bpermute_b32 v13, v11, v5
	s_waitcnt lgkmcnt(2)
	v_add_f64 v[2:3], v[2:3], v[6:7]
	v_lshl_add_u64 v[6:7], s[8:9], 0, v[14:15]
	v_cmp_gt_i64_e32 vcc, s[10:11], v[6:7]
	s_waitcnt lgkmcnt(0)
	v_add_f64 v[4:5], v[4:5], v[12:13]
	s_and_b64 s[18:19], s[2:3], vcc
	s_and_saveexec_b64 s[16:17], s[18:19]
	s_cbranch_execz .LBB32_106
; %bb.102:
	s_andn2_b64 vcc, exec, s[14:15]
	s_cbranch_vccnz .LBB32_104
; %bb.103:
	v_lshl_add_u64 v[6:7], s[8:9], 0, v[0:1]
	v_lshl_add_u64 v[6:7], v[6:7], 3, s[4:5]
	global_store_dwordx2 v[6:7], v[2:3], off offset:128
.LBB32_104:
	s_andn2_b64 vcc, exec, s[12:13]
	s_cbranch_vccnz .LBB32_106
; %bb.105:
	v_lshl_add_u64 v[6:7], s[8:9], 0, v[0:1]
	v_lshl_add_u64 v[6:7], v[6:7], 3, s[6:7]
	global_store_dwordx2 v[6:7], v[4:5], off offset:128
.LBB32_106:
	;; [unrolled: 62-line block ×3, first 2 shown]
	s_or_b64 exec, exec, s[16:17]
	v_cmp_gt_u32_e32 vcc, 32, v0
	s_and_b64 exec, exec, vcc
	s_cbranch_execz .LBB32_146
; %bb.115:
	s_and_saveexec_b64 s[16:17], s[0:1]
	s_cbranch_execz .LBB32_117
; %bb.116:
	v_add_u32_e32 v2, v0, v8
	v_lshl_add_u32 v4, v2, 3, 0
	ds_read_b64 v[2:3], v4 offset:256
	ds_read_b64 v[4:5], v4 offset:4416
.LBB32_117:
	s_or_b64 exec, exec, s[16:17]
	s_waitcnt lgkmcnt(1)
	ds_bpermute_b32 v6, v9, v2
	ds_bpermute_b32 v7, v9, v3
	s_waitcnt lgkmcnt(2)
	ds_bpermute_b32 v12, v9, v4
	ds_bpermute_b32 v13, v9, v5
	v_add_u32_e32 v14, 32, v0
	s_waitcnt lgkmcnt(2)
	v_add_f64 v[2:3], v[2:3], v[6:7]
	ds_bpermute_b32 v6, v10, v2
	ds_bpermute_b32 v7, v10, v3
	s_waitcnt lgkmcnt(2)
	v_add_f64 v[4:5], v[4:5], v[12:13]
	ds_bpermute_b32 v12, v10, v4
	ds_bpermute_b32 v13, v10, v5
	;; [unrolled: 4-line block ×4, first 2 shown]
	s_waitcnt lgkmcnt(2)
	v_add_f64 v[2:3], v[2:3], v[6:7]
	v_or_b32_e32 v6, s8, v14
	v_mov_b32_e32 v7, s9
	v_cmp_gt_i64_e32 vcc, s[10:11], v[6:7]
	s_waitcnt lgkmcnt(0)
	v_add_f64 v[4:5], v[4:5], v[12:13]
	s_and_b64 s[18:19], s[2:3], vcc
	s_and_saveexec_b64 s[16:17], s[18:19]
	s_cbranch_execz .LBB32_122
; %bb.118:
	s_andn2_b64 vcc, exec, s[14:15]
	s_cbranch_vccnz .LBB32_120
; %bb.119:
	v_lshl_add_u64 v[6:7], s[8:9], 0, v[0:1]
	v_lshl_add_u64 v[6:7], v[6:7], 3, s[4:5]
	global_store_dwordx2 v[6:7], v[2:3], off offset:256
.LBB32_120:
	s_andn2_b64 vcc, exec, s[12:13]
	s_cbranch_vccnz .LBB32_122
; %bb.121:
	v_lshl_add_u64 v[6:7], s[8:9], 0, v[0:1]
	v_lshl_add_u64 v[6:7], v[6:7], 3, s[6:7]
	global_store_dwordx2 v[6:7], v[4:5], off offset:256
.LBB32_122:
	s_or_b64 exec, exec, s[16:17]
	v_cmp_gt_u32_e32 vcc, 24, v0
	s_and_b64 exec, exec, vcc
	s_cbranch_execz .LBB32_146
; %bb.123:
	s_and_saveexec_b64 s[16:17], s[0:1]
	s_cbranch_execz .LBB32_125
; %bb.124:
	v_add_u32_e32 v2, v0, v8
	v_lshl_add_u32 v4, v2, 3, 0
	ds_read_b64 v[2:3], v4 offset:320
	ds_read_b64 v[4:5], v4 offset:4480
.LBB32_125:
	s_or_b64 exec, exec, s[16:17]
	s_waitcnt lgkmcnt(1)
	ds_bpermute_b32 v6, v9, v2
	ds_bpermute_b32 v7, v9, v3
	s_waitcnt lgkmcnt(2)
	ds_bpermute_b32 v12, v9, v4
	ds_bpermute_b32 v13, v9, v5
	v_add_u32_e32 v14, 40, v0
	v_mov_b32_e32 v15, 0
	s_waitcnt lgkmcnt(2)
	v_add_f64 v[2:3], v[2:3], v[6:7]
	ds_bpermute_b32 v6, v10, v2
	ds_bpermute_b32 v7, v10, v3
	s_waitcnt lgkmcnt(2)
	v_add_f64 v[4:5], v[4:5], v[12:13]
	ds_bpermute_b32 v12, v10, v4
	ds_bpermute_b32 v13, v10, v5
	;; [unrolled: 4-line block ×4, first 2 shown]
	s_waitcnt lgkmcnt(2)
	v_add_f64 v[2:3], v[2:3], v[6:7]
	v_lshl_add_u64 v[6:7], s[8:9], 0, v[14:15]
	v_cmp_gt_i64_e32 vcc, s[10:11], v[6:7]
	s_waitcnt lgkmcnt(0)
	v_add_f64 v[4:5], v[4:5], v[12:13]
	s_and_b64 s[18:19], s[2:3], vcc
	s_and_saveexec_b64 s[16:17], s[18:19]
	s_cbranch_execz .LBB32_130
; %bb.126:
	s_andn2_b64 vcc, exec, s[14:15]
	s_cbranch_vccnz .LBB32_128
; %bb.127:
	v_lshl_add_u64 v[6:7], s[8:9], 0, v[0:1]
	v_lshl_add_u64 v[6:7], v[6:7], 3, s[4:5]
	global_store_dwordx2 v[6:7], v[2:3], off offset:320
.LBB32_128:
	s_andn2_b64 vcc, exec, s[12:13]
	s_cbranch_vccnz .LBB32_130
; %bb.129:
	v_lshl_add_u64 v[6:7], s[8:9], 0, v[0:1]
	v_lshl_add_u64 v[6:7], v[6:7], 3, s[6:7]
	global_store_dwordx2 v[6:7], v[4:5], off offset:320
.LBB32_130:
	s_or_b64 exec, exec, s[16:17]
	v_cmp_gt_u32_e32 vcc, 16, v0
	s_and_b64 exec, exec, vcc
	s_cbranch_execz .LBB32_146
; %bb.131:
	s_and_saveexec_b64 s[16:17], s[0:1]
	s_cbranch_execz .LBB32_133
; %bb.132:
	v_add_u32_e32 v2, v0, v8
	v_lshl_add_u32 v4, v2, 3, 0
	ds_read_b64 v[2:3], v4 offset:384
	ds_read_b64 v[4:5], v4 offset:4544
.LBB32_133:
	s_or_b64 exec, exec, s[16:17]
	s_waitcnt lgkmcnt(1)
	ds_bpermute_b32 v6, v9, v2
	ds_bpermute_b32 v7, v9, v3
	s_waitcnt lgkmcnt(2)
	ds_bpermute_b32 v12, v9, v4
	ds_bpermute_b32 v13, v9, v5
	v_add_u32_e32 v14, 48, v0
	s_waitcnt lgkmcnt(2)
	v_add_f64 v[2:3], v[2:3], v[6:7]
	ds_bpermute_b32 v6, v10, v2
	ds_bpermute_b32 v7, v10, v3
	s_waitcnt lgkmcnt(2)
	v_add_f64 v[4:5], v[4:5], v[12:13]
	ds_bpermute_b32 v12, v10, v4
	ds_bpermute_b32 v13, v10, v5
	;; [unrolled: 4-line block ×4, first 2 shown]
	s_waitcnt lgkmcnt(2)
	v_add_f64 v[2:3], v[2:3], v[6:7]
	v_or_b32_e32 v6, s8, v14
	v_mov_b32_e32 v7, s9
	v_cmp_gt_i64_e32 vcc, s[10:11], v[6:7]
	s_waitcnt lgkmcnt(0)
	v_add_f64 v[4:5], v[4:5], v[12:13]
	s_and_b64 s[18:19], s[2:3], vcc
	s_and_saveexec_b64 s[16:17], s[18:19]
	s_cbranch_execz .LBB32_138
; %bb.134:
	s_andn2_b64 vcc, exec, s[14:15]
	s_cbranch_vccnz .LBB32_136
; %bb.135:
	v_lshl_add_u64 v[6:7], s[8:9], 0, v[0:1]
	v_lshl_add_u64 v[6:7], v[6:7], 3, s[4:5]
	global_store_dwordx2 v[6:7], v[2:3], off offset:384
.LBB32_136:
	s_andn2_b64 vcc, exec, s[12:13]
	s_cbranch_vccnz .LBB32_138
; %bb.137:
	v_lshl_add_u64 v[6:7], s[8:9], 0, v[0:1]
	v_lshl_add_u64 v[6:7], v[6:7], 3, s[6:7]
	global_store_dwordx2 v[6:7], v[4:5], off offset:384
.LBB32_138:
	s_or_b64 exec, exec, s[16:17]
	v_cmp_gt_u32_e32 vcc, 8, v0
	s_and_b64 exec, exec, vcc
	s_cbranch_execz .LBB32_146
; %bb.139:
	s_and_saveexec_b64 s[16:17], s[0:1]
	s_cbranch_execz .LBB32_141
; %bb.140:
	v_add_u32_e32 v2, v0, v8
	v_lshl_add_u32 v4, v2, 3, 0
	ds_read_b64 v[2:3], v4 offset:448
	ds_read_b64 v[4:5], v4 offset:4608
.LBB32_141:
	s_or_b64 exec, exec, s[16:17]
	s_waitcnt lgkmcnt(1)
	ds_bpermute_b32 v6, v9, v2
	ds_bpermute_b32 v7, v9, v3
	s_waitcnt lgkmcnt(2)
	ds_bpermute_b32 v8, v9, v4
	ds_bpermute_b32 v9, v9, v5
	s_waitcnt lgkmcnt(2)
	v_add_f64 v[2:3], v[2:3], v[6:7]
	ds_bpermute_b32 v6, v10, v2
	s_waitcnt lgkmcnt(1)
	v_add_f64 v[4:5], v[4:5], v[8:9]
	ds_bpermute_b32 v7, v10, v3
	ds_bpermute_b32 v8, v10, v4
	ds_bpermute_b32 v9, v10, v5
	v_add_u32_e32 v10, 56, v0
	v_or_b32_e32 v10, s8, v10
	s_waitcnt lgkmcnt(2)
	v_add_f64 v[6:7], v[2:3], v[6:7]
	s_waitcnt lgkmcnt(0)
	v_add_f64 v[2:3], v[4:5], v[8:9]
	ds_bpermute_b32 v8, v11, v6
	ds_bpermute_b32 v9, v11, v7
	;; [unrolled: 1-line block ×4, first 2 shown]
	v_mov_b32_e32 v11, s9
	v_cmp_gt_i64_e32 vcc, s[10:11], v[10:11]
	s_and_b64 s[0:1], s[2:3], vcc
	s_and_b64 exec, exec, s[0:1]
	s_cbranch_execz .LBB32_146
; %bb.142:
	s_andn2_b64 vcc, exec, s[14:15]
	v_lshl_add_u64 v[0:1], s[8:9], 0, v[0:1]
	s_cbranch_vccnz .LBB32_144
; %bb.143:
	s_waitcnt lgkmcnt(2)
	v_add_f64 v[6:7], v[6:7], v[8:9]
	v_lshl_add_u64 v[8:9], v[0:1], 3, s[4:5]
	global_store_dwordx2 v[8:9], v[6:7], off offset:448
.LBB32_144:
	s_andn2_b64 vcc, exec, s[12:13]
	s_cbranch_vccnz .LBB32_146
; %bb.145:
	s_waitcnt lgkmcnt(0)
	v_add_f64 v[2:3], v[2:3], v[4:5]
	v_lshl_add_u64 v[0:1], v[0:1], 3, s[6:7]
	global_store_dwordx2 v[0:1], v[2:3], off offset:448
.LBB32_146:
	s_endpgm
	.section	.rodata,"a",@progbits
	.p2align	6, 0x0
	.amdhsa_kernel _ZN2at6native12_GLOBAL__N_135GammaBetaBackwardCUDAKernelTemplateIddLj64ELj8ELj64ELb0ELb0ELb0EEEvllPKT_S5_PKT0_S8_PS3_S9_
		.amdhsa_group_segment_fixed_size 0
		.amdhsa_private_segment_fixed_size 0
		.amdhsa_kernarg_size 320
		.amdhsa_user_sgpr_count 2
		.amdhsa_user_sgpr_dispatch_ptr 0
		.amdhsa_user_sgpr_queue_ptr 0
		.amdhsa_user_sgpr_kernarg_segment_ptr 1
		.amdhsa_user_sgpr_dispatch_id 0
		.amdhsa_user_sgpr_kernarg_preload_length 0
		.amdhsa_user_sgpr_kernarg_preload_offset 0
		.amdhsa_user_sgpr_private_segment_size 0
		.amdhsa_uses_dynamic_stack 0
		.amdhsa_enable_private_segment 0
		.amdhsa_system_sgpr_workgroup_id_x 1
		.amdhsa_system_sgpr_workgroup_id_y 1
		.amdhsa_system_sgpr_workgroup_id_z 0
		.amdhsa_system_sgpr_workgroup_info 0
		.amdhsa_system_vgpr_workitem_id 1
		.amdhsa_next_free_vgpr 126
		.amdhsa_next_free_sgpr 52
		.amdhsa_accum_offset 128
		.amdhsa_reserve_vcc 1
		.amdhsa_float_round_mode_32 0
		.amdhsa_float_round_mode_16_64 0
		.amdhsa_float_denorm_mode_32 3
		.amdhsa_float_denorm_mode_16_64 3
		.amdhsa_dx10_clamp 1
		.amdhsa_ieee_mode 1
		.amdhsa_fp16_overflow 0
		.amdhsa_tg_split 0
		.amdhsa_exception_fp_ieee_invalid_op 0
		.amdhsa_exception_fp_denorm_src 0
		.amdhsa_exception_fp_ieee_div_zero 0
		.amdhsa_exception_fp_ieee_overflow 0
		.amdhsa_exception_fp_ieee_underflow 0
		.amdhsa_exception_fp_ieee_inexact 0
		.amdhsa_exception_int_div_zero 0
	.end_amdhsa_kernel
	.section	.text._ZN2at6native12_GLOBAL__N_135GammaBetaBackwardCUDAKernelTemplateIddLj64ELj8ELj64ELb0ELb0ELb0EEEvllPKT_S5_PKT0_S8_PS3_S9_,"axG",@progbits,_ZN2at6native12_GLOBAL__N_135GammaBetaBackwardCUDAKernelTemplateIddLj64ELj8ELj64ELb0ELb0ELb0EEEvllPKT_S5_PKT0_S8_PS3_S9_,comdat
.Lfunc_end32:
	.size	_ZN2at6native12_GLOBAL__N_135GammaBetaBackwardCUDAKernelTemplateIddLj64ELj8ELj64ELb0ELb0ELb0EEEvllPKT_S5_PKT0_S8_PS3_S9_, .Lfunc_end32-_ZN2at6native12_GLOBAL__N_135GammaBetaBackwardCUDAKernelTemplateIddLj64ELj8ELj64ELb0ELb0ELb0EEEvllPKT_S5_PKT0_S8_PS3_S9_
                                        ; -- End function
	.set _ZN2at6native12_GLOBAL__N_135GammaBetaBackwardCUDAKernelTemplateIddLj64ELj8ELj64ELb0ELb0ELb0EEEvllPKT_S5_PKT0_S8_PS3_S9_.num_vgpr, 126
	.set _ZN2at6native12_GLOBAL__N_135GammaBetaBackwardCUDAKernelTemplateIddLj64ELj8ELj64ELb0ELb0ELb0EEEvllPKT_S5_PKT0_S8_PS3_S9_.num_agpr, 0
	.set _ZN2at6native12_GLOBAL__N_135GammaBetaBackwardCUDAKernelTemplateIddLj64ELj8ELj64ELb0ELb0ELb0EEEvllPKT_S5_PKT0_S8_PS3_S9_.numbered_sgpr, 52
	.set _ZN2at6native12_GLOBAL__N_135GammaBetaBackwardCUDAKernelTemplateIddLj64ELj8ELj64ELb0ELb0ELb0EEEvllPKT_S5_PKT0_S8_PS3_S9_.num_named_barrier, 0
	.set _ZN2at6native12_GLOBAL__N_135GammaBetaBackwardCUDAKernelTemplateIddLj64ELj8ELj64ELb0ELb0ELb0EEEvllPKT_S5_PKT0_S8_PS3_S9_.private_seg_size, 0
	.set _ZN2at6native12_GLOBAL__N_135GammaBetaBackwardCUDAKernelTemplateIddLj64ELj8ELj64ELb0ELb0ELb0EEEvllPKT_S5_PKT0_S8_PS3_S9_.uses_vcc, 1
	.set _ZN2at6native12_GLOBAL__N_135GammaBetaBackwardCUDAKernelTemplateIddLj64ELj8ELj64ELb0ELb0ELb0EEEvllPKT_S5_PKT0_S8_PS3_S9_.uses_flat_scratch, 0
	.set _ZN2at6native12_GLOBAL__N_135GammaBetaBackwardCUDAKernelTemplateIddLj64ELj8ELj64ELb0ELb0ELb0EEEvllPKT_S5_PKT0_S8_PS3_S9_.has_dyn_sized_stack, 0
	.set _ZN2at6native12_GLOBAL__N_135GammaBetaBackwardCUDAKernelTemplateIddLj64ELj8ELj64ELb0ELb0ELb0EEEvllPKT_S5_PKT0_S8_PS3_S9_.has_recursion, 0
	.set _ZN2at6native12_GLOBAL__N_135GammaBetaBackwardCUDAKernelTemplateIddLj64ELj8ELj64ELb0ELb0ELb0EEEvllPKT_S5_PKT0_S8_PS3_S9_.has_indirect_call, 0
	.section	.AMDGPU.csdata,"",@progbits
; Kernel info:
; codeLenInByte = 10460
; TotalNumSgprs: 58
; NumVgprs: 126
; NumAgprs: 0
; TotalNumVgprs: 126
; ScratchSize: 0
; MemoryBound: 1
; FloatMode: 240
; IeeeMode: 1
; LDSByteSize: 0 bytes/workgroup (compile time only)
; SGPRBlocks: 7
; VGPRBlocks: 15
; NumSGPRsForWavesPerEU: 58
; NumVGPRsForWavesPerEU: 126
; AccumOffset: 128
; Occupancy: 4
; WaveLimiterHint : 0
; COMPUTE_PGM_RSRC2:SCRATCH_EN: 0
; COMPUTE_PGM_RSRC2:USER_SGPR: 2
; COMPUTE_PGM_RSRC2:TRAP_HANDLER: 0
; COMPUTE_PGM_RSRC2:TGID_X_EN: 1
; COMPUTE_PGM_RSRC2:TGID_Y_EN: 1
; COMPUTE_PGM_RSRC2:TGID_Z_EN: 0
; COMPUTE_PGM_RSRC2:TIDIG_COMP_CNT: 1
; COMPUTE_PGM_RSRC3_GFX90A:ACCUM_OFFSET: 31
; COMPUTE_PGM_RSRC3_GFX90A:TG_SPLIT: 0
	.section	.text._ZN2at6native12_GLOBAL__N_135GammaBetaBackwardCUDAKernelTemplateIddLj64ELj16ELj128ELb0ELb1ELb0EEEvllPKT_S5_PKT0_S8_PS3_S9_,"axG",@progbits,_ZN2at6native12_GLOBAL__N_135GammaBetaBackwardCUDAKernelTemplateIddLj64ELj16ELj128ELb0ELb1ELb0EEEvllPKT_S5_PKT0_S8_PS3_S9_,comdat
	.globl	_ZN2at6native12_GLOBAL__N_135GammaBetaBackwardCUDAKernelTemplateIddLj64ELj16ELj128ELb0ELb1ELb0EEEvllPKT_S5_PKT0_S8_PS3_S9_ ; -- Begin function _ZN2at6native12_GLOBAL__N_135GammaBetaBackwardCUDAKernelTemplateIddLj64ELj16ELj128ELb0ELb1ELb0EEEvllPKT_S5_PKT0_S8_PS3_S9_
	.p2align	8
	.type	_ZN2at6native12_GLOBAL__N_135GammaBetaBackwardCUDAKernelTemplateIddLj64ELj16ELj128ELb0ELb1ELb0EEEvllPKT_S5_PKT0_S8_PS3_S9_,@function
_ZN2at6native12_GLOBAL__N_135GammaBetaBackwardCUDAKernelTemplateIddLj64ELj16ELj128ELb0ELb1ELb0EEEvllPKT_S5_PKT0_S8_PS3_S9_: ; @_ZN2at6native12_GLOBAL__N_135GammaBetaBackwardCUDAKernelTemplateIddLj64ELj16ELj128ELb0ELb1ELb0EEEvllPKT_S5_PKT0_S8_PS3_S9_
; %bb.0:
	s_load_dwordx4 s[16:19], s[0:1], 0x0
	s_lshl_b32 s20, s3, 7
	s_mov_b32 s21, 0
	v_mov_b64_e32 v[2:3], s[20:21]
	v_bfe_u32 v44, v0, 10, 10
	s_waitcnt lgkmcnt(0)
	v_cmp_gt_i64_e32 vcc, s[16:17], v[2:3]
	s_cbranch_vccnz .LBB33_2
; %bb.1:
	s_mov_b64 s[4:5], 0
	v_bfe_u32 v1, v0, 10, 10
	s_branch .LBB33_3
.LBB33_2:
	s_mov_b64 s[4:5], -1
                                        ; implicit-def: $vgpr1
.LBB33_3:
	s_load_dwordx4 s[12:15], s[0:1], 0x30
	v_and_b32_e32 v42, 0x3ff, v0
	v_mov_b64_e32 v[12:13], 0
	s_andn2_b64 vcc, exec, s[4:5]
	v_mbcnt_lo_u32_b32 v43, -1, 0
	v_mov_b64_e32 v[4:5], 0
	s_cbranch_vccnz .LBB33_11
; %bb.4:
	s_load_dword s3, s[0:1], 0x4c
	s_load_dword s22, s[0:1], 0x44
	s_load_dwordx8 s[4:11], s[0:1], 0x10
	v_mbcnt_hi_u32_b32 v6, -1, v43
	v_lshlrev_b32_e32 v0, 3, v44
	s_waitcnt lgkmcnt(0)
	s_and_b32 s0, s3, 0xffff
	v_mad_u32_u24 v1, v44, s0, v42
	v_and_b32_e32 v2, 63, v1
	v_mov_b32_e32 v1, 0
	v_lshlrev_b32_e32 v6, 2, v6
	v_mov_b32_e32 v3, v1
	v_and_b32_e32 v45, 0x100, v6
	v_lshl_add_u64 v[6:7], v[0:1], 0, s[20:21]
	v_mov_b32_e32 v5, v1
	s_lshl_b32 s22, s22, 7
	v_lshl_add_u64 v[0:1], v[6:7], 0, v[2:3]
	v_mul_lo_u32 v8, s19, v6
	v_mul_lo_u32 v9, s18, v7
	v_mad_u64_u32 v[6:7], s[26:27], s18, v6, 0
	v_lshl_add_u32 v4, s2, 6, v42
	s_mul_i32 s3, s19, s22
	s_mul_hi_u32 s26, s18, s22
	s_mov_b32 s23, 0
	v_add3_u32 v7, v7, v9, v8
	v_lshlrev_b64 v[4:5], 3, v[4:5]
	s_add_i32 s27, s26, s3
	s_mul_i32 s26, s18, s22
	v_cmp_gt_u32_e64 s[0:1], 8, v2
	v_or_b32_e32 v46, 4, v45
	v_or_b32_e32 v47, 8, v45
	;; [unrolled: 1-line block ×7, first 2 shown]
	v_lshlrev_b64 v[2:3], 3, v[0:1]
	s_lshl_b64 s[24:25], s[22:23], 3
	v_lshl_add_u64 v[6:7], v[6:7], 3, v[4:5]
	s_lshl_b64 s[26:27], s[26:27], 3
	s_lshl_b64 s[18:19], s[18:19], 3
	v_mov_b64_e32 v[4:5], 0
	v_mov_b64_e32 v[8:9], s[16:17]
	;; [unrolled: 1-line block ×3, first 2 shown]
	s_branch .LBB33_7
.LBB33_5:                               ;   in Loop: Header=BB33_7 Depth=1
	s_or_b64 exec, exec, s[30:31]
.LBB33_6:                               ;   in Loop: Header=BB33_7 Depth=1
	s_or_b64 exec, exec, s[28:29]
	v_lshl_add_u64 v[14:15], s[6:7], 0, v[6:7]
	global_load_dwordx2 v[54:55], v[14:15], off
	v_lshl_add_u64 v[16:17], s[4:5], 0, v[6:7]
	global_load_dwordx2 v[36:37], v[16:17], off
	;; [unrolled: 2-line block ×6, first 2 shown]
	v_lshl_add_u64 v[14:15], v[14:15], 0, s[18:19]
	v_lshl_add_u64 v[16:17], v[16:17], 0, s[18:19]
	global_load_dwordx2 v[34:35], v[14:15], off
	global_load_dwordx2 v[30:31], v[16:17], off
	v_lshl_add_u64 v[14:15], v[14:15], 0, s[18:19]
	v_lshl_add_u64 v[16:17], v[16:17], 0, s[18:19]
	global_load_dwordx2 v[32:33], v[14:15], off
	global_load_dwordx2 v[20:21], v[16:17], off
	;; [unrolled: 4-line block ×3, first 2 shown]
	v_lshl_add_u64 v[14:15], v[14:15], 0, s[18:19]
	global_load_dwordx2 v[24:25], v[14:15], off
	v_lshl_add_u64 v[18:19], v[16:17], 0, s[18:19]
	global_load_dwordx2 v[16:17], v[18:19], off
	v_lshl_add_u64 v[62:63], v[14:15], 0, s[18:19]
	v_lshl_add_u64 v[60:61], v[18:19], 0, s[18:19]
	global_load_dwordx2 v[18:19], v[62:63], off
	global_load_dwordx2 v[14:15], v[60:61], off
	s_waitcnt vmcnt(17)
	ds_bpermute_b32 v60, v45, v28
	ds_bpermute_b32 v61, v45, v29
	s_waitcnt vmcnt(16)
	ds_bpermute_b32 v62, v45, v10
	ds_bpermute_b32 v63, v45, v11
	s_add_u32 s20, s20, s22
	s_addc_u32 s21, s21, 0
	v_cmp_lt_i64_e32 vcc, s[20:21], v[8:9]
	v_lshl_add_u64 v[2:3], v[2:3], 0, s[24:25]
	v_lshl_add_u64 v[0:1], v[0:1], 0, s[22:23]
	;; [unrolled: 1-line block ×3, first 2 shown]
	s_and_b64 vcc, exec, vcc
	s_waitcnt vmcnt(15) lgkmcnt(2)
	v_add_f64 v[54:55], v[54:55], -v[60:61]
	ds_bpermute_b32 v60, v46, v28
	ds_bpermute_b32 v61, v46, v29
	s_waitcnt vmcnt(14)
	v_mul_f64 v[54:55], v[36:37], v[54:55]
	s_waitcnt lgkmcnt(2)
	v_fmac_f64_e32 v[4:5], v[54:55], v[62:63]
	ds_bpermute_b32 v54, v46, v10
	ds_bpermute_b32 v55, v46, v11
	s_waitcnt vmcnt(13) lgkmcnt(2)
	v_add_f64 v[56:57], v[56:57], -v[60:61]
	ds_bpermute_b32 v60, v47, v28
	ds_bpermute_b32 v61, v47, v29
	;; [unrolled: 1-line block ×4, first 2 shown]
	s_waitcnt vmcnt(12)
	v_mul_f64 v[56:57], v[38:39], v[56:57]
	s_waitcnt lgkmcnt(4)
	v_fmac_f64_e32 v[4:5], v[56:57], v[54:55]
	ds_bpermute_b32 v54, v48, v28
	ds_bpermute_b32 v55, v48, v29
	s_waitcnt vmcnt(11) lgkmcnt(4)
	v_add_f64 v[58:59], v[58:59], -v[60:61]
	ds_bpermute_b32 v56, v49, v28
	ds_bpermute_b32 v57, v49, v29
	s_waitcnt vmcnt(10)
	v_mul_f64 v[58:59], v[40:41], v[58:59]
	ds_bpermute_b32 v60, v50, v28
	ds_bpermute_b32 v61, v50, v29
	s_waitcnt lgkmcnt(6)
	v_fmac_f64_e32 v[4:5], v[58:59], v[62:63]
	ds_bpermute_b32 v62, v48, v10
	ds_bpermute_b32 v63, v48, v11
	ds_bpermute_b32 v58, v51, v28
	ds_bpermute_b32 v59, v51, v29
	v_add_f64 v[12:13], v[12:13], v[36:37]
	ds_bpermute_b32 v36, v49, v10
	ds_bpermute_b32 v37, v49, v11
	;; [unrolled: 1-line block ×4, first 2 shown]
	v_add_f64 v[12:13], v[12:13], v[38:39]
	ds_bpermute_b32 v38, v50, v10
	ds_bpermute_b32 v39, v50, v11
	v_add_f64 v[12:13], v[12:13], v[40:41]
	ds_bpermute_b32 v40, v51, v10
	ds_bpermute_b32 v41, v51, v11
	s_waitcnt vmcnt(9) lgkmcnt(14)
	v_add_f64 v[34:35], v[34:35], -v[54:55]
	ds_bpermute_b32 v10, v52, v10
	s_waitcnt vmcnt(8)
	v_add_f64 v[12:13], v[12:13], v[30:31]
	v_mul_f64 v[30:31], v[30:31], v[34:35]
	s_waitcnt vmcnt(7)
	v_add_f64 v[32:33], v[32:33], -v[56:57]
	ds_bpermute_b32 v11, v52, v11
	s_waitcnt vmcnt(6)
	v_add_f64 v[12:13], v[12:13], v[20:21]
	s_waitcnt lgkmcnt(12)
	v_fmac_f64_e32 v[4:5], v[30:31], v[62:63]
	v_mul_f64 v[20:21], v[20:21], v[32:33]
	s_waitcnt vmcnt(5)
	v_add_f64 v[26:27], v[26:27], -v[60:61]
	s_waitcnt vmcnt(4)
	v_add_f64 v[12:13], v[12:13], v[22:23]
	s_waitcnt lgkmcnt(8)
	v_fmac_f64_e32 v[4:5], v[20:21], v[36:37]
	v_mul_f64 v[20:21], v[22:23], v[26:27]
	s_waitcnt vmcnt(3)
	v_add_f64 v[22:23], v[24:25], -v[58:59]
	s_waitcnt lgkmcnt(4)
	v_fmac_f64_e32 v[4:5], v[20:21], v[38:39]
	s_waitcnt vmcnt(2)
	v_mul_f64 v[20:21], v[16:17], v[22:23]
	v_add_f64 v[12:13], v[12:13], v[16:17]
	s_waitcnt vmcnt(1)
	v_add_f64 v[16:17], v[18:19], -v[28:29]
	s_waitcnt lgkmcnt(2)
	v_fmac_f64_e32 v[4:5], v[20:21], v[40:41]
	s_waitcnt vmcnt(0)
	v_mul_f64 v[16:17], v[14:15], v[16:17]
	s_waitcnt lgkmcnt(0)
	v_fmac_f64_e32 v[4:5], v[16:17], v[10:11]
	v_add_f64 v[12:13], v[12:13], v[14:15]
	s_cbranch_vccz .LBB33_10
.LBB33_7:                               ; =>This Inner Loop Header: Depth=1
	v_mov_b64_e32 v[10:11], 0
	v_mov_b64_e32 v[28:29], 0
	s_and_saveexec_b64 s[28:29], s[0:1]
	s_cbranch_execz .LBB33_6
; %bb.8:                                ;   in Loop: Header=BB33_7 Depth=1
	v_cmp_gt_i64_e32 vcc, s[16:17], v[0:1]
	v_mov_b64_e32 v[28:29], 0
	v_mov_b64_e32 v[10:11], 0
	s_and_saveexec_b64 s[30:31], vcc
	s_cbranch_execz .LBB33_5
; %bb.9:                                ;   in Loop: Header=BB33_7 Depth=1
	v_lshl_add_u64 v[16:17], s[8:9], 0, v[2:3]
	v_lshl_add_u64 v[14:15], s[10:11], 0, v[2:3]
	global_load_dwordx2 v[28:29], v[16:17], off
	global_load_dwordx2 v[10:11], v[14:15], off
	s_branch .LBB33_5
.LBB33_10:
	v_mov_b32_e32 v1, v44
.LBB33_11:
	s_movk_i32 s0, 0x41
	v_mad_u32_u24 v0, v1, s0, v42
	v_lshl_add_u32 v0, v0, 3, 0
	ds_write_b64 v0, v[4:5]
	ds_write_b64 v0, v[12:13] offset:8320
	v_lshrrev_b32_e32 v0, 6, v42
	v_add_u32_e32 v0, v0, v1
	v_cmp_gt_u32_e32 vcc, 64, v0
	s_waitcnt lgkmcnt(0)
	s_barrier
	s_and_saveexec_b64 s[0:1], vcc
	s_cbranch_execz .LBB33_43
; %bb.12:
	v_and_b32_e32 v1, 63, v42
	v_cmp_gt_u32_e64 s[0:1], 16, v1
	v_mul_u32_u24_e32 v8, 0x41, v1
                                        ; implicit-def: $vgpr2_vgpr3
                                        ; implicit-def: $vgpr4_vgpr5
	s_and_saveexec_b64 s[4:5], s[0:1]
	s_cbranch_execz .LBB33_14
; %bb.13:
	v_add_u32_e32 v1, v0, v8
	v_lshl_add_u32 v1, v1, 3, 0
	ds_read_b64 v[4:5], v1
	ds_read_b64 v[2:3], v1 offset:8320
.LBB33_14:
	s_or_b64 exec, exec, s[4:5]
	v_mbcnt_hi_u32_b32 v1, -1, v43
	v_and_b32_e32 v6, 64, v1
	v_add_u32_e32 v14, 64, v6
	v_xor_b32_e32 v6, 8, v1
	v_cmp_lt_i32_e32 vcc, v6, v14
	s_mov_b32 s3, 0
	s_lshl_b64 s[4:5], s[2:3], 6
	v_cndmask_b32_e32 v6, v1, v6, vcc
	v_lshlrev_b32_e32 v9, 2, v6
	s_waitcnt lgkmcnt(1)
	ds_bpermute_b32 v6, v9, v4
	ds_bpermute_b32 v7, v9, v5
	s_waitcnt lgkmcnt(2)
	ds_bpermute_b32 v10, v9, v2
	ds_bpermute_b32 v11, v9, v3
	s_cmp_lg_u64 s[12:13], 0
	s_cselect_b64 s[8:9], -1, 0
	s_waitcnt lgkmcnt(2)
	v_add_f64 v[4:5], v[4:5], v[6:7]
	v_xor_b32_e32 v6, 4, v1
	v_cmp_lt_i32_e32 vcc, v6, v14
	s_waitcnt lgkmcnt(0)
	v_add_f64 v[2:3], v[2:3], v[10:11]
	s_cmp_lg_u64 s[14:15], 0
	v_cndmask_b32_e32 v6, v1, v6, vcc
	v_lshlrev_b32_e32 v10, 2, v6
	ds_bpermute_b32 v6, v10, v4
	ds_bpermute_b32 v7, v10, v5
	ds_bpermute_b32 v12, v10, v2
	ds_bpermute_b32 v13, v10, v3
	v_cmp_eq_u32_e64 s[2:3], 0, v42
	s_cselect_b64 s[6:7], -1, 0
	s_waitcnt lgkmcnt(2)
	v_add_f64 v[4:5], v[4:5], v[6:7]
	v_xor_b32_e32 v6, 2, v1
	v_cmp_lt_i32_e32 vcc, v6, v14
	s_waitcnt lgkmcnt(0)
	v_add_f64 v[2:3], v[2:3], v[12:13]
	v_cndmask_b32_e32 v6, v1, v6, vcc
	v_lshlrev_b32_e32 v11, 2, v6
	ds_bpermute_b32 v6, v11, v4
	ds_bpermute_b32 v7, v11, v5
	;; [unrolled: 1-line block ×4, first 2 shown]
	s_waitcnt lgkmcnt(2)
	v_add_f64 v[4:5], v[4:5], v[6:7]
	s_waitcnt lgkmcnt(0)
	v_add_f64 v[6:7], v[2:3], v[12:13]
	v_xor_b32_e32 v2, 1, v1
	v_cmp_lt_i32_e32 vcc, v2, v14
	s_nop 1
	v_cndmask_b32_e32 v1, v1, v2, vcc
	v_lshlrev_b32_e32 v12, 2, v1
	ds_bpermute_b32 v2, v12, v4
	ds_bpermute_b32 v3, v12, v5
	;; [unrolled: 1-line block ×4, first 2 shown]
	v_mov_b32_e32 v1, 0
	s_waitcnt lgkmcnt(2)
	v_add_f64 v[2:3], v[4:5], v[2:3]
	s_waitcnt lgkmcnt(0)
	v_add_f64 v[4:5], v[6:7], v[14:15]
	s_and_saveexec_b64 s[10:11], s[2:3]
	s_cbranch_execz .LBB33_19
; %bb.15:
	v_mov_b32_e32 v7, s5
	s_andn2_b64 vcc, exec, s[8:9]
	v_or_b32_e32 v6, s4, v0
	s_cbranch_vccnz .LBB33_17
; %bb.16:
	v_lshl_add_u64 v[14:15], v[6:7], 3, s[12:13]
	global_store_dwordx2 v[14:15], v[2:3], off
.LBB33_17:
	s_andn2_b64 vcc, exec, s[6:7]
	s_cbranch_vccnz .LBB33_19
; %bb.18:
	v_lshl_add_u64 v[6:7], v[6:7], 3, s[14:15]
	global_store_dwordx2 v[6:7], v[4:5], off
.LBB33_19:
	s_or_b64 exec, exec, s[10:11]
	v_cmp_gt_u32_e32 vcc, 48, v0
	s_and_b64 exec, exec, vcc
	s_cbranch_execz .LBB33_43
; %bb.20:
	s_and_saveexec_b64 s[10:11], s[0:1]
	s_cbranch_execz .LBB33_22
; %bb.21:
	v_add_u32_e32 v2, v0, v8
	v_lshl_add_u32 v4, v2, 3, 0
	ds_read_b64 v[2:3], v4 offset:128
	ds_read_b64 v[4:5], v4 offset:8448
.LBB33_22:
	s_or_b64 exec, exec, s[10:11]
	s_waitcnt lgkmcnt(1)
	ds_bpermute_b32 v6, v9, v2
	ds_bpermute_b32 v7, v9, v3
	s_waitcnt lgkmcnt(2)
	ds_bpermute_b32 v14, v9, v4
	ds_bpermute_b32 v15, v9, v5
	s_waitcnt lgkmcnt(2)
	v_add_f64 v[2:3], v[2:3], v[6:7]
	ds_bpermute_b32 v6, v10, v2
	s_waitcnt lgkmcnt(1)
	v_add_f64 v[4:5], v[4:5], v[14:15]
	ds_bpermute_b32 v7, v10, v3
	ds_bpermute_b32 v14, v10, v4
	ds_bpermute_b32 v15, v10, v5
	s_waitcnt lgkmcnt(2)
	v_add_f64 v[2:3], v[2:3], v[6:7]
	ds_bpermute_b32 v6, v11, v2
	s_waitcnt lgkmcnt(1)
	v_add_f64 v[4:5], v[4:5], v[14:15]
	ds_bpermute_b32 v7, v11, v3
	;; [unrolled: 8-line block ×3, first 2 shown]
	ds_bpermute_b32 v14, v12, v4
	ds_bpermute_b32 v15, v12, v5
	s_waitcnt lgkmcnt(2)
	v_add_f64 v[2:3], v[2:3], v[6:7]
	s_waitcnt lgkmcnt(0)
	v_add_f64 v[4:5], v[4:5], v[14:15]
	s_and_saveexec_b64 s[10:11], s[2:3]
	s_cbranch_execz .LBB33_27
; %bb.23:
	s_andn2_b64 vcc, exec, s[8:9]
	s_cbranch_vccnz .LBB33_25
; %bb.24:
	v_lshl_add_u64 v[6:7], s[4:5], 0, v[0:1]
	v_lshl_add_u64 v[6:7], v[6:7], 3, s[12:13]
	global_store_dwordx2 v[6:7], v[2:3], off offset:128
.LBB33_25:
	s_andn2_b64 vcc, exec, s[6:7]
	s_cbranch_vccnz .LBB33_27
; %bb.26:
	v_lshl_add_u64 v[6:7], s[4:5], 0, v[0:1]
	v_lshl_add_u64 v[6:7], v[6:7], 3, s[14:15]
	global_store_dwordx2 v[6:7], v[4:5], off offset:128
.LBB33_27:
	s_or_b64 exec, exec, s[10:11]
	v_cmp_gt_u32_e32 vcc, 32, v0
	s_and_b64 exec, exec, vcc
	s_cbranch_execz .LBB33_43
; %bb.28:
	s_and_saveexec_b64 s[10:11], s[0:1]
	s_cbranch_execz .LBB33_30
; %bb.29:
	v_add_u32_e32 v2, v0, v8
	v_lshl_add_u32 v4, v2, 3, 0
	ds_read_b64 v[2:3], v4 offset:256
	ds_read_b64 v[4:5], v4 offset:8576
.LBB33_30:
	s_or_b64 exec, exec, s[10:11]
	s_waitcnt lgkmcnt(1)
	ds_bpermute_b32 v6, v9, v2
	ds_bpermute_b32 v7, v9, v3
	s_waitcnt lgkmcnt(2)
	ds_bpermute_b32 v14, v9, v4
	ds_bpermute_b32 v15, v9, v5
	s_waitcnt lgkmcnt(2)
	v_add_f64 v[2:3], v[2:3], v[6:7]
	ds_bpermute_b32 v6, v10, v2
	s_waitcnt lgkmcnt(1)
	v_add_f64 v[4:5], v[4:5], v[14:15]
	ds_bpermute_b32 v7, v10, v3
	ds_bpermute_b32 v14, v10, v4
	ds_bpermute_b32 v15, v10, v5
	s_waitcnt lgkmcnt(2)
	v_add_f64 v[2:3], v[2:3], v[6:7]
	ds_bpermute_b32 v6, v11, v2
	s_waitcnt lgkmcnt(1)
	v_add_f64 v[4:5], v[4:5], v[14:15]
	ds_bpermute_b32 v7, v11, v3
	;; [unrolled: 8-line block ×3, first 2 shown]
	ds_bpermute_b32 v14, v12, v4
	ds_bpermute_b32 v15, v12, v5
	s_waitcnt lgkmcnt(2)
	v_add_f64 v[2:3], v[2:3], v[6:7]
	s_waitcnt lgkmcnt(0)
	v_add_f64 v[4:5], v[4:5], v[14:15]
	s_and_saveexec_b64 s[10:11], s[2:3]
	s_cbranch_execz .LBB33_35
; %bb.31:
	s_andn2_b64 vcc, exec, s[8:9]
	s_cbranch_vccnz .LBB33_33
; %bb.32:
	v_lshl_add_u64 v[6:7], s[4:5], 0, v[0:1]
	v_lshl_add_u64 v[6:7], v[6:7], 3, s[12:13]
	global_store_dwordx2 v[6:7], v[2:3], off offset:256
.LBB33_33:
	s_andn2_b64 vcc, exec, s[6:7]
	s_cbranch_vccnz .LBB33_35
; %bb.34:
	v_lshl_add_u64 v[6:7], s[4:5], 0, v[0:1]
	v_lshl_add_u64 v[6:7], v[6:7], 3, s[14:15]
	global_store_dwordx2 v[6:7], v[4:5], off offset:256
.LBB33_35:
	s_or_b64 exec, exec, s[10:11]
	v_cmp_gt_u32_e32 vcc, 16, v0
	s_and_b64 exec, exec, vcc
	s_cbranch_execz .LBB33_43
; %bb.36:
	s_and_saveexec_b64 s[10:11], s[0:1]
	s_cbranch_execz .LBB33_38
; %bb.37:
	v_add_u32_e32 v2, v0, v8
	v_lshl_add_u32 v4, v2, 3, 0
	ds_read_b64 v[2:3], v4 offset:384
	ds_read_b64 v[4:5], v4 offset:8704
.LBB33_38:
	s_or_b64 exec, exec, s[10:11]
	s_waitcnt lgkmcnt(1)
	ds_bpermute_b32 v6, v9, v2
	ds_bpermute_b32 v7, v9, v3
	s_waitcnt lgkmcnt(2)
	ds_bpermute_b32 v8, v9, v4
	ds_bpermute_b32 v9, v9, v5
	s_waitcnt lgkmcnt(2)
	v_add_f64 v[2:3], v[2:3], v[6:7]
	ds_bpermute_b32 v6, v10, v2
	s_waitcnt lgkmcnt(1)
	v_add_f64 v[4:5], v[4:5], v[8:9]
	ds_bpermute_b32 v7, v10, v3
	ds_bpermute_b32 v8, v10, v4
	;; [unrolled: 1-line block ×3, first 2 shown]
	s_waitcnt lgkmcnt(2)
	v_add_f64 v[2:3], v[2:3], v[6:7]
	ds_bpermute_b32 v6, v11, v2
	s_waitcnt lgkmcnt(1)
	v_add_f64 v[4:5], v[4:5], v[8:9]
	ds_bpermute_b32 v7, v11, v3
	ds_bpermute_b32 v8, v11, v4
	;; [unrolled: 1-line block ×3, first 2 shown]
	s_waitcnt lgkmcnt(2)
	v_add_f64 v[6:7], v[2:3], v[6:7]
	s_waitcnt lgkmcnt(0)
	v_add_f64 v[2:3], v[4:5], v[8:9]
	ds_bpermute_b32 v8, v12, v6
	ds_bpermute_b32 v9, v12, v7
	ds_bpermute_b32 v4, v12, v2
	ds_bpermute_b32 v5, v12, v3
	s_and_b64 exec, exec, s[2:3]
	s_cbranch_execz .LBB33_43
; %bb.39:
	s_andn2_b64 vcc, exec, s[8:9]
	v_lshl_add_u64 v[0:1], s[4:5], 0, v[0:1]
	s_cbranch_vccnz .LBB33_41
; %bb.40:
	s_waitcnt lgkmcnt(2)
	v_add_f64 v[6:7], v[6:7], v[8:9]
	v_lshl_add_u64 v[8:9], v[0:1], 3, s[12:13]
	global_store_dwordx2 v[8:9], v[6:7], off offset:384
.LBB33_41:
	s_andn2_b64 vcc, exec, s[6:7]
	s_cbranch_vccnz .LBB33_43
; %bb.42:
	s_waitcnt lgkmcnt(0)
	v_add_f64 v[2:3], v[2:3], v[4:5]
	v_lshl_add_u64 v[0:1], v[0:1], 3, s[14:15]
	global_store_dwordx2 v[0:1], v[2:3], off offset:384
.LBB33_43:
	s_endpgm
	.section	.rodata,"a",@progbits
	.p2align	6, 0x0
	.amdhsa_kernel _ZN2at6native12_GLOBAL__N_135GammaBetaBackwardCUDAKernelTemplateIddLj64ELj16ELj128ELb0ELb1ELb0EEEvllPKT_S5_PKT0_S8_PS3_S9_
		.amdhsa_group_segment_fixed_size 0
		.amdhsa_private_segment_fixed_size 0
		.amdhsa_kernarg_size 320
		.amdhsa_user_sgpr_count 2
		.amdhsa_user_sgpr_dispatch_ptr 0
		.amdhsa_user_sgpr_queue_ptr 0
		.amdhsa_user_sgpr_kernarg_segment_ptr 1
		.amdhsa_user_sgpr_dispatch_id 0
		.amdhsa_user_sgpr_kernarg_preload_length 0
		.amdhsa_user_sgpr_kernarg_preload_offset 0
		.amdhsa_user_sgpr_private_segment_size 0
		.amdhsa_uses_dynamic_stack 0
		.amdhsa_enable_private_segment 0
		.amdhsa_system_sgpr_workgroup_id_x 1
		.amdhsa_system_sgpr_workgroup_id_y 1
		.amdhsa_system_sgpr_workgroup_id_z 0
		.amdhsa_system_sgpr_workgroup_info 0
		.amdhsa_system_vgpr_workitem_id 1
		.amdhsa_next_free_vgpr 64
		.amdhsa_next_free_sgpr 32
		.amdhsa_accum_offset 64
		.amdhsa_reserve_vcc 1
		.amdhsa_float_round_mode_32 0
		.amdhsa_float_round_mode_16_64 0
		.amdhsa_float_denorm_mode_32 3
		.amdhsa_float_denorm_mode_16_64 3
		.amdhsa_dx10_clamp 1
		.amdhsa_ieee_mode 1
		.amdhsa_fp16_overflow 0
		.amdhsa_tg_split 0
		.amdhsa_exception_fp_ieee_invalid_op 0
		.amdhsa_exception_fp_denorm_src 0
		.amdhsa_exception_fp_ieee_div_zero 0
		.amdhsa_exception_fp_ieee_overflow 0
		.amdhsa_exception_fp_ieee_underflow 0
		.amdhsa_exception_fp_ieee_inexact 0
		.amdhsa_exception_int_div_zero 0
	.end_amdhsa_kernel
	.section	.text._ZN2at6native12_GLOBAL__N_135GammaBetaBackwardCUDAKernelTemplateIddLj64ELj16ELj128ELb0ELb1ELb0EEEvllPKT_S5_PKT0_S8_PS3_S9_,"axG",@progbits,_ZN2at6native12_GLOBAL__N_135GammaBetaBackwardCUDAKernelTemplateIddLj64ELj16ELj128ELb0ELb1ELb0EEEvllPKT_S5_PKT0_S8_PS3_S9_,comdat
.Lfunc_end33:
	.size	_ZN2at6native12_GLOBAL__N_135GammaBetaBackwardCUDAKernelTemplateIddLj64ELj16ELj128ELb0ELb1ELb0EEEvllPKT_S5_PKT0_S8_PS3_S9_, .Lfunc_end33-_ZN2at6native12_GLOBAL__N_135GammaBetaBackwardCUDAKernelTemplateIddLj64ELj16ELj128ELb0ELb1ELb0EEEvllPKT_S5_PKT0_S8_PS3_S9_
                                        ; -- End function
	.set _ZN2at6native12_GLOBAL__N_135GammaBetaBackwardCUDAKernelTemplateIddLj64ELj16ELj128ELb0ELb1ELb0EEEvllPKT_S5_PKT0_S8_PS3_S9_.num_vgpr, 64
	.set _ZN2at6native12_GLOBAL__N_135GammaBetaBackwardCUDAKernelTemplateIddLj64ELj16ELj128ELb0ELb1ELb0EEEvllPKT_S5_PKT0_S8_PS3_S9_.num_agpr, 0
	.set _ZN2at6native12_GLOBAL__N_135GammaBetaBackwardCUDAKernelTemplateIddLj64ELj16ELj128ELb0ELb1ELb0EEEvllPKT_S5_PKT0_S8_PS3_S9_.numbered_sgpr, 32
	.set _ZN2at6native12_GLOBAL__N_135GammaBetaBackwardCUDAKernelTemplateIddLj64ELj16ELj128ELb0ELb1ELb0EEEvllPKT_S5_PKT0_S8_PS3_S9_.num_named_barrier, 0
	.set _ZN2at6native12_GLOBAL__N_135GammaBetaBackwardCUDAKernelTemplateIddLj64ELj16ELj128ELb0ELb1ELb0EEEvllPKT_S5_PKT0_S8_PS3_S9_.private_seg_size, 0
	.set _ZN2at6native12_GLOBAL__N_135GammaBetaBackwardCUDAKernelTemplateIddLj64ELj16ELj128ELb0ELb1ELb0EEEvllPKT_S5_PKT0_S8_PS3_S9_.uses_vcc, 1
	.set _ZN2at6native12_GLOBAL__N_135GammaBetaBackwardCUDAKernelTemplateIddLj64ELj16ELj128ELb0ELb1ELb0EEEvllPKT_S5_PKT0_S8_PS3_S9_.uses_flat_scratch, 0
	.set _ZN2at6native12_GLOBAL__N_135GammaBetaBackwardCUDAKernelTemplateIddLj64ELj16ELj128ELb0ELb1ELb0EEEvllPKT_S5_PKT0_S8_PS3_S9_.has_dyn_sized_stack, 0
	.set _ZN2at6native12_GLOBAL__N_135GammaBetaBackwardCUDAKernelTemplateIddLj64ELj16ELj128ELb0ELb1ELb0EEEvllPKT_S5_PKT0_S8_PS3_S9_.has_recursion, 0
	.set _ZN2at6native12_GLOBAL__N_135GammaBetaBackwardCUDAKernelTemplateIddLj64ELj16ELj128ELb0ELb1ELb0EEEvllPKT_S5_PKT0_S8_PS3_S9_.has_indirect_call, 0
	.section	.AMDGPU.csdata,"",@progbits
; Kernel info:
; codeLenInByte = 2936
; TotalNumSgprs: 38
; NumVgprs: 64
; NumAgprs: 0
; TotalNumVgprs: 64
; ScratchSize: 0
; MemoryBound: 0
; FloatMode: 240
; IeeeMode: 1
; LDSByteSize: 0 bytes/workgroup (compile time only)
; SGPRBlocks: 4
; VGPRBlocks: 7
; NumSGPRsForWavesPerEU: 38
; NumVGPRsForWavesPerEU: 64
; AccumOffset: 64
; Occupancy: 8
; WaveLimiterHint : 0
; COMPUTE_PGM_RSRC2:SCRATCH_EN: 0
; COMPUTE_PGM_RSRC2:USER_SGPR: 2
; COMPUTE_PGM_RSRC2:TRAP_HANDLER: 0
; COMPUTE_PGM_RSRC2:TGID_X_EN: 1
; COMPUTE_PGM_RSRC2:TGID_Y_EN: 1
; COMPUTE_PGM_RSRC2:TGID_Z_EN: 0
; COMPUTE_PGM_RSRC2:TIDIG_COMP_CNT: 1
; COMPUTE_PGM_RSRC3_GFX90A:ACCUM_OFFSET: 15
; COMPUTE_PGM_RSRC3_GFX90A:TG_SPLIT: 0
	.section	.text._ZN2at6native12_GLOBAL__N_135GammaBetaBackwardCUDAKernelTemplateIddLj64ELj16ELj128ELb0ELb0ELb0EEEvllPKT_S5_PKT0_S8_PS3_S9_,"axG",@progbits,_ZN2at6native12_GLOBAL__N_135GammaBetaBackwardCUDAKernelTemplateIddLj64ELj16ELj128ELb0ELb0ELb0EEEvllPKT_S5_PKT0_S8_PS3_S9_,comdat
	.globl	_ZN2at6native12_GLOBAL__N_135GammaBetaBackwardCUDAKernelTemplateIddLj64ELj16ELj128ELb0ELb0ELb0EEEvllPKT_S5_PKT0_S8_PS3_S9_ ; -- Begin function _ZN2at6native12_GLOBAL__N_135GammaBetaBackwardCUDAKernelTemplateIddLj64ELj16ELj128ELb0ELb0ELb0EEEvllPKT_S5_PKT0_S8_PS3_S9_
	.p2align	8
	.type	_ZN2at6native12_GLOBAL__N_135GammaBetaBackwardCUDAKernelTemplateIddLj64ELj16ELj128ELb0ELb0ELb0EEEvllPKT_S5_PKT0_S8_PS3_S9_,@function
_ZN2at6native12_GLOBAL__N_135GammaBetaBackwardCUDAKernelTemplateIddLj64ELj16ELj128ELb0ELb0ELb0EEEvllPKT_S5_PKT0_S8_PS3_S9_: ; @_ZN2at6native12_GLOBAL__N_135GammaBetaBackwardCUDAKernelTemplateIddLj64ELj16ELj128ELb0ELb0ELb0EEEvllPKT_S5_PKT0_S8_PS3_S9_
; %bb.0:
	s_load_dwordx8 s[8:15], s[0:1], 0x0
	s_load_dwordx4 s[16:19], s[0:1], 0x20
	s_lshl_b32 s33, s2, 6
	s_or_b32 s4, s33, 63
	s_mov_b32 s21, 0
	v_mov_b32_e32 v2, s4
	v_mov_b32_e32 v3, 0
	s_lshl_b32 s20, s3, 7
	s_waitcnt lgkmcnt(0)
	v_cmp_le_i64_e32 vcc, s[10:11], v[2:3]
	v_mov_b64_e32 v[2:3], s[20:21]
	v_cmp_gt_i64_e64 s[4:5], s[8:9], v[2:3]
	s_nop 1
	v_cndmask_b32_e64 v1, 0, 1, s[4:5]
	v_cmp_ne_u32_e64 s[4:5], 1, v1
	s_cbranch_vccz .LBB34_49
; %bb.1:
	v_mov_b64_e32 v[36:37], 0
	s_and_b64 vcc, exec, s[4:5]
	v_mov_b64_e32 v[38:39], 0
	s_cbranch_vccnz .LBB34_50
; %bb.2:
	v_and_b32_e32 v1, 0x3ff, v0
	v_mov_b32_e32 v2, 0
	v_bfe_u32 v84, v0, 10, 10
	v_add_u32_e32 v4, s33, v1
	v_mov_b32_e32 v5, v2
	v_lshlrev_b32_e32 v40, 3, v84
	v_mov_b32_e32 v41, v2
	v_cmp_gt_i64_e64 s[6:7], s[10:11], v[4:5]
	v_lshlrev_b64 v[42:43], 3, v[4:5]
	v_lshl_add_u64 v[4:5], v[40:41], 0, s[20:21]
	v_mul_lo_u32 v3, s11, v4
	v_mul_lo_u32 v8, s10, v5
	v_mad_u64_u32 v[6:7], s[24:25], s10, v4, 0
	v_add3_u32 v7, v7, v8, v3
	v_lshlrev_b64 v[6:7], 3, v[6:7]
	v_lshl_add_u64 v[44:45], s[12:13], 0, v[6:7]
	v_lshl_add_u64 v[46:47], s[14:15], 0, v[6:7]
	v_lshl_add_u64 v[6:7], v[4:5], 0, 7
	v_mul_lo_u32 v9, s11, v6
	v_mul_lo_u32 v10, s10, v7
	v_mad_u64_u32 v[6:7], s[26:27], s10, v6, 0
	v_add3_u32 v7, v7, v10, v9
	v_lshlrev_b64 v[6:7], 3, v[6:7]
	v_lshl_add_u64 v[48:49], s[12:13], 0, v[6:7]
	v_lshl_add_u64 v[50:51], s[14:15], 0, v[6:7]
	;; [unrolled: 8-line block ×5, first 2 shown]
	v_lshl_add_u64 v[6:7], v[4:5], 0, 3
	v_mul_lo_u32 v9, s11, v6
	v_mul_lo_u32 v10, s10, v7
	v_mad_u64_u32 v[6:7], s[26:27], s10, v6, 0
	v_add3_u32 v7, v7, v10, v9
	s_load_dword s3, s[0:1], 0x44
	v_lshlrev_b64 v[6:7], 3, v[6:7]
	v_lshl_add_u64 v[64:65], s[12:13], 0, v[6:7]
	v_lshl_add_u64 v[66:67], s[14:15], 0, v[6:7]
	;; [unrolled: 1-line block ×3, first 2 shown]
	v_mul_lo_u32 v5, s11, v6
	v_mul_lo_u32 v9, s10, v7
	v_mad_u64_u32 v[6:7], s[26:27], s10, v6, 0
	v_add3_u32 v7, v7, v9, v5
	s_add_u32 s22, s0, 64
	v_lshlrev_b64 v[6:7], 3, v[6:7]
	s_addc_u32 s23, s1, 0
	s_waitcnt lgkmcnt(0)
	s_lshl_b32 s3, s3, 7
	v_lshl_add_u64 v[68:69], s[12:13], 0, v[6:7]
	v_lshl_add_u64 v[70:71], s[14:15], 0, v[6:7]
	v_mov_b64_e32 v[6:7], s[10:11]
	s_mul_i32 s24, s11, s3
	s_mul_hi_u32 s25, s10, s3
	v_mad_u64_u32 v[4:5], s[26:27], s10, v4, v[6:7]
	s_add_i32 s25, s25, s24
	s_mul_i32 s24, s10, s3
	v_add3_u32 v5, v3, v5, v8
	v_mbcnt_lo_u32_b32 v3, -1, 0
	s_lshl_b64 s[24:25], s[24:25], 3
	v_mbcnt_hi_u32_b32 v3, -1, v3
	v_lshlrev_b64 v[4:5], 3, v[4:5]
	s_add_u32 s26, s20, 0x7f
	s_movk_i32 s28, 0xff81
	s_movk_i32 s30, 0xff82
	;; [unrolled: 1-line block ×8, first 2 shown]
	v_lshlrev_b32_e32 v3, 2, v3
	v_lshl_add_u64 v[72:73], s[12:13], 0, v[4:5]
	v_lshl_add_u64 v[74:75], s[14:15], 0, v[4:5]
	s_addc_u32 s27, 0, 0
	v_mov_b64_e32 v[76:77], 0
	s_mov_b32 s29, -1
	s_mov_b32 s31, -1
	;; [unrolled: 1-line block ×8, first 2 shown]
	v_and_b32_e32 v85, 0x100, v3
	v_mov_b64_e32 v[36:37], 0
	s_mov_b64 s[46:47], s[20:21]
.LBB34_3:                               ; =>This Inner Loop Header: Depth=1
	v_mov_b64_e32 v[4:5], s[8:9]
	v_cmp_ge_i64_e32 vcc, s[26:27], v[4:5]
	v_lshl_add_u64 v[78:79], v[40:41], 0, s[26:27]
	s_mov_b64 s[48:49], -1
	s_and_b64 vcc, exec, vcc
                                        ; implicit-def: $vgpr4_vgpr5_vgpr6_vgpr7_vgpr8_vgpr9_vgpr10_vgpr11_vgpr12_vgpr13_vgpr14_vgpr15_vgpr16_vgpr17_vgpr18_vgpr19
                                        ; implicit-def: $vgpr82_vgpr83
                                        ; implicit-def: $vgpr20_vgpr21_vgpr22_vgpr23_vgpr24_vgpr25_vgpr26_vgpr27_vgpr28_vgpr29_vgpr30_vgpr31_vgpr32_vgpr33_vgpr34_vgpr35
                                        ; implicit-def: $vgpr4
                                        ; implicit-def: $vgpr6_vgpr7
                                        ; implicit-def: $vgpr38_vgpr39
	s_cbranch_vccz .LBB34_25
; %bb.4:                                ;   in Loop: Header=BB34_3 Depth=1
	s_load_dword s48, s[22:23], 0xc
	v_mov_b64_e32 v[82:83], 0
	v_mov_b64_e32 v[80:81], 0
	s_waitcnt lgkmcnt(0)
	s_and_b32 s48, s48, 0xffff
	v_mad_u32_u24 v3, v84, s48, v1
	v_and_b32_e32 v4, 63, v3
	v_cmp_gt_u32_e32 vcc, 8, v4
	s_and_saveexec_b64 s[48:49], vcc
	s_cbranch_execz .LBB34_8
; %bb.5:                                ;   in Loop: Header=BB34_3 Depth=1
	v_mov_b32_e32 v5, v2
	v_lshl_add_u64 v[4:5], v[78:79], 0, v[4:5]
	v_lshl_add_u64 v[4:5], v[4:5], 0, s[28:29]
	v_cmp_gt_i64_e32 vcc, s[8:9], v[4:5]
	v_mov_b64_e32 v[80:81], 0
	v_mov_b64_e32 v[82:83], 0
	s_and_saveexec_b64 s[50:51], vcc
	s_cbranch_execz .LBB34_7
; %bb.6:                                ;   in Loop: Header=BB34_3 Depth=1
	v_lshlrev_b64 v[4:5], 3, v[4:5]
	v_lshl_add_u64 v[6:7], s[18:19], 0, v[4:5]
	v_lshl_add_u64 v[4:5], s[16:17], 0, v[4:5]
	global_load_dwordx2 v[80:81], v[4:5], off
	global_load_dwordx2 v[82:83], v[6:7], off
.LBB34_7:                               ;   in Loop: Header=BB34_3 Depth=1
	s_or_b64 exec, exec, s[50:51]
.LBB34_8:                               ;   in Loop: Header=BB34_3 Depth=1
	s_or_b64 exec, exec, s[48:49]
	v_lshl_add_u64 v[4:5], v[78:79], 0, s[28:29]
	v_mov_b32_e32 v16, v2
	v_mov_b32_e32 v17, v2
	v_cmp_gt_i64_e32 vcc, s[8:9], v[4:5]
	v_mov_b32_e32 v3, v2
	v_mov_b32_e32 v4, v2
	;; [unrolled: 1-line block ×13, first 2 shown]
	v_mov_b64_e32 v[34:35], v[16:17]
	v_mov_b64_e32 v[32:33], v[14:15]
	;; [unrolled: 1-line block ×9, first 2 shown]
	s_and_b64 s[50:51], s[6:7], vcc
	v_mov_b64_e32 v[16:17], v[14:15]
	v_mov_b64_e32 v[14:15], v[12:13]
	v_mov_b64_e32 v[12:13], v[10:11]
	v_mov_b64_e32 v[10:11], v[8:9]
	v_mov_b64_e32 v[8:9], v[6:7]
	v_mov_b64_e32 v[6:7], v[4:5]
	v_mov_b64_e32 v[4:5], v[2:3]
	s_and_saveexec_b64 s[48:49], s[50:51]
	s_cbranch_execz .LBB34_10
; %bb.9:                                ;   in Loop: Header=BB34_3 Depth=1
	v_lshl_add_u64 v[4:5], v[44:45], 0, v[42:43]
	v_lshl_add_u64 v[6:7], v[46:47], 0, v[42:43]
	global_load_dwordx2 v[4:5], v[4:5], off
	v_mov_b32_e32 v8, v2
	global_load_dwordx2 v[20:21], v[6:7], off
	v_mov_b32_e32 v6, v2
	v_mov_b32_e32 v7, v2
	;; [unrolled: 1-line block ×27, first 2 shown]
.LBB34_10:                              ;   in Loop: Header=BB34_3 Depth=1
	s_or_b64 exec, exec, s[48:49]
	v_lshl_add_u64 v[38:39], v[78:79], 0, s[30:31]
	v_cmp_gt_i64_e32 vcc, s[8:9], v[38:39]
	s_and_b64 s[50:51], s[6:7], vcc
	s_and_saveexec_b64 s[48:49], s[50:51]
	s_cbranch_execz .LBB34_12
; %bb.11:                               ;   in Loop: Header=BB34_3 Depth=1
	v_lshl_add_u64 v[6:7], v[72:73], 0, v[42:43]
	v_lshl_add_u64 v[22:23], v[74:75], 0, v[42:43]
	global_load_dwordx2 v[6:7], v[6:7], off
	s_nop 0
	global_load_dwordx2 v[22:23], v[22:23], off
.LBB34_12:                              ;   in Loop: Header=BB34_3 Depth=1
	s_or_b64 exec, exec, s[48:49]
	v_lshl_add_u64 v[38:39], v[78:79], 0, s[34:35]
	v_cmp_gt_i64_e32 vcc, s[8:9], v[38:39]
	s_and_b64 s[50:51], s[6:7], vcc
	s_and_saveexec_b64 s[48:49], s[50:51]
	s_cbranch_execz .LBB34_14
; %bb.13:                               ;   in Loop: Header=BB34_3 Depth=1
	v_lshl_add_u64 v[8:9], v[68:69], 0, v[42:43]
	v_lshl_add_u64 v[24:25], v[70:71], 0, v[42:43]
	global_load_dwordx2 v[8:9], v[8:9], off
	s_nop 0
	global_load_dwordx2 v[24:25], v[24:25], off
.LBB34_14:                              ;   in Loop: Header=BB34_3 Depth=1
	;; [unrolled: 13-line block ×7, first 2 shown]
	s_or_b64 exec, exec, s[48:49]
	s_waitcnt vmcnt(1)
	ds_bpermute_b32 v38, v85, v80
	ds_bpermute_b32 v39, v85, v81
	s_waitcnt vmcnt(0)
	ds_bpermute_b32 v86, v85, v82
	ds_bpermute_b32 v87, v85, v83
	ds_bpermute_b32 v88, v85, v80 offset:4
	ds_bpermute_b32 v89, v85, v81 offset:4
	s_waitcnt lgkmcnt(4)
	v_add_f64 v[20:21], v[20:21], -v[38:39]
	v_mul_f64 v[20:21], v[4:5], v[20:21]
	s_waitcnt lgkmcnt(2)
	v_fma_f64 v[38:39], v[20:21], v[86:87], v[76:77]
	ds_bpermute_b32 v20, v85, v82 offset:4
	ds_bpermute_b32 v21, v85, v83 offset:4
	;; [unrolled: 1-line block ×4, first 2 shown]
	v_add_f64 v[4:5], v[36:37], v[4:5]
	s_waitcnt lgkmcnt(4)
	v_add_f64 v[22:23], v[22:23], -v[88:89]
	v_mul_f64 v[22:23], v[6:7], v[22:23]
	v_add_f64 v[4:5], v[6:7], v[4:5]
	ds_bpermute_b32 v6, v85, v82 offset:8
	ds_bpermute_b32 v7, v85, v83 offset:8
	s_waitcnt lgkmcnt(4)
	v_fmac_f64_e32 v[38:39], v[22:23], v[20:21]
	s_waitcnt lgkmcnt(2)
	v_add_f64 v[20:21], v[24:25], -v[86:87]
	ds_bpermute_b32 v22, v85, v80 offset:12
	ds_bpermute_b32 v23, v85, v81 offset:12
	v_mul_f64 v[20:21], v[8:9], v[20:21]
	s_waitcnt lgkmcnt(2)
	v_fmac_f64_e32 v[38:39], v[20:21], v[6:7]
	ds_bpermute_b32 v6, v85, v82 offset:12
	ds_bpermute_b32 v7, v85, v83 offset:12
	v_add_f64 v[4:5], v[8:9], v[4:5]
	s_waitcnt lgkmcnt(2)
	v_add_f64 v[8:9], v[26:27], -v[22:23]
	ds_bpermute_b32 v20, v85, v80 offset:16
	ds_bpermute_b32 v21, v85, v81 offset:16
	v_mul_f64 v[8:9], v[10:11], v[8:9]
	s_waitcnt lgkmcnt(2)
	v_fmac_f64_e32 v[38:39], v[8:9], v[6:7]
	ds_bpermute_b32 v6, v85, v82 offset:16
	ds_bpermute_b32 v7, v85, v83 offset:16
	v_add_f64 v[4:5], v[10:11], v[4:5]
	s_waitcnt lgkmcnt(2)
	v_add_f64 v[8:9], v[28:29], -v[20:21]
	ds_bpermute_b32 v10, v85, v80 offset:20
	ds_bpermute_b32 v11, v85, v81 offset:20
	v_mul_f64 v[8:9], v[12:13], v[8:9]
	s_waitcnt lgkmcnt(2)
	v_fmac_f64_e32 v[38:39], v[8:9], v[6:7]
	ds_bpermute_b32 v6, v85, v82 offset:20
	ds_bpermute_b32 v7, v85, v83 offset:20
	s_waitcnt lgkmcnt(2)
	v_add_f64 v[8:9], v[30:31], -v[10:11]
	ds_bpermute_b32 v10, v85, v80 offset:24
	ds_bpermute_b32 v11, v85, v81 offset:24
	v_mul_f64 v[8:9], v[14:15], v[8:9]
	v_add_f64 v[4:5], v[12:13], v[4:5]
	s_waitcnt lgkmcnt(2)
	v_fmac_f64_e32 v[38:39], v[8:9], v[6:7]
	ds_bpermute_b32 v8, v85, v82 offset:24
	ds_bpermute_b32 v9, v85, v83 offset:24
	v_add_f64 v[6:7], v[14:15], v[4:5]
	ds_bpermute_b32 v82, v85, v82 offset:28
	ds_bpermute_b32 v83, v85, v83 offset:28
	;; [unrolled: 1-line block ×4, first 2 shown]
	s_waitcnt lgkmcnt(6)
	v_add_f64 v[10:11], v[32:33], -v[10:11]
	v_mul_f64 v[10:11], v[16:17], v[10:11]
	s_waitcnt lgkmcnt(4)
	v_fmac_f64_e32 v[38:39], v[10:11], v[8:9]
	v_add_f64 v[6:7], v[16:17], v[6:7]
	s_mov_b64 s[48:49], 0
.LBB34_25:                              ;   in Loop: Header=BB34_3 Depth=1
	s_and_b64 vcc, exec, s[48:49]
	s_cbranch_vccz .LBB34_40
; %bb.26:                               ;   in Loop: Header=BB34_3 Depth=1
	s_load_dword s48, s[22:23], 0x0
	v_mov_b64_e32 v[80:81], 0
	v_mov_b64_e32 v[38:39], 0
	s_waitcnt lgkmcnt(0)
	s_cmp_lt_u32 s2, s48
	s_cselect_b32 s48, 12, 18
	s_add_u32 s48, s22, s48
	s_addc_u32 s49, s23, 0
	global_load_ushort v3, v2, s[48:49]
	s_waitcnt vmcnt(0)
	v_mad_u32_u24 v3, v84, v3, v1
	v_and_b32_e32 v4, 63, v3
	v_cmp_gt_u32_e32 vcc, 8, v4
	s_and_saveexec_b64 s[48:49], vcc
	s_cbranch_execz .LBB34_30
; %bb.27:                               ;   in Loop: Header=BB34_3 Depth=1
	v_mov_b32_e32 v5, v2
	v_lshl_add_u64 v[4:5], v[78:79], 0, v[4:5]
	v_lshl_add_u64 v[4:5], v[4:5], 0, s[28:29]
	v_cmp_gt_i64_e32 vcc, s[8:9], v[4:5]
	v_mov_b64_e32 v[38:39], 0
	v_mov_b64_e32 v[80:81], 0
	s_and_saveexec_b64 s[50:51], vcc
	s_cbranch_execz .LBB34_29
; %bb.28:                               ;   in Loop: Header=BB34_3 Depth=1
	v_lshlrev_b64 v[4:5], 3, v[4:5]
	v_lshl_add_u64 v[6:7], s[18:19], 0, v[4:5]
	v_lshl_add_u64 v[4:5], s[16:17], 0, v[4:5]
	global_load_dwordx2 v[38:39], v[4:5], off
	global_load_dwordx2 v[80:81], v[6:7], off
.LBB34_29:                              ;   in Loop: Header=BB34_3 Depth=1
	s_or_b64 exec, exec, s[50:51]
.LBB34_30:                              ;   in Loop: Header=BB34_3 Depth=1
	s_or_b64 exec, exec, s[48:49]
	v_mov_b32_e32 v16, v2
	v_mov_b32_e32 v17, v2
	;; [unrolled: 1-line block ×15, first 2 shown]
	v_mov_b64_e32 v[34:35], v[16:17]
	v_mov_b64_e32 v[32:33], v[14:15]
	v_mov_b64_e32 v[30:31], v[12:13]
	v_mov_b64_e32 v[28:29], v[10:11]
	v_mov_b64_e32 v[26:27], v[8:9]
	v_mov_b64_e32 v[24:25], v[6:7]
	v_mov_b64_e32 v[22:23], v[4:5]
	v_mov_b64_e32 v[20:21], v[2:3]
	v_mov_b64_e32 v[18:19], v[16:17]
	v_mov_b64_e32 v[16:17], v[14:15]
	v_mov_b64_e32 v[14:15], v[12:13]
	v_mov_b64_e32 v[12:13], v[10:11]
	v_mov_b64_e32 v[10:11], v[8:9]
	v_mov_b64_e32 v[8:9], v[6:7]
	v_mov_b64_e32 v[6:7], v[4:5]
	v_mov_b64_e32 v[4:5], v[2:3]
	s_and_saveexec_b64 s[48:49], s[6:7]
	s_cbranch_execnz .LBB34_42
; %bb.31:                               ;   in Loop: Header=BB34_3 Depth=1
	s_or_b64 exec, exec, s[48:49]
	s_and_saveexec_b64 s[48:49], s[6:7]
	s_cbranch_execnz .LBB34_43
.LBB34_32:                              ;   in Loop: Header=BB34_3 Depth=1
	s_or_b64 exec, exec, s[48:49]
	s_and_saveexec_b64 s[48:49], s[6:7]
	s_cbranch_execnz .LBB34_44
.LBB34_33:                              ;   in Loop: Header=BB34_3 Depth=1
	s_or_b64 exec, exec, s[48:49]
	s_and_saveexec_b64 s[48:49], s[6:7]
	s_cbranch_execnz .LBB34_45
.LBB34_34:                              ;   in Loop: Header=BB34_3 Depth=1
	s_or_b64 exec, exec, s[48:49]
	s_and_saveexec_b64 s[48:49], s[6:7]
	s_cbranch_execnz .LBB34_46
.LBB34_35:                              ;   in Loop: Header=BB34_3 Depth=1
	s_or_b64 exec, exec, s[48:49]
	s_and_saveexec_b64 s[48:49], s[6:7]
	s_cbranch_execnz .LBB34_47
.LBB34_36:                              ;   in Loop: Header=BB34_3 Depth=1
	s_or_b64 exec, exec, s[48:49]
	s_and_saveexec_b64 s[48:49], s[6:7]
	s_cbranch_execnz .LBB34_48
.LBB34_37:                              ;   in Loop: Header=BB34_3 Depth=1
	s_or_b64 exec, exec, s[48:49]
	s_and_saveexec_b64 s[48:49], s[6:7]
	s_cbranch_execz .LBB34_39
.LBB34_38:                              ;   in Loop: Header=BB34_3 Depth=1
	v_lshl_add_u64 v[18:19], v[48:49], 0, v[42:43]
	v_lshl_add_u64 v[34:35], v[50:51], 0, v[42:43]
	global_load_dwordx2 v[18:19], v[18:19], off
	s_nop 0
	global_load_dwordx2 v[34:35], v[34:35], off
.LBB34_39:                              ;   in Loop: Header=BB34_3 Depth=1
	s_or_b64 exec, exec, s[48:49]
	s_waitcnt vmcnt(1)
	ds_bpermute_b32 v78, v85, v38
	ds_bpermute_b32 v79, v85, v39
	s_waitcnt vmcnt(0)
	ds_bpermute_b32 v82, v85, v80
	ds_bpermute_b32 v83, v85, v81
	ds_bpermute_b32 v86, v85, v38 offset:4
	ds_bpermute_b32 v87, v85, v39 offset:4
	s_waitcnt lgkmcnt(4)
	v_add_f64 v[20:21], v[20:21], -v[78:79]
	v_mul_f64 v[20:21], v[4:5], v[20:21]
	s_waitcnt lgkmcnt(2)
	v_fmac_f64_e32 v[76:77], v[20:21], v[82:83]
	v_add_f64 v[4:5], v[36:37], v[4:5]
	ds_bpermute_b32 v20, v85, v80 offset:4
	ds_bpermute_b32 v21, v85, v81 offset:4
	;; [unrolled: 1-line block ×4, first 2 shown]
	s_waitcnt lgkmcnt(4)
	v_add_f64 v[22:23], v[22:23], -v[86:87]
	v_mul_f64 v[22:23], v[6:7], v[22:23]
	v_add_f64 v[4:5], v[6:7], v[4:5]
	ds_bpermute_b32 v6, v85, v80 offset:8
	ds_bpermute_b32 v7, v85, v81 offset:8
	s_waitcnt lgkmcnt(4)
	v_fmac_f64_e32 v[76:77], v[22:23], v[20:21]
	s_waitcnt lgkmcnt(2)
	v_add_f64 v[20:21], v[24:25], -v[36:37]
	ds_bpermute_b32 v22, v85, v38 offset:12
	ds_bpermute_b32 v23, v85, v39 offset:12
	v_mul_f64 v[20:21], v[8:9], v[20:21]
	s_waitcnt lgkmcnt(2)
	v_fmac_f64_e32 v[76:77], v[20:21], v[6:7]
	ds_bpermute_b32 v6, v85, v80 offset:12
	ds_bpermute_b32 v7, v85, v81 offset:12
	v_add_f64 v[4:5], v[8:9], v[4:5]
	s_waitcnt lgkmcnt(2)
	v_add_f64 v[8:9], v[26:27], -v[22:23]
	ds_bpermute_b32 v20, v85, v38 offset:16
	ds_bpermute_b32 v21, v85, v39 offset:16
	v_mul_f64 v[8:9], v[10:11], v[8:9]
	s_waitcnt lgkmcnt(2)
	v_fmac_f64_e32 v[76:77], v[8:9], v[6:7]
	ds_bpermute_b32 v6, v85, v80 offset:16
	ds_bpermute_b32 v7, v85, v81 offset:16
	v_add_f64 v[4:5], v[10:11], v[4:5]
	s_waitcnt lgkmcnt(2)
	v_add_f64 v[8:9], v[28:29], -v[20:21]
	ds_bpermute_b32 v10, v85, v38 offset:20
	ds_bpermute_b32 v11, v85, v39 offset:20
	v_mul_f64 v[8:9], v[12:13], v[8:9]
	s_waitcnt lgkmcnt(2)
	v_fmac_f64_e32 v[76:77], v[8:9], v[6:7]
	ds_bpermute_b32 v6, v85, v80 offset:20
	ds_bpermute_b32 v7, v85, v81 offset:20
	s_waitcnt lgkmcnt(2)
	v_add_f64 v[8:9], v[30:31], -v[10:11]
	ds_bpermute_b32 v10, v85, v38 offset:24
	ds_bpermute_b32 v11, v85, v39 offset:24
	v_mul_f64 v[8:9], v[14:15], v[8:9]
	s_waitcnt lgkmcnt(2)
	v_fmac_f64_e32 v[76:77], v[8:9], v[6:7]
	ds_bpermute_b32 v8, v85, v80 offset:24
	ds_bpermute_b32 v9, v85, v81 offset:24
	v_add_f64 v[4:5], v[12:13], v[4:5]
	v_add_f64 v[6:7], v[14:15], v[4:5]
	ds_bpermute_b32 v82, v85, v80 offset:28
	ds_bpermute_b32 v83, v85, v81 offset:28
	;; [unrolled: 1-line block ×4, first 2 shown]
	s_waitcnt lgkmcnt(6)
	v_add_f64 v[10:11], v[32:33], -v[10:11]
	v_mul_f64 v[10:11], v[16:17], v[10:11]
	s_waitcnt lgkmcnt(4)
	v_fmac_f64_e32 v[76:77], v[10:11], v[8:9]
	v_add_f64 v[6:7], v[16:17], v[6:7]
	v_mov_b64_e32 v[38:39], v[76:77]
.LBB34_40:                              ;   in Loop: Header=BB34_3 Depth=1
	s_waitcnt lgkmcnt(0)
	v_add_f64 v[4:5], v[34:35], -v[4:5]
	v_mul_f64 v[4:5], v[18:19], v[4:5]
	s_add_u32 s46, s46, s3
	v_fmac_f64_e32 v[38:39], v[4:5], v[82:83]
	s_addc_u32 s47, s47, 0
	v_mov_b64_e32 v[4:5], s[8:9]
	s_add_u32 s26, s26, s3
	v_cmp_lt_i64_e32 vcc, s[46:47], v[4:5]
	v_add_f64 v[36:37], v[6:7], v[18:19]
	v_lshl_add_u64 v[44:45], v[44:45], 0, s[24:25]
	v_lshl_add_u64 v[46:47], v[46:47], 0, s[24:25]
	;; [unrolled: 1-line block ×16, first 2 shown]
	s_addc_u32 s27, s27, 0
	s_cbranch_vccz .LBB34_50
; %bb.41:                               ;   in Loop: Header=BB34_3 Depth=1
	v_mov_b64_e32 v[76:77], v[38:39]
	s_branch .LBB34_3
.LBB34_42:                              ;   in Loop: Header=BB34_3 Depth=1
	v_lshl_add_u64 v[4:5], v[44:45], 0, v[42:43]
	v_lshl_add_u64 v[6:7], v[46:47], 0, v[42:43]
	global_load_dwordx2 v[4:5], v[4:5], off
	v_mov_b32_e32 v8, v2
	global_load_dwordx2 v[20:21], v[6:7], off
	v_mov_b32_e32 v6, v2
	v_mov_b32_e32 v7, v2
	;; [unrolled: 1-line block ×27, first 2 shown]
	s_or_b64 exec, exec, s[48:49]
	s_and_saveexec_b64 s[48:49], s[6:7]
	s_cbranch_execz .LBB34_32
.LBB34_43:                              ;   in Loop: Header=BB34_3 Depth=1
	v_lshl_add_u64 v[6:7], v[72:73], 0, v[42:43]
	v_lshl_add_u64 v[22:23], v[74:75], 0, v[42:43]
	global_load_dwordx2 v[6:7], v[6:7], off
	s_nop 0
	global_load_dwordx2 v[22:23], v[22:23], off
	s_or_b64 exec, exec, s[48:49]
	s_and_saveexec_b64 s[48:49], s[6:7]
	s_cbranch_execz .LBB34_33
.LBB34_44:                              ;   in Loop: Header=BB34_3 Depth=1
	v_lshl_add_u64 v[8:9], v[68:69], 0, v[42:43]
	v_lshl_add_u64 v[24:25], v[70:71], 0, v[42:43]
	global_load_dwordx2 v[8:9], v[8:9], off
	s_nop 0
	global_load_dwordx2 v[24:25], v[24:25], off
	s_or_b64 exec, exec, s[48:49]
	s_and_saveexec_b64 s[48:49], s[6:7]
	s_cbranch_execz .LBB34_34
.LBB34_45:                              ;   in Loop: Header=BB34_3 Depth=1
	v_lshl_add_u64 v[10:11], v[64:65], 0, v[42:43]
	v_lshl_add_u64 v[26:27], v[66:67], 0, v[42:43]
	global_load_dwordx2 v[10:11], v[10:11], off
	s_nop 0
	global_load_dwordx2 v[26:27], v[26:27], off
	s_or_b64 exec, exec, s[48:49]
	s_and_saveexec_b64 s[48:49], s[6:7]
	s_cbranch_execz .LBB34_35
.LBB34_46:                              ;   in Loop: Header=BB34_3 Depth=1
	v_lshl_add_u64 v[12:13], v[60:61], 0, v[42:43]
	v_lshl_add_u64 v[28:29], v[62:63], 0, v[42:43]
	global_load_dwordx2 v[12:13], v[12:13], off
	s_nop 0
	global_load_dwordx2 v[28:29], v[28:29], off
	s_or_b64 exec, exec, s[48:49]
	s_and_saveexec_b64 s[48:49], s[6:7]
	s_cbranch_execz .LBB34_36
.LBB34_47:                              ;   in Loop: Header=BB34_3 Depth=1
	v_lshl_add_u64 v[14:15], v[56:57], 0, v[42:43]
	v_lshl_add_u64 v[30:31], v[58:59], 0, v[42:43]
	global_load_dwordx2 v[14:15], v[14:15], off
	s_nop 0
	global_load_dwordx2 v[30:31], v[30:31], off
	s_or_b64 exec, exec, s[48:49]
	s_and_saveexec_b64 s[48:49], s[6:7]
	s_cbranch_execz .LBB34_37
.LBB34_48:                              ;   in Loop: Header=BB34_3 Depth=1
	v_lshl_add_u64 v[16:17], v[52:53], 0, v[42:43]
	v_lshl_add_u64 v[32:33], v[54:55], 0, v[42:43]
	global_load_dwordx2 v[16:17], v[16:17], off
	s_nop 0
	global_load_dwordx2 v[32:33], v[32:33], off
	s_or_b64 exec, exec, s[48:49]
	s_and_saveexec_b64 s[48:49], s[6:7]
	s_cbranch_execnz .LBB34_38
	s_branch .LBB34_39
.LBB34_49:
                                        ; implicit-def: $vgpr36_vgpr37
                                        ; implicit-def: $vgpr38_vgpr39
	s_branch .LBB34_51
.LBB34_50:
	s_cbranch_execnz .LBB34_82
.LBB34_51:
	v_mov_b64_e32 v[36:37], 0
	s_and_b64 vcc, exec, s[4:5]
	v_mov_b64_e32 v[38:39], 0
	s_cbranch_vccnz .LBB34_82
; %bb.52:
	v_mov_b32_e32 v2, 0
	v_bfe_u32 v1, v0, 10, 10
	v_lshlrev_b32_e32 v6, 6, v1
	v_mov_b32_e32 v7, v2
	v_lshl_add_u64 v[6:7], s[20:21], 3, v[6:7]
	v_lshl_add_u64 v[8:9], v[6:7], 0, 8
	v_mov_b64_e32 v[10:11], s[12:13]
	v_mov_b64_e32 v[22:23], s[14:15]
	v_lshlrev_b32_e32 v40, 3, v1
	v_mov_b32_e32 v41, v2
	v_mad_u64_u32 v[42:43], s[4:5], s10, v8, v[10:11]
	v_mul_lo_u32 v3, s10, v9
	v_mul_lo_u32 v9, s11, v8
	v_lshl_add_u64 v[12:13], v[6:7], 0, 16
	v_lshl_add_u64 v[14:15], v[6:7], 0, 24
	;; [unrolled: 1-line block ×5, first 2 shown]
	v_mad_u64_u32 v[52:53], s[4:5], s10, v8, v[22:23]
	v_lshl_add_u64 v[6:7], v[6:7], 0, 56
	v_lshl_add_u64 v[4:5], v[40:41], 0, s[20:21]
	v_add3_u32 v43, v9, v43, v3
	v_add3_u32 v53, v9, v53, v3
	v_mad_u64_u32 v[58:59], s[4:5], s10, v6, v[10:11]
	v_mul_lo_u32 v7, s10, v7
	v_mul_lo_u32 v9, s11, v6
	v_mad_u64_u32 v[68:69], s[4:5], s10, v6, v[22:23]
	v_mad_u64_u32 v[54:55], s[4:5], s10, v20, v[10:11]
	v_mul_lo_u32 v3, s10, v21
	v_mul_lo_u32 v8, s11, v20
	v_add3_u32 v59, v9, v59, v7
	v_mad_u64_u32 v[66:67], s[4:5], s10, v20, v[22:23]
	v_add3_u32 v69, v9, v69, v7
	v_lshl_add_u64 v[6:7], v[4:5], 0, 7
	v_add3_u32 v55, v8, v55, v3
	v_add3_u32 v67, v8, v67, v3
	v_mul_lo_u32 v3, s11, v6
	v_mul_lo_u32 v8, s10, v7
	v_mad_u64_u32 v[6:7], s[4:5], s10, v6, 0
	v_add3_u32 v7, v7, v8, v3
	v_lshl_add_u64 v[8:9], v[4:5], 0, 6
	v_mad_u64_u32 v[44:45], s[4:5], s10, v12, v[10:11]
	v_mad_u64_u32 v[46:47], s[4:5], s10, v14, v[10:11]
	;; [unrolled: 1-line block ×4, first 2 shown]
	v_mul_lo_u32 v3, s11, v8
	v_mul_lo_u32 v10, s10, v9
	v_mad_u64_u32 v[8:9], s[4:5], s10, v8, 0
	v_add3_u32 v9, v9, v10, v3
	v_lshl_add_u64 v[10:11], v[4:5], 0, 5
	v_mul_lo_u32 v13, s10, v13
	v_mul_lo_u32 v24, s11, v12
	v_mad_u64_u32 v[56:57], s[4:5], s10, v12, v[22:23]
	v_mul_lo_u32 v3, s11, v10
	v_mul_lo_u32 v12, s10, v11
	v_mad_u64_u32 v[10:11], s[4:5], s10, v10, 0
	v_add3_u32 v45, v24, v45, v13
	v_add3_u32 v57, v24, v57, v13
	v_add3_u32 v11, v11, v12, v3
	v_lshl_add_u64 v[12:13], v[4:5], 0, 4
	v_mul_lo_u32 v15, s10, v15
	v_mul_lo_u32 v25, s11, v14
	v_mad_u64_u32 v[60:61], s[4:5], s10, v14, v[22:23]
	v_mul_lo_u32 v3, s11, v12
	v_mul_lo_u32 v14, s10, v13
	v_mad_u64_u32 v[12:13], s[4:5], s10, v12, 0
	v_add3_u32 v47, v25, v47, v15
	v_add3_u32 v61, v25, v61, v15
	v_add3_u32 v13, v13, v14, v3
	v_lshl_add_u64 v[14:15], v[4:5], 0, 3
	v_mul_lo_u32 v17, s10, v17
	v_mul_lo_u32 v26, s11, v16
	v_mad_u64_u32 v[62:63], s[4:5], s10, v16, v[22:23]
	v_mul_lo_u32 v3, s11, v14
	v_mul_lo_u32 v16, s10, v15
	v_mad_u64_u32 v[14:15], s[4:5], s10, v14, 0
	v_add3_u32 v49, v26, v49, v17
	v_add3_u32 v63, v26, v63, v17
	v_add3_u32 v15, v15, v16, v3
	v_lshl_add_u64 v[16:17], v[4:5], 0, 2
	v_mul_lo_u32 v19, s10, v19
	v_mul_lo_u32 v27, s11, v18
	v_mad_u64_u32 v[64:65], s[4:5], s10, v18, v[22:23]
	v_mul_lo_u32 v3, s11, v16
	v_mul_lo_u32 v18, s10, v17
	v_mad_u64_u32 v[16:17], s[4:5], s10, v16, 0
	v_add3_u32 v51, v27, v51, v19
	v_add3_u32 v65, v27, v65, v19
	v_add3_u32 v17, v17, v18, v3
	v_mov_b64_e32 v[18:19], s[10:11]
	v_mad_u64_u32 v[18:19], s[4:5], s10, v4, v[18:19]
	v_mul_lo_u32 v3, s11, v4
	v_mul_lo_u32 v20, s10, v5
	v_mad_u64_u32 v[4:5], s[4:5], s10, v4, 0
	v_add3_u32 v5, v5, v20, v3
	s_load_dword s3, s[0:1], 0x44
	v_lshlrev_b64 v[4:5], 3, v[4:5]
	v_lshl_add_u64 v[72:73], s[12:13], 0, v[4:5]
	v_lshl_add_u64 v[74:75], s[14:15], 0, v[4:5]
	v_lshlrev_b64 v[4:5], 3, v[6:7]
	v_lshl_add_u64 v[76:77], s[12:13], 0, v[4:5]
	v_lshl_add_u64 v[78:79], s[14:15], 0, v[4:5]
	v_lshlrev_b64 v[4:5], 3, v[8:9]
	s_add_u32 s4, s0, 64
	v_lshl_add_u64 v[80:81], s[12:13], 0, v[4:5]
	v_lshl_add_u64 v[82:83], s[14:15], 0, v[4:5]
	v_lshlrev_b64 v[4:5], 3, v[10:11]
	s_addc_u32 s5, s1, 0
	s_waitcnt lgkmcnt(0)
	s_lshl_b32 s3, s3, 7
	v_lshl_add_u64 v[84:85], s[12:13], 0, v[4:5]
	v_lshl_add_u64 v[86:87], s[14:15], 0, v[4:5]
	v_lshlrev_b64 v[4:5], 3, v[12:13]
	s_mul_i32 s6, s11, s3
	s_mul_hi_u32 s7, s10, s3
	v_lshl_add_u64 v[88:89], s[12:13], 0, v[4:5]
	v_lshl_add_u64 v[90:91], s[14:15], 0, v[4:5]
	v_lshlrev_b64 v[4:5], 3, v[14:15]
	v_add3_u32 v19, v3, v19, v20
	s_add_i32 s7, s7, s6
	s_mul_i32 s6, s10, s3
	v_lshl_add_u64 v[92:93], s[12:13], 0, v[4:5]
	v_lshl_add_u64 v[94:95], s[14:15], 0, v[4:5]
	v_lshlrev_b64 v[4:5], 3, v[16:17]
	v_mbcnt_lo_u32_b32 v3, -1, 0
	v_and_b32_e32 v110, 0x3ff, v0
	s_lshl_b64 s[6:7], s[6:7], 3
	v_lshl_add_u64 v[96:97], s[12:13], 0, v[4:5]
	v_lshl_add_u64 v[98:99], s[14:15], 0, v[4:5]
	v_lshlrev_b64 v[4:5], 3, v[18:19]
	v_mbcnt_hi_u32_b32 v3, -1, v3
	v_add_u32_e32 v20, s33, v110
	v_mov_b32_e32 v21, v2
	s_add_u32 s22, s20, 0x7f
	v_lshl_add_u64 v[100:101], s[12:13], 0, v[4:5]
	v_lshl_add_u64 v[102:103], s[14:15], 0, v[4:5]
	s_movk_i32 s12, 0xff81
	s_movk_i32 s14, 0xff82
	;; [unrolled: 1-line block ×8, first 2 shown]
	v_lshlrev_b32_e32 v3, 2, v3
	v_lshlrev_b64 v[70:71], 3, v[20:21]
	s_addc_u32 s23, 0, 0
	s_mov_b32 s13, -1
	s_mov_b32 s15, -1
	;; [unrolled: 1-line block ×8, first 2 shown]
	v_and_b32_e32 v111, 0x100, v3
	v_mov_b64_e32 v[38:39], 0
	v_mov_b64_e32 v[36:37], 0
	s_branch .LBB34_56
.LBB34_53:                              ;   in Loop: Header=BB34_56 Depth=1
	s_or_b64 exec, exec, s[40:41]
.LBB34_54:                              ;   in Loop: Header=BB34_56 Depth=1
	s_or_b64 exec, exec, s[38:39]
	v_lshl_add_u64 v[6:7], v[74:75], 0, v[70:71]
	global_load_dwordx2 v[14:15], v[6:7], off
	v_lshl_add_u64 v[6:7], v[52:53], 0, v[70:71]
	global_load_dwordx2 v[10:11], v[6:7], off
	;; [unrolled: 2-line block ×6, first 2 shown]
	v_lshl_add_u64 v[16:17], v[42:43], 0, v[70:71]
	v_lshl_add_u64 v[22:23], v[44:45], 0, v[70:71]
	global_load_dwordx2 v[6:7], v[16:17], off
	s_nop 0
	global_load_dwordx2 v[16:17], v[22:23], off
	v_lshl_add_u64 v[118:119], v[66:67], 0, v[70:71]
	v_lshl_add_u64 v[32:33], v[64:65], 0, v[70:71]
	s_waitcnt vmcnt(9)
	ds_bpermute_b32 v106, v111, v8 offset:4
	ds_bpermute_b32 v107, v111, v9 offset:4
	global_load_dwordx2 v[118:119], v[118:119], off
	ds_bpermute_b32 v104, v111, v8
	ds_bpermute_b32 v105, v111, v9
	global_load_dwordx2 v[32:33], v[32:33], off
	v_lshl_add_u64 v[26:27], v[46:47], 0, v[70:71]
	global_load_dwordx2 v[26:27], v[26:27], off
	v_lshl_add_u64 v[28:29], v[48:49], 0, v[70:71]
	v_lshl_add_u64 v[30:31], v[50:51], 0, v[70:71]
	;; [unrolled: 1-line block ×3, first 2 shown]
	global_load_dwordx2 v[28:29], v[28:29], off
	s_nop 0
	global_load_dwordx2 v[30:31], v[30:31], off
	s_nop 0
	global_load_dwordx2 v[34:35], v[34:35], off
	ds_bpermute_b32 v108, v111, v8 offset:8
	ds_bpermute_b32 v109, v111, v9 offset:8
	;; [unrolled: 1-line block ×12, first 2 shown]
	s_waitcnt vmcnt(13) lgkmcnt(12)
	v_add_f64 v[14:15], v[14:15], -v[104:105]
	v_lshl_add_u64 v[104:105], v[58:59], 0, v[70:71]
	s_waitcnt vmcnt(12)
	v_add_f64 v[10:11], v[10:11], -v[106:107]
	v_lshl_add_u64 v[106:107], v[68:69], 0, v[70:71]
	global_load_dwordx2 v[106:107], v[106:107], off
	s_waitcnt vmcnt(12) lgkmcnt(10)
	v_add_f64 v[12:13], v[12:13], -v[108:109]
	ds_bpermute_b32 v108, v111, v4
	ds_bpermute_b32 v109, v111, v5
	s_waitcnt vmcnt(11) lgkmcnt(10)
	v_add_f64 v[24:25], v[24:25], -v[112:113]
	ds_bpermute_b32 v112, v111, v4 offset:4
	s_waitcnt vmcnt(9)
	v_add_f64 v[36:37], v[36:37], v[18:19]
	v_mul_f64 v[14:15], v[18:19], v[14:15]
	global_load_dwordx2 v[18:19], v[104:105], off
	ds_bpermute_b32 v113, v111, v5 offset:4
	s_waitcnt lgkmcnt(10)
	v_add_f64 v[20:21], v[20:21], -v[114:115]
	ds_bpermute_b32 v114, v111, v4 offset:8
	ds_bpermute_b32 v115, v111, v5 offset:8
	s_waitcnt vmcnt(9)
	v_mul_f64 v[10:11], v[6:7], v[10:11]
	s_waitcnt lgkmcnt(4)
	v_fmac_f64_e32 v[38:39], v[14:15], v[108:109]
	s_waitcnt vmcnt(8)
	v_mul_f64 v[12:13], v[16:17], v[12:13]
	s_waitcnt lgkmcnt(2)
	v_fmac_f64_e32 v[38:39], v[10:11], v[112:113]
	s_waitcnt lgkmcnt(0)
	v_fmac_f64_e32 v[38:39], v[12:13], v[114:115]
	ds_bpermute_b32 v12, v111, v4 offset:12
	ds_bpermute_b32 v13, v111, v5 offset:12
	s_waitcnt vmcnt(7)
	v_add_f64 v[14:15], v[118:119], -v[22:23]
	ds_bpermute_b32 v22, v111, v4 offset:16
	ds_bpermute_b32 v23, v111, v5 offset:16
	s_waitcnt vmcnt(6)
	v_add_f64 v[10:11], v[32:33], -v[116:117]
	v_add_f64 v[6:7], v[36:37], v[6:7]
	ds_bpermute_b32 v32, v111, v4 offset:20
	ds_bpermute_b32 v33, v111, v5 offset:20
	v_add_f64 v[6:7], v[6:7], v[16:17]
	ds_bpermute_b32 v16, v111, v4 offset:24
	ds_bpermute_b32 v17, v111, v5 offset:24
	s_waitcnt vmcnt(5)
	v_mul_f64 v[24:25], v[26:27], v[24:25]
	v_add_f64 v[6:7], v[6:7], v[26:27]
	ds_bpermute_b32 v26, v111, v4 offset:28
	ds_bpermute_b32 v27, v111, v5 offset:28
	s_waitcnt vmcnt(4)
	v_mul_f64 v[20:21], v[28:29], v[20:21]
	v_add_f64 v[6:7], v[6:7], v[28:29]
	s_waitcnt lgkmcnt(8)
	v_fmac_f64_e32 v[38:39], v[24:25], v[12:13]
	s_waitcnt vmcnt(3)
	v_mul_f64 v[10:11], v[30:31], v[10:11]
	v_add_f64 v[6:7], v[6:7], v[30:31]
	s_waitcnt lgkmcnt(6)
	v_fmac_f64_e32 v[38:39], v[20:21], v[22:23]
	s_waitcnt vmcnt(2)
	v_mul_f64 v[14:15], v[34:35], v[14:15]
	s_waitcnt lgkmcnt(4)
	v_fmac_f64_e32 v[38:39], v[10:11], v[32:33]
	v_add_f64 v[4:5], v[6:7], v[34:35]
	s_waitcnt lgkmcnt(2)
	v_fmac_f64_e32 v[38:39], v[14:15], v[16:17]
	v_mov_b64_e32 v[20:21], v[38:39]
	s_waitcnt vmcnt(1)
	v_add_f64 v[6:7], v[106:107], -v[8:9]
	s_waitcnt vmcnt(0)
	v_mul_f64 v[6:7], v[18:19], v[6:7]
	s_waitcnt lgkmcnt(0)
	v_mul_f64 v[6:7], v[6:7], v[26:27]
.LBB34_55:                              ;   in Loop: Header=BB34_56 Depth=1
	s_add_u32 s20, s20, s3
	v_add_f64 v[36:37], v[4:5], v[18:19]
	s_addc_u32 s21, s21, 0
	v_mov_b64_e32 v[4:5], s[8:9]
	s_add_u32 s22, s22, s3
	v_cmp_ge_i64_e32 vcc, s[20:21], v[4:5]
	v_add_f64 v[38:39], v[20:21], v[6:7]
	v_lshl_add_u64 v[72:73], v[72:73], 0, s[6:7]
	v_lshl_add_u64 v[74:75], v[74:75], 0, s[6:7]
	s_addc_u32 s23, s23, 0
	v_lshl_add_u64 v[42:43], v[42:43], 0, s[6:7]
	v_lshl_add_u64 v[44:45], v[44:45], 0, s[6:7]
	;; [unrolled: 1-line block ×28, first 2 shown]
	s_cbranch_vccnz .LBB34_82
.LBB34_56:                              ; =>This Inner Loop Header: Depth=1
	v_mov_b64_e32 v[4:5], s[8:9]
	v_cmp_ge_i64_e32 vcc, s[22:23], v[4:5]
	v_lshl_add_u64 v[104:105], v[40:41], 0, s[22:23]
	s_mov_b64 s[38:39], -1
	s_and_b64 vcc, exec, vcc
                                        ; implicit-def: $vgpr18_vgpr19
                                        ; implicit-def: $vgpr6_vgpr7
                                        ; implicit-def: $vgpr4_vgpr5
                                        ; implicit-def: $vgpr20_vgpr21
	s_cbranch_vccz .LBB34_78
; %bb.57:                               ;   in Loop: Header=BB34_56 Depth=1
	s_load_dword s33, s[4:5], 0xc
	v_mov_b64_e32 v[106:107], 0
	v_mov_b64_e32 v[108:109], 0
	s_waitcnt lgkmcnt(0)
	s_and_b32 s33, s33, 0xffff
	v_mad_u32_u24 v3, v1, s33, v110
	v_and_b32_e32 v4, 63, v3
	v_cmp_gt_u32_e32 vcc, 8, v4
	s_and_saveexec_b64 s[38:39], vcc
	s_cbranch_execz .LBB34_61
; %bb.58:                               ;   in Loop: Header=BB34_56 Depth=1
	v_mov_b32_e32 v5, v2
	v_lshl_add_u64 v[4:5], v[104:105], 0, v[4:5]
	v_lshl_add_u64 v[4:5], v[4:5], 0, s[12:13]
	v_cmp_gt_i64_e32 vcc, s[8:9], v[4:5]
	v_mov_b64_e32 v[108:109], 0
	v_mov_b64_e32 v[106:107], 0
	s_and_saveexec_b64 s[40:41], vcc
	s_cbranch_execz .LBB34_60
; %bb.59:                               ;   in Loop: Header=BB34_56 Depth=1
	v_lshlrev_b64 v[4:5], 3, v[4:5]
	v_lshl_add_u64 v[6:7], s[18:19], 0, v[4:5]
	v_lshl_add_u64 v[4:5], s[16:17], 0, v[4:5]
	global_load_dwordx2 v[108:109], v[4:5], off
	global_load_dwordx2 v[106:107], v[6:7], off
.LBB34_60:                              ;   in Loop: Header=BB34_56 Depth=1
	s_or_b64 exec, exec, s[40:41]
.LBB34_61:                              ;   in Loop: Header=BB34_56 Depth=1
	s_or_b64 exec, exec, s[38:39]
	v_lshl_add_u64 v[4:5], v[104:105], 0, s[12:13]
	v_mov_b32_e32 v16, v2
	v_mov_b32_e32 v17, v2
	v_cmp_gt_i64_e32 vcc, s[8:9], v[4:5]
	v_mov_b32_e32 v3, v2
	v_mov_b32_e32 v4, v2
	;; [unrolled: 1-line block ×13, first 2 shown]
	v_mov_b64_e32 v[34:35], v[16:17]
	v_mov_b64_e32 v[32:33], v[14:15]
	;; [unrolled: 1-line block ×16, first 2 shown]
	s_and_saveexec_b64 s[38:39], vcc
	s_cbranch_execz .LBB34_63
; %bb.62:                               ;   in Loop: Header=BB34_56 Depth=1
	v_lshl_add_u64 v[4:5], v[72:73], 0, v[70:71]
	v_lshl_add_u64 v[6:7], v[74:75], 0, v[70:71]
	global_load_dwordx2 v[4:5], v[4:5], off
	v_mov_b32_e32 v8, v2
	global_load_dwordx2 v[20:21], v[6:7], off
	v_mov_b32_e32 v6, v2
	v_mov_b32_e32 v7, v2
	;; [unrolled: 1-line block ×27, first 2 shown]
.LBB34_63:                              ;   in Loop: Header=BB34_56 Depth=1
	s_or_b64 exec, exec, s[38:39]
	v_lshl_add_u64 v[112:113], v[104:105], 0, s[14:15]
	v_cmp_gt_i64_e32 vcc, s[8:9], v[112:113]
	s_and_saveexec_b64 s[38:39], vcc
	s_cbranch_execz .LBB34_65
; %bb.64:                               ;   in Loop: Header=BB34_56 Depth=1
	v_lshl_add_u64 v[6:7], v[100:101], 0, v[70:71]
	v_lshl_add_u64 v[22:23], v[102:103], 0, v[70:71]
	global_load_dwordx2 v[6:7], v[6:7], off
	s_nop 0
	global_load_dwordx2 v[22:23], v[22:23], off
.LBB34_65:                              ;   in Loop: Header=BB34_56 Depth=1
	s_or_b64 exec, exec, s[38:39]
	v_lshl_add_u64 v[112:113], v[104:105], 0, s[24:25]
	v_cmp_gt_i64_e32 vcc, s[8:9], v[112:113]
	s_and_saveexec_b64 s[38:39], vcc
	s_cbranch_execz .LBB34_67
; %bb.66:                               ;   in Loop: Header=BB34_56 Depth=1
	v_lshl_add_u64 v[8:9], v[96:97], 0, v[70:71]
	v_lshl_add_u64 v[24:25], v[98:99], 0, v[70:71]
	global_load_dwordx2 v[8:9], v[8:9], off
	s_nop 0
	global_load_dwordx2 v[24:25], v[24:25], off
.LBB34_67:                              ;   in Loop: Header=BB34_56 Depth=1
	;; [unrolled: 12-line block ×7, first 2 shown]
	s_or_b64 exec, exec, s[38:39]
	s_waitcnt vmcnt(1)
	ds_bpermute_b32 v112, v111, v108
	ds_bpermute_b32 v113, v111, v109
	s_waitcnt vmcnt(0)
	ds_bpermute_b32 v114, v111, v106
	ds_bpermute_b32 v115, v111, v107
	ds_bpermute_b32 v116, v111, v108 offset:4
	ds_bpermute_b32 v117, v111, v109 offset:4
	s_waitcnt lgkmcnt(4)
	v_add_f64 v[20:21], v[20:21], -v[112:113]
	v_mul_f64 v[20:21], v[4:5], v[20:21]
	s_waitcnt lgkmcnt(2)
	v_fma_f64 v[20:21], v[20:21], v[114:115], v[38:39]
	ds_bpermute_b32 v112, v111, v106 offset:4
	ds_bpermute_b32 v113, v111, v107 offset:4
	;; [unrolled: 1-line block ×4, first 2 shown]
	v_add_f64 v[4:5], v[36:37], v[4:5]
	s_waitcnt lgkmcnt(4)
	v_add_f64 v[22:23], v[22:23], -v[116:117]
	v_mul_f64 v[22:23], v[6:7], v[22:23]
	v_add_f64 v[4:5], v[6:7], v[4:5]
	ds_bpermute_b32 v6, v111, v106 offset:8
	ds_bpermute_b32 v7, v111, v107 offset:8
	s_waitcnt lgkmcnt(4)
	v_fmac_f64_e32 v[20:21], v[22:23], v[112:113]
	s_waitcnt lgkmcnt(2)
	v_add_f64 v[22:23], v[24:25], -v[114:115]
	ds_bpermute_b32 v24, v111, v108 offset:12
	ds_bpermute_b32 v25, v111, v109 offset:12
	v_mul_f64 v[22:23], v[8:9], v[22:23]
	s_waitcnt lgkmcnt(2)
	v_fmac_f64_e32 v[20:21], v[22:23], v[6:7]
	ds_bpermute_b32 v6, v111, v106 offset:12
	ds_bpermute_b32 v7, v111, v107 offset:12
	v_add_f64 v[4:5], v[8:9], v[4:5]
	s_waitcnt lgkmcnt(2)
	v_add_f64 v[8:9], v[26:27], -v[24:25]
	ds_bpermute_b32 v22, v111, v108 offset:16
	ds_bpermute_b32 v23, v111, v109 offset:16
	v_mul_f64 v[8:9], v[10:11], v[8:9]
	s_waitcnt lgkmcnt(2)
	v_fmac_f64_e32 v[20:21], v[8:9], v[6:7]
	v_add_f64 v[4:5], v[10:11], v[4:5]
	ds_bpermute_b32 v6, v111, v106 offset:16
	ds_bpermute_b32 v7, v111, v107 offset:16
	;; [unrolled: 1-line block ×4, first 2 shown]
	s_waitcnt lgkmcnt(4)
	v_add_f64 v[8:9], v[28:29], -v[22:23]
	v_mul_f64 v[8:9], v[12:13], v[8:9]
	s_waitcnt lgkmcnt(2)
	v_fmac_f64_e32 v[20:21], v[8:9], v[6:7]
	ds_bpermute_b32 v6, v111, v106 offset:20
	ds_bpermute_b32 v7, v111, v107 offset:20
	s_waitcnt lgkmcnt(2)
	v_add_f64 v[8:9], v[30:31], -v[10:11]
	ds_bpermute_b32 v10, v111, v108 offset:24
	ds_bpermute_b32 v11, v111, v109 offset:24
	v_mul_f64 v[8:9], v[14:15], v[8:9]
	s_waitcnt lgkmcnt(2)
	v_fmac_f64_e32 v[20:21], v[8:9], v[6:7]
	ds_bpermute_b32 v6, v111, v106 offset:24
	ds_bpermute_b32 v7, v111, v107 offset:24
	s_waitcnt lgkmcnt(2)
	v_add_f64 v[8:9], v[32:33], -v[10:11]
	ds_bpermute_b32 v10, v111, v108 offset:28
	ds_bpermute_b32 v11, v111, v109 offset:28
	v_add_f64 v[4:5], v[12:13], v[4:5]
	ds_bpermute_b32 v12, v111, v106 offset:28
	ds_bpermute_b32 v13, v111, v107 offset:28
	v_mul_f64 v[8:9], v[16:17], v[8:9]
	s_waitcnt lgkmcnt(4)
	v_fmac_f64_e32 v[20:21], v[8:9], v[6:7]
	s_waitcnt lgkmcnt(2)
	v_add_f64 v[6:7], v[34:35], -v[10:11]
	v_add_f64 v[4:5], v[14:15], v[4:5]
	v_mul_f64 v[6:7], v[18:19], v[6:7]
	v_add_f64 v[4:5], v[16:17], v[4:5]
	s_waitcnt lgkmcnt(0)
	v_mul_f64 v[6:7], v[6:7], v[12:13]
	s_mov_b64 s[38:39], 0
.LBB34_78:                              ;   in Loop: Header=BB34_56 Depth=1
	s_and_b64 vcc, exec, s[38:39]
	s_cbranch_vccz .LBB34_55
; %bb.79:                               ;   in Loop: Header=BB34_56 Depth=1
	s_load_dword s33, s[4:5], 0x0
	v_mov_b64_e32 v[4:5], 0
	v_mov_b64_e32 v[8:9], 0
	s_waitcnt lgkmcnt(0)
	s_cmp_lt_u32 s2, s33
	s_cselect_b32 s33, 12, 18
	s_add_u32 s38, s4, s33
	s_addc_u32 s39, s5, 0
	global_load_ushort v3, v2, s[38:39]
	s_waitcnt vmcnt(0)
	v_mad_u32_u24 v3, v1, v3, v110
	v_and_b32_e32 v6, 63, v3
	v_cmp_gt_u32_e32 vcc, 8, v6
	s_and_saveexec_b64 s[38:39], vcc
	s_cbranch_execz .LBB34_54
; %bb.80:                               ;   in Loop: Header=BB34_56 Depth=1
	v_mov_b32_e32 v7, v2
	v_lshl_add_u64 v[4:5], v[104:105], 0, v[6:7]
	v_lshl_add_u64 v[6:7], v[4:5], 0, s[12:13]
	v_cmp_gt_i64_e32 vcc, s[8:9], v[6:7]
	v_mov_b64_e32 v[8:9], 0
	v_mov_b64_e32 v[4:5], 0
	s_and_saveexec_b64 s[40:41], vcc
	s_cbranch_execz .LBB34_53
; %bb.81:                               ;   in Loop: Header=BB34_56 Depth=1
	v_lshlrev_b64 v[4:5], 3, v[6:7]
	v_lshl_add_u64 v[6:7], s[18:19], 0, v[4:5]
	v_lshl_add_u64 v[4:5], s[16:17], 0, v[4:5]
	global_load_dwordx2 v[8:9], v[4:5], off
	s_nop 0
	global_load_dwordx2 v[4:5], v[6:7], off
	s_branch .LBB34_53
.LBB34_82:
	v_and_b32_e32 v1, 0x3ff, v0
	v_bfe_u32 v2, v0, 10, 10
	s_movk_i32 s3, 0x41
	v_bfe_u32 v0, v0, 6, 4
	v_mad_u32_u24 v3, v2, s3, v1
	v_add_u32_e32 v0, v0, v2
	v_lshl_add_u32 v3, v3, 3, 0
	v_cmp_gt_u32_e32 vcc, 64, v0
	ds_write_b64 v3, v[38:39]
	ds_write_b64 v3, v[36:37] offset:8320
	s_waitcnt lgkmcnt(0)
	s_barrier
	s_and_saveexec_b64 s[4:5], vcc
	s_cbranch_execz .LBB34_114
; %bb.83:
	s_load_dwordx4 s[4:7], s[0:1], 0x30
	v_and_b32_e32 v2, 63, v1
	v_cmp_gt_u32_e64 s[0:1], 16, v2
	v_mul_u32_u24_e32 v8, 0x41, v2
                                        ; implicit-def: $vgpr2_vgpr3
                                        ; implicit-def: $vgpr4_vgpr5
	s_and_saveexec_b64 s[8:9], s[0:1]
	s_cbranch_execz .LBB34_85
; %bb.84:
	v_add_u32_e32 v2, v0, v8
	v_lshl_add_u32 v2, v2, 3, 0
	ds_read_b64 v[4:5], v2
	ds_read_b64 v[2:3], v2 offset:8320
.LBB34_85:
	s_or_b64 exec, exec, s[8:9]
	v_mbcnt_lo_u32_b32 v6, -1, 0
	v_mbcnt_hi_u32_b32 v14, -1, v6
	v_and_b32_e32 v6, 64, v14
	v_add_u32_e32 v15, 64, v6
	v_xor_b32_e32 v6, 8, v14
	v_cmp_lt_i32_e32 vcc, v6, v15
	s_mov_b32 s3, 0
	s_lshl_b64 s[8:9], s[2:3], 6
	v_cndmask_b32_e32 v6, v14, v6, vcc
	v_lshlrev_b32_e32 v9, 2, v6
	s_waitcnt lgkmcnt(0)
	ds_bpermute_b32 v6, v9, v4
	ds_bpermute_b32 v7, v9, v5
	;; [unrolled: 1-line block ×4, first 2 shown]
	v_cmp_eq_u32_e64 s[2:3], 0, v1
	v_xor_b32_e32 v1, 1, v14
	s_waitcnt lgkmcnt(2)
	v_add_f64 v[4:5], v[4:5], v[6:7]
	v_xor_b32_e32 v6, 4, v14
	v_cmp_lt_i32_e32 vcc, v6, v15
	s_waitcnt lgkmcnt(0)
	v_add_f64 v[2:3], v[2:3], v[10:11]
	s_cmp_lg_u64 s[4:5], 0
	v_cndmask_b32_e32 v6, v14, v6, vcc
	v_lshlrev_b32_e32 v10, 2, v6
	ds_bpermute_b32 v6, v10, v4
	ds_bpermute_b32 v7, v10, v5
	;; [unrolled: 1-line block ×4, first 2 shown]
	s_cselect_b64 s[14:15], -1, 0
	s_cmp_lg_u64 s[6:7], 0
	s_waitcnt lgkmcnt(2)
	v_add_f64 v[4:5], v[4:5], v[6:7]
	v_xor_b32_e32 v6, 2, v14
	v_cmp_lt_i32_e32 vcc, v6, v15
	s_waitcnt lgkmcnt(0)
	v_add_f64 v[2:3], v[2:3], v[12:13]
	s_cselect_b64 s[12:13], -1, 0
	v_cndmask_b32_e32 v6, v14, v6, vcc
	v_lshlrev_b32_e32 v11, 2, v6
	ds_bpermute_b32 v6, v11, v4
	ds_bpermute_b32 v7, v11, v5
	;; [unrolled: 1-line block ×4, first 2 shown]
	v_cmp_lt_i32_e32 vcc, v1, v15
	s_waitcnt lgkmcnt(2)
	v_add_f64 v[4:5], v[4:5], v[6:7]
	v_cndmask_b32_e32 v1, v14, v1, vcc
	s_waitcnt lgkmcnt(0)
	v_add_f64 v[6:7], v[2:3], v[12:13]
	v_lshlrev_b32_e32 v12, 2, v1
	ds_bpermute_b32 v2, v12, v4
	ds_bpermute_b32 v3, v12, v5
	;; [unrolled: 1-line block ×4, first 2 shown]
	v_mov_b32_e32 v1, 0
	s_waitcnt lgkmcnt(2)
	v_add_f64 v[2:3], v[4:5], v[2:3]
	s_waitcnt lgkmcnt(0)
	v_add_f64 v[4:5], v[6:7], v[14:15]
	v_or_b32_e32 v6, s8, v0
	v_mov_b32_e32 v7, s9
	v_cmp_gt_i64_e32 vcc, s[10:11], v[6:7]
	s_and_b64 s[18:19], s[2:3], vcc
	s_and_saveexec_b64 s[16:17], s[18:19]
	s_cbranch_execz .LBB34_90
; %bb.86:
	s_andn2_b64 vcc, exec, s[14:15]
	s_cbranch_vccnz .LBB34_88
; %bb.87:
	v_lshl_add_u64 v[14:15], v[6:7], 3, s[4:5]
	global_store_dwordx2 v[14:15], v[2:3], off
.LBB34_88:
	s_andn2_b64 vcc, exec, s[12:13]
	s_cbranch_vccnz .LBB34_90
; %bb.89:
	v_lshl_add_u64 v[6:7], v[6:7], 3, s[6:7]
	global_store_dwordx2 v[6:7], v[4:5], off
.LBB34_90:
	s_or_b64 exec, exec, s[16:17]
	v_cmp_gt_u32_e32 vcc, 48, v0
	s_and_b64 exec, exec, vcc
	s_cbranch_execz .LBB34_114
; %bb.91:
	s_and_saveexec_b64 s[16:17], s[0:1]
	s_cbranch_execz .LBB34_93
; %bb.92:
	v_add_u32_e32 v2, v0, v8
	v_lshl_add_u32 v4, v2, 3, 0
	ds_read_b64 v[2:3], v4 offset:128
	ds_read_b64 v[4:5], v4 offset:8448
.LBB34_93:
	s_or_b64 exec, exec, s[16:17]
	s_waitcnt lgkmcnt(1)
	ds_bpermute_b32 v6, v9, v2
	ds_bpermute_b32 v7, v9, v3
	s_waitcnt lgkmcnt(2)
	ds_bpermute_b32 v14, v9, v4
	ds_bpermute_b32 v15, v9, v5
	v_add_u32_e32 v16, 16, v0
	v_mov_b32_e32 v17, 0
	s_waitcnt lgkmcnt(2)
	v_add_f64 v[2:3], v[2:3], v[6:7]
	ds_bpermute_b32 v6, v10, v2
	ds_bpermute_b32 v7, v10, v3
	s_waitcnt lgkmcnt(2)
	v_add_f64 v[4:5], v[4:5], v[14:15]
	ds_bpermute_b32 v14, v10, v4
	ds_bpermute_b32 v15, v10, v5
	;; [unrolled: 4-line block ×6, first 2 shown]
	s_waitcnt lgkmcnt(2)
	v_add_f64 v[2:3], v[2:3], v[6:7]
	v_lshl_add_u64 v[6:7], s[8:9], 0, v[16:17]
	v_cmp_gt_i64_e32 vcc, s[10:11], v[6:7]
	s_waitcnt lgkmcnt(0)
	v_add_f64 v[4:5], v[4:5], v[14:15]
	s_and_b64 s[18:19], s[2:3], vcc
	s_and_saveexec_b64 s[16:17], s[18:19]
	s_cbranch_execz .LBB34_98
; %bb.94:
	s_andn2_b64 vcc, exec, s[14:15]
	s_cbranch_vccnz .LBB34_96
; %bb.95:
	v_lshl_add_u64 v[6:7], s[8:9], 0, v[0:1]
	v_lshl_add_u64 v[6:7], v[6:7], 3, s[4:5]
	global_store_dwordx2 v[6:7], v[2:3], off offset:128
.LBB34_96:
	s_andn2_b64 vcc, exec, s[12:13]
	s_cbranch_vccnz .LBB34_98
; %bb.97:
	v_lshl_add_u64 v[6:7], s[8:9], 0, v[0:1]
	v_lshl_add_u64 v[6:7], v[6:7], 3, s[6:7]
	global_store_dwordx2 v[6:7], v[4:5], off offset:128
.LBB34_98:
	s_or_b64 exec, exec, s[16:17]
	v_cmp_gt_u32_e32 vcc, 32, v0
	s_and_b64 exec, exec, vcc
	s_cbranch_execz .LBB34_114
; %bb.99:
	s_and_saveexec_b64 s[16:17], s[0:1]
	s_cbranch_execz .LBB34_101
; %bb.100:
	v_add_u32_e32 v2, v0, v8
	v_lshl_add_u32 v4, v2, 3, 0
	ds_read_b64 v[2:3], v4 offset:256
	ds_read_b64 v[4:5], v4 offset:8576
.LBB34_101:
	s_or_b64 exec, exec, s[16:17]
	s_waitcnt lgkmcnt(1)
	ds_bpermute_b32 v6, v9, v2
	ds_bpermute_b32 v7, v9, v3
	s_waitcnt lgkmcnt(2)
	ds_bpermute_b32 v14, v9, v4
	ds_bpermute_b32 v15, v9, v5
	v_add_u32_e32 v13, 32, v0
	s_waitcnt lgkmcnt(2)
	v_add_f64 v[2:3], v[2:3], v[6:7]
	ds_bpermute_b32 v6, v10, v2
	ds_bpermute_b32 v7, v10, v3
	s_waitcnt lgkmcnt(2)
	v_add_f64 v[4:5], v[4:5], v[14:15]
	ds_bpermute_b32 v14, v10, v4
	ds_bpermute_b32 v15, v10, v5
	;; [unrolled: 4-line block ×6, first 2 shown]
	s_waitcnt lgkmcnt(2)
	v_add_f64 v[2:3], v[2:3], v[6:7]
	v_or_b32_e32 v6, s8, v13
	v_mov_b32_e32 v7, s9
	v_cmp_gt_i64_e32 vcc, s[10:11], v[6:7]
	s_waitcnt lgkmcnt(0)
	v_add_f64 v[4:5], v[4:5], v[14:15]
	s_and_b64 s[18:19], s[2:3], vcc
	s_and_saveexec_b64 s[16:17], s[18:19]
	s_cbranch_execz .LBB34_106
; %bb.102:
	s_andn2_b64 vcc, exec, s[14:15]
	s_cbranch_vccnz .LBB34_104
; %bb.103:
	v_lshl_add_u64 v[6:7], s[8:9], 0, v[0:1]
	v_lshl_add_u64 v[6:7], v[6:7], 3, s[4:5]
	global_store_dwordx2 v[6:7], v[2:3], off offset:256
.LBB34_104:
	s_andn2_b64 vcc, exec, s[12:13]
	s_cbranch_vccnz .LBB34_106
; %bb.105:
	v_lshl_add_u64 v[6:7], s[8:9], 0, v[0:1]
	v_lshl_add_u64 v[6:7], v[6:7], 3, s[6:7]
	global_store_dwordx2 v[6:7], v[4:5], off offset:256
.LBB34_106:
	s_or_b64 exec, exec, s[16:17]
	v_cmp_gt_u32_e32 vcc, 16, v0
	s_and_b64 exec, exec, vcc
	s_cbranch_execz .LBB34_114
; %bb.107:
	s_and_saveexec_b64 s[16:17], s[0:1]
	s_cbranch_execz .LBB34_109
; %bb.108:
	v_add_u32_e32 v2, v0, v8
	v_lshl_add_u32 v4, v2, 3, 0
	ds_read_b64 v[2:3], v4 offset:384
	ds_read_b64 v[4:5], v4 offset:8704
.LBB34_109:
	s_or_b64 exec, exec, s[16:17]
	s_waitcnt lgkmcnt(1)
	ds_bpermute_b32 v6, v9, v2
	ds_bpermute_b32 v7, v9, v3
	s_waitcnt lgkmcnt(2)
	ds_bpermute_b32 v8, v9, v4
	ds_bpermute_b32 v9, v9, v5
	s_waitcnt lgkmcnt(2)
	v_add_f64 v[2:3], v[2:3], v[6:7]
	ds_bpermute_b32 v6, v10, v2
	s_waitcnt lgkmcnt(1)
	v_add_f64 v[4:5], v[4:5], v[8:9]
	ds_bpermute_b32 v7, v10, v3
	ds_bpermute_b32 v8, v10, v4
	;; [unrolled: 1-line block ×3, first 2 shown]
	v_add_u32_e32 v10, 48, v0
	v_or_b32_e32 v10, s8, v10
	s_waitcnt lgkmcnt(2)
	v_add_f64 v[2:3], v[2:3], v[6:7]
	ds_bpermute_b32 v6, v11, v2
	s_waitcnt lgkmcnt(1)
	v_add_f64 v[4:5], v[4:5], v[8:9]
	ds_bpermute_b32 v7, v11, v3
	ds_bpermute_b32 v8, v11, v4
	;; [unrolled: 1-line block ×3, first 2 shown]
	v_mov_b32_e32 v11, s9
	v_cmp_gt_i64_e32 vcc, s[10:11], v[10:11]
	s_waitcnt lgkmcnt(2)
	v_add_f64 v[6:7], v[2:3], v[6:7]
	s_and_b64 s[0:1], s[2:3], vcc
	s_waitcnt lgkmcnt(0)
	v_add_f64 v[2:3], v[4:5], v[8:9]
	ds_bpermute_b32 v8, v12, v6
	ds_bpermute_b32 v9, v12, v7
	;; [unrolled: 1-line block ×4, first 2 shown]
	s_and_b64 exec, exec, s[0:1]
	s_cbranch_execz .LBB34_114
; %bb.110:
	s_andn2_b64 vcc, exec, s[14:15]
	v_lshl_add_u64 v[0:1], s[8:9], 0, v[0:1]
	s_cbranch_vccnz .LBB34_112
; %bb.111:
	s_waitcnt lgkmcnt(2)
	v_add_f64 v[6:7], v[6:7], v[8:9]
	v_lshl_add_u64 v[8:9], v[0:1], 3, s[4:5]
	global_store_dwordx2 v[8:9], v[6:7], off offset:384
.LBB34_112:
	s_andn2_b64 vcc, exec, s[12:13]
	s_cbranch_vccnz .LBB34_114
; %bb.113:
	s_waitcnt lgkmcnt(0)
	v_add_f64 v[2:3], v[2:3], v[4:5]
	v_lshl_add_u64 v[0:1], v[0:1], 3, s[6:7]
	global_store_dwordx2 v[0:1], v[2:3], off offset:384
.LBB34_114:
	s_endpgm
	.section	.rodata,"a",@progbits
	.p2align	6, 0x0
	.amdhsa_kernel _ZN2at6native12_GLOBAL__N_135GammaBetaBackwardCUDAKernelTemplateIddLj64ELj16ELj128ELb0ELb0ELb0EEEvllPKT_S5_PKT0_S8_PS3_S9_
		.amdhsa_group_segment_fixed_size 0
		.amdhsa_private_segment_fixed_size 0
		.amdhsa_kernarg_size 320
		.amdhsa_user_sgpr_count 2
		.amdhsa_user_sgpr_dispatch_ptr 0
		.amdhsa_user_sgpr_queue_ptr 0
		.amdhsa_user_sgpr_kernarg_segment_ptr 1
		.amdhsa_user_sgpr_dispatch_id 0
		.amdhsa_user_sgpr_kernarg_preload_length 0
		.amdhsa_user_sgpr_kernarg_preload_offset 0
		.amdhsa_user_sgpr_private_segment_size 0
		.amdhsa_uses_dynamic_stack 0
		.amdhsa_enable_private_segment 0
		.amdhsa_system_sgpr_workgroup_id_x 1
		.amdhsa_system_sgpr_workgroup_id_y 1
		.amdhsa_system_sgpr_workgroup_id_z 0
		.amdhsa_system_sgpr_workgroup_info 0
		.amdhsa_system_vgpr_workitem_id 1
		.amdhsa_next_free_vgpr 120
		.amdhsa_next_free_sgpr 52
		.amdhsa_accum_offset 120
		.amdhsa_reserve_vcc 1
		.amdhsa_float_round_mode_32 0
		.amdhsa_float_round_mode_16_64 0
		.amdhsa_float_denorm_mode_32 3
		.amdhsa_float_denorm_mode_16_64 3
		.amdhsa_dx10_clamp 1
		.amdhsa_ieee_mode 1
		.amdhsa_fp16_overflow 0
		.amdhsa_tg_split 0
		.amdhsa_exception_fp_ieee_invalid_op 0
		.amdhsa_exception_fp_denorm_src 0
		.amdhsa_exception_fp_ieee_div_zero 0
		.amdhsa_exception_fp_ieee_overflow 0
		.amdhsa_exception_fp_ieee_underflow 0
		.amdhsa_exception_fp_ieee_inexact 0
		.amdhsa_exception_int_div_zero 0
	.end_amdhsa_kernel
	.section	.text._ZN2at6native12_GLOBAL__N_135GammaBetaBackwardCUDAKernelTemplateIddLj64ELj16ELj128ELb0ELb0ELb0EEEvllPKT_S5_PKT0_S8_PS3_S9_,"axG",@progbits,_ZN2at6native12_GLOBAL__N_135GammaBetaBackwardCUDAKernelTemplateIddLj64ELj16ELj128ELb0ELb0ELb0EEEvllPKT_S5_PKT0_S8_PS3_S9_,comdat
.Lfunc_end34:
	.size	_ZN2at6native12_GLOBAL__N_135GammaBetaBackwardCUDAKernelTemplateIddLj64ELj16ELj128ELb0ELb0ELb0EEEvllPKT_S5_PKT0_S8_PS3_S9_, .Lfunc_end34-_ZN2at6native12_GLOBAL__N_135GammaBetaBackwardCUDAKernelTemplateIddLj64ELj16ELj128ELb0ELb0ELb0EEEvllPKT_S5_PKT0_S8_PS3_S9_
                                        ; -- End function
	.set _ZN2at6native12_GLOBAL__N_135GammaBetaBackwardCUDAKernelTemplateIddLj64ELj16ELj128ELb0ELb0ELb0EEEvllPKT_S5_PKT0_S8_PS3_S9_.num_vgpr, 120
	.set _ZN2at6native12_GLOBAL__N_135GammaBetaBackwardCUDAKernelTemplateIddLj64ELj16ELj128ELb0ELb0ELb0EEEvllPKT_S5_PKT0_S8_PS3_S9_.num_agpr, 0
	.set _ZN2at6native12_GLOBAL__N_135GammaBetaBackwardCUDAKernelTemplateIddLj64ELj16ELj128ELb0ELb0ELb0EEEvllPKT_S5_PKT0_S8_PS3_S9_.numbered_sgpr, 52
	.set _ZN2at6native12_GLOBAL__N_135GammaBetaBackwardCUDAKernelTemplateIddLj64ELj16ELj128ELb0ELb0ELb0EEEvllPKT_S5_PKT0_S8_PS3_S9_.num_named_barrier, 0
	.set _ZN2at6native12_GLOBAL__N_135GammaBetaBackwardCUDAKernelTemplateIddLj64ELj16ELj128ELb0ELb0ELb0EEEvllPKT_S5_PKT0_S8_PS3_S9_.private_seg_size, 0
	.set _ZN2at6native12_GLOBAL__N_135GammaBetaBackwardCUDAKernelTemplateIddLj64ELj16ELj128ELb0ELb0ELb0EEEvllPKT_S5_PKT0_S8_PS3_S9_.uses_vcc, 1
	.set _ZN2at6native12_GLOBAL__N_135GammaBetaBackwardCUDAKernelTemplateIddLj64ELj16ELj128ELb0ELb0ELb0EEEvllPKT_S5_PKT0_S8_PS3_S9_.uses_flat_scratch, 0
	.set _ZN2at6native12_GLOBAL__N_135GammaBetaBackwardCUDAKernelTemplateIddLj64ELj16ELj128ELb0ELb0ELb0EEEvllPKT_S5_PKT0_S8_PS3_S9_.has_dyn_sized_stack, 0
	.set _ZN2at6native12_GLOBAL__N_135GammaBetaBackwardCUDAKernelTemplateIddLj64ELj16ELj128ELb0ELb0ELb0EEEvllPKT_S5_PKT0_S8_PS3_S9_.has_recursion, 0
	.set _ZN2at6native12_GLOBAL__N_135GammaBetaBackwardCUDAKernelTemplateIddLj64ELj16ELj128ELb0ELb0ELb0EEEvllPKT_S5_PKT0_S8_PS3_S9_.has_indirect_call, 0
	.section	.AMDGPU.csdata,"",@progbits
; Kernel info:
; codeLenInByte = 9424
; TotalNumSgprs: 58
; NumVgprs: 120
; NumAgprs: 0
; TotalNumVgprs: 120
; ScratchSize: 0
; MemoryBound: 1
; FloatMode: 240
; IeeeMode: 1
; LDSByteSize: 0 bytes/workgroup (compile time only)
; SGPRBlocks: 7
; VGPRBlocks: 14
; NumSGPRsForWavesPerEU: 58
; NumVGPRsForWavesPerEU: 120
; AccumOffset: 120
; Occupancy: 4
; WaveLimiterHint : 0
; COMPUTE_PGM_RSRC2:SCRATCH_EN: 0
; COMPUTE_PGM_RSRC2:USER_SGPR: 2
; COMPUTE_PGM_RSRC2:TRAP_HANDLER: 0
; COMPUTE_PGM_RSRC2:TGID_X_EN: 1
; COMPUTE_PGM_RSRC2:TGID_Y_EN: 1
; COMPUTE_PGM_RSRC2:TGID_Z_EN: 0
; COMPUTE_PGM_RSRC2:TIDIG_COMP_CNT: 1
; COMPUTE_PGM_RSRC3_GFX90A:ACCUM_OFFSET: 29
; COMPUTE_PGM_RSRC3_GFX90A:TG_SPLIT: 0
	.section	.text._ZN2at6native12_GLOBAL__N_135GammaBetaBackwardCUDAKernelTemplateIddLj64ELj16ELj256ELb0ELb1ELb0EEEvllPKT_S5_PKT0_S8_PS3_S9_,"axG",@progbits,_ZN2at6native12_GLOBAL__N_135GammaBetaBackwardCUDAKernelTemplateIddLj64ELj16ELj256ELb0ELb1ELb0EEEvllPKT_S5_PKT0_S8_PS3_S9_,comdat
	.globl	_ZN2at6native12_GLOBAL__N_135GammaBetaBackwardCUDAKernelTemplateIddLj64ELj16ELj256ELb0ELb1ELb0EEEvllPKT_S5_PKT0_S8_PS3_S9_ ; -- Begin function _ZN2at6native12_GLOBAL__N_135GammaBetaBackwardCUDAKernelTemplateIddLj64ELj16ELj256ELb0ELb1ELb0EEEvllPKT_S5_PKT0_S8_PS3_S9_
	.p2align	8
	.type	_ZN2at6native12_GLOBAL__N_135GammaBetaBackwardCUDAKernelTemplateIddLj64ELj16ELj256ELb0ELb1ELb0EEEvllPKT_S5_PKT0_S8_PS3_S9_,@function
_ZN2at6native12_GLOBAL__N_135GammaBetaBackwardCUDAKernelTemplateIddLj64ELj16ELj256ELb0ELb1ELb0EEEvllPKT_S5_PKT0_S8_PS3_S9_: ; @_ZN2at6native12_GLOBAL__N_135GammaBetaBackwardCUDAKernelTemplateIddLj64ELj16ELj256ELb0ELb1ELb0EEEvllPKT_S5_PKT0_S8_PS3_S9_
; %bb.0:
	s_load_dwordx4 s[16:19], s[0:1], 0x0
	s_lshl_b32 s20, s3, 8
	s_mov_b32 s21, 0
	v_mov_b64_e32 v[2:3], s[20:21]
	v_bfe_u32 v44, v0, 10, 10
	s_waitcnt lgkmcnt(0)
	v_cmp_gt_i64_e32 vcc, s[16:17], v[2:3]
	s_cbranch_vccnz .LBB35_2
; %bb.1:
	s_mov_b64 s[4:5], 0
	v_bfe_u32 v1, v0, 10, 10
	s_branch .LBB35_3
.LBB35_2:
	s_mov_b64 s[4:5], -1
                                        ; implicit-def: $vgpr1
.LBB35_3:
	s_load_dwordx4 s[12:15], s[0:1], 0x30
	v_and_b32_e32 v42, 0x3ff, v0
	v_mov_b64_e32 v[14:15], 0
	s_andn2_b64 vcc, exec, s[4:5]
	v_mbcnt_lo_u32_b32 v43, -1, 0
	v_mov_b64_e32 v[4:5], 0
	s_cbranch_vccnz .LBB35_11
; %bb.4:
	s_load_dword s3, s[0:1], 0x4c
	s_load_dword s22, s[0:1], 0x44
	s_load_dwordx8 s[4:11], s[0:1], 0x10
	v_mbcnt_hi_u32_b32 v6, -1, v43
	v_lshlrev_b32_e32 v0, 4, v44
	s_waitcnt lgkmcnt(0)
	s_and_b32 s0, s3, 0xffff
	v_mad_u32_u24 v1, v44, s0, v42
	v_and_b32_e32 v2, 63, v1
	v_mov_b32_e32 v1, 0
	v_lshlrev_b32_e32 v6, 2, v6
	v_mov_b32_e32 v3, v1
	v_and_b32_e32 v45, 0x100, v6
	v_lshl_add_u64 v[6:7], v[0:1], 0, s[20:21]
	v_mov_b32_e32 v5, v1
	s_lshl_b32 s22, s22, 8
	v_lshl_add_u64 v[0:1], v[6:7], 0, v[2:3]
	v_mul_lo_u32 v8, s19, v6
	v_mul_lo_u32 v9, s18, v7
	v_mad_u64_u32 v[6:7], s[26:27], s18, v6, 0
	v_lshl_add_u32 v4, s2, 6, v42
	s_mul_i32 s3, s19, s22
	s_mul_hi_u32 s26, s18, s22
	s_mov_b32 s23, 0
	v_add3_u32 v7, v7, v9, v8
	v_lshlrev_b64 v[4:5], 3, v[4:5]
	s_add_i32 s27, s26, s3
	s_mul_i32 s26, s18, s22
	v_cmp_gt_u32_e64 s[0:1], 16, v2
	v_or_b32_e32 v46, 4, v45
	v_or_b32_e32 v47, 8, v45
	;; [unrolled: 1-line block ×15, first 2 shown]
	v_lshlrev_b64 v[2:3], 3, v[0:1]
	s_lshl_b64 s[24:25], s[22:23], 3
	v_lshl_add_u64 v[6:7], v[6:7], 3, v[4:5]
	s_lshl_b64 s[26:27], s[26:27], 3
	s_lshl_b64 s[18:19], s[18:19], 3
	v_mov_b64_e32 v[4:5], 0
	v_mov_b64_e32 v[8:9], s[16:17]
	;; [unrolled: 1-line block ×3, first 2 shown]
	s_branch .LBB35_7
.LBB35_5:                               ;   in Loop: Header=BB35_7 Depth=1
	s_or_b64 exec, exec, s[30:31]
.LBB35_6:                               ;   in Loop: Header=BB35_7 Depth=1
	s_or_b64 exec, exec, s[28:29]
	v_lshl_add_u64 v[18:19], s[6:7], 0, v[6:7]
	global_load_dwordx2 v[26:27], v[18:19], off
	v_lshl_add_u64 v[20:21], s[4:5], 0, v[6:7]
	global_load_dwordx2 v[16:17], v[20:21], off
	;; [unrolled: 2-line block ×8, first 2 shown]
	s_waitcnt vmcnt(9)
	ds_bpermute_b32 v38, v45, v12
	ds_bpermute_b32 v39, v45, v13
	s_waitcnt vmcnt(8)
	ds_bpermute_b32 v34, v45, v10
	ds_bpermute_b32 v35, v45, v11
	v_lshl_add_u64 v[62:63], v[24:25], 0, s[18:19]
	v_lshl_add_u64 v[36:37], v[36:37], 0, s[18:19]
	global_load_dwordx2 v[24:25], v[36:37], off
	ds_bpermute_b32 v40, v46, v10
	ds_bpermute_b32 v41, v46, v11
	v_lshl_add_u64 v[36:37], v[36:37], 0, s[18:19]
	s_add_u32 s20, s20, s22
	s_addc_u32 s21, s21, 0
	v_cmp_lt_i64_e32 vcc, s[20:21], v[8:9]
	v_lshl_add_u64 v[2:3], v[2:3], 0, s[24:25]
	v_lshl_add_u64 v[0:1], v[0:1], 0, s[22:23]
	;; [unrolled: 1-line block ×3, first 2 shown]
	s_and_b64 vcc, exec, vcc
	s_waitcnt vmcnt(8) lgkmcnt(4)
	v_add_f64 v[26:27], v[26:27], -v[38:39]
	global_load_dwordx2 v[38:39], v[62:63], off
	s_waitcnt vmcnt(8)
	v_mul_f64 v[26:27], v[16:17], v[26:27]
	s_waitcnt lgkmcnt(2)
	v_fmac_f64_e32 v[4:5], v[26:27], v[34:35]
	ds_bpermute_b32 v34, v46, v12
	ds_bpermute_b32 v35, v46, v13
	v_lshl_add_u64 v[62:63], v[62:63], 0, s[18:19]
	global_load_dwordx2 v[26:27], v[36:37], off
	v_lshl_add_u64 v[36:37], v[36:37], 0, s[18:19]
	v_add_f64 v[14:15], v[14:15], v[16:17]
	s_waitcnt vmcnt(8) lgkmcnt(0)
	v_add_f64 v[34:35], v[32:33], -v[34:35]
	global_load_dwordx2 v[32:33], v[62:63], off
	s_waitcnt vmcnt(8)
	v_mul_f64 v[34:35], v[20:21], v[34:35]
	v_fmac_f64_e32 v[4:5], v[34:35], v[40:41]
	ds_bpermute_b32 v34, v47, v12
	ds_bpermute_b32 v35, v47, v13
	;; [unrolled: 1-line block ×4, first 2 shown]
	v_lshl_add_u64 v[62:63], v[62:63], 0, s[18:19]
	v_add_f64 v[14:15], v[14:15], v[20:21]
	s_waitcnt vmcnt(7) lgkmcnt(2)
	v_add_f64 v[28:29], v[28:29], -v[34:35]
	s_waitcnt vmcnt(6)
	v_mul_f64 v[28:29], v[18:19], v[28:29]
	s_waitcnt lgkmcnt(0)
	v_fmac_f64_e32 v[4:5], v[28:29], v[40:41]
	ds_bpermute_b32 v40, v48, v12
	ds_bpermute_b32 v41, v48, v13
	global_load_dwordx2 v[34:35], v[62:63], off
	global_load_dwordx2 v[28:29], v[36:37], off
	v_lshl_add_u64 v[36:37], v[36:37], 0, s[18:19]
	v_add_f64 v[14:15], v[14:15], v[18:19]
	s_waitcnt vmcnt(7) lgkmcnt(0)
	v_add_f64 v[30:31], v[30:31], -v[40:41]
	ds_bpermute_b32 v40, v48, v10
	ds_bpermute_b32 v41, v48, v11
	s_waitcnt vmcnt(6)
	v_mul_f64 v[30:31], v[22:23], v[30:31]
	v_add_f64 v[14:15], v[14:15], v[22:23]
	s_waitcnt vmcnt(5)
	v_add_f64 v[14:15], v[14:15], v[24:25]
	s_waitcnt lgkmcnt(0)
	v_fmac_f64_e32 v[4:5], v[30:31], v[40:41]
	ds_bpermute_b32 v30, v49, v12
	ds_bpermute_b32 v31, v49, v13
	;; [unrolled: 1-line block ×4, first 2 shown]
	s_waitcnt vmcnt(4) lgkmcnt(2)
	v_add_f64 v[30:31], v[38:39], -v[30:31]
	v_mul_f64 v[30:31], v[24:25], v[30:31]
	s_waitcnt lgkmcnt(0)
	v_fmac_f64_e32 v[4:5], v[30:31], v[40:41]
	ds_bpermute_b32 v30, v50, v12
	ds_bpermute_b32 v31, v50, v13
	v_lshl_add_u64 v[40:41], v[62:63], 0, s[18:19]
	global_load_dwordx2 v[62:63], v[40:41], off
	ds_bpermute_b32 v38, v50, v10
	ds_bpermute_b32 v39, v50, v11
	v_lshl_add_u64 v[40:41], v[40:41], 0, s[18:19]
	s_waitcnt vmcnt(3) lgkmcnt(2)
	v_add_f64 v[32:33], v[32:33], -v[30:31]
	global_load_dwordx2 v[30:31], v[36:37], off
	v_mul_f64 v[32:33], v[26:27], v[32:33]
	s_waitcnt lgkmcnt(0)
	v_fmac_f64_e32 v[4:5], v[32:33], v[38:39]
	ds_bpermute_b32 v32, v51, v12
	ds_bpermute_b32 v33, v51, v13
	ds_bpermute_b32 v38, v51, v10
	ds_bpermute_b32 v39, v51, v11
	v_lshl_add_u64 v[36:37], v[36:37], 0, s[18:19]
	v_add_f64 v[14:15], v[14:15], v[26:27]
	s_waitcnt vmcnt(3) lgkmcnt(2)
	v_add_f64 v[32:33], v[34:35], -v[32:33]
	s_waitcnt vmcnt(2)
	v_mul_f64 v[32:33], v[28:29], v[32:33]
	s_waitcnt lgkmcnt(0)
	v_fmac_f64_e32 v[4:5], v[32:33], v[38:39]
	ds_bpermute_b32 v38, v52, v12
	ds_bpermute_b32 v39, v52, v13
	global_load_dwordx2 v[34:35], v[40:41], off
	global_load_dwordx2 v[32:33], v[36:37], off
	v_lshl_add_u64 v[36:37], v[36:37], 0, s[18:19]
	v_add_f64 v[14:15], v[14:15], v[28:29]
	s_waitcnt vmcnt(3) lgkmcnt(0)
	v_add_f64 v[38:39], v[62:63], -v[38:39]
	ds_bpermute_b32 v62, v52, v10
	ds_bpermute_b32 v63, v52, v11
	s_waitcnt vmcnt(2)
	v_mul_f64 v[38:39], v[30:31], v[38:39]
	v_add_f64 v[28:29], v[14:15], v[30:31]
	s_waitcnt lgkmcnt(0)
	v_fmac_f64_e32 v[4:5], v[38:39], v[62:63]
	v_lshl_add_u64 v[62:63], v[40:41], 0, s[18:19]
	global_load_dwordx2 v[64:65], v[62:63], off
	global_load_dwordx2 v[40:41], v[36:37], off
	ds_bpermute_b32 v38, v53, v12
	ds_bpermute_b32 v39, v53, v13
	v_lshl_add_u64 v[62:63], v[62:63], 0, s[18:19]
	v_lshl_add_u64 v[36:37], v[36:37], 0, s[18:19]
	ds_bpermute_b32 v30, v55, v10
	ds_bpermute_b32 v31, v55, v11
	s_waitcnt vmcnt(3) lgkmcnt(2)
	v_add_f64 v[34:35], v[34:35], -v[38:39]
	ds_bpermute_b32 v38, v53, v10
	ds_bpermute_b32 v39, v53, v11
	s_waitcnt vmcnt(2)
	v_mul_f64 v[34:35], v[32:33], v[34:35]
	s_waitcnt lgkmcnt(0)
	v_fmac_f64_e32 v[4:5], v[34:35], v[38:39]
	ds_bpermute_b32 v34, v54, v12
	ds_bpermute_b32 v35, v54, v13
	;; [unrolled: 1-line block ×4, first 2 shown]
	s_waitcnt vmcnt(1) lgkmcnt(2)
	v_add_f64 v[34:35], v[64:65], -v[34:35]
	global_load_dwordx2 v[64:65], v[62:63], off
	global_load_dwordx2 v[66:67], v[36:37], off
	s_waitcnt vmcnt(2)
	v_mul_f64 v[34:35], v[40:41], v[34:35]
	s_waitcnt lgkmcnt(0)
	v_fmac_f64_e32 v[4:5], v[34:35], v[38:39]
	v_lshl_add_u64 v[38:39], v[62:63], 0, s[18:19]
	v_lshl_add_u64 v[34:35], v[36:37], 0, s[18:19]
	global_load_dwordx2 v[62:63], v[38:39], off
	global_load_dwordx2 v[36:37], v[34:35], off
	v_lshl_add_u64 v[20:21], v[38:39], 0, s[18:19]
	v_lshl_add_u64 v[16:17], v[34:35], 0, s[18:19]
	global_load_dwordx2 v[38:39], v[20:21], off
	global_load_dwordx2 v[34:35], v[16:17], off
	;; [unrolled: 4-line block ×4, first 2 shown]
	v_lshl_add_u64 v[14:15], v[26:27], 0, s[18:19]
	v_lshl_add_u64 v[18:19], v[18:19], 0, s[18:19]
	global_load_dwordx2 v[18:19], v[18:19], off
	s_nop 0
	global_load_dwordx2 v[14:15], v[14:15], off
	v_add_f64 v[26:27], v[28:29], v[32:33]
	ds_bpermute_b32 v28, v55, v12
	ds_bpermute_b32 v29, v55, v13
	;; [unrolled: 1-line block ×4, first 2 shown]
	v_add_f64 v[26:27], v[26:27], v[40:41]
	s_waitcnt vmcnt(11) lgkmcnt(2)
	v_add_f64 v[28:29], v[64:65], -v[28:29]
	s_waitcnt vmcnt(10)
	v_mul_f64 v[28:29], v[66:67], v[28:29]
	v_fmac_f64_e32 v[4:5], v[28:29], v[30:31]
	ds_bpermute_b32 v28, v56, v10
	ds_bpermute_b32 v29, v56, v11
	v_add_f64 v[26:27], v[26:27], v[66:67]
	s_waitcnt vmcnt(9) lgkmcnt(2)
	v_add_f64 v[30:31], v[62:63], -v[32:33]
	ds_bpermute_b32 v32, v57, v12
	ds_bpermute_b32 v33, v57, v13
	s_waitcnt vmcnt(8)
	v_mul_f64 v[30:31], v[36:37], v[30:31]
	s_waitcnt lgkmcnt(2)
	v_fmac_f64_e32 v[4:5], v[30:31], v[28:29]
	ds_bpermute_b32 v28, v57, v10
	ds_bpermute_b32 v29, v57, v11
	s_waitcnt vmcnt(7) lgkmcnt(2)
	v_add_f64 v[30:31], v[38:39], -v[32:33]
	ds_bpermute_b32 v32, v58, v12
	ds_bpermute_b32 v33, v58, v13
	s_waitcnt vmcnt(6)
	v_mul_f64 v[30:31], v[34:35], v[30:31]
	s_waitcnt lgkmcnt(2)
	v_fmac_f64_e32 v[4:5], v[30:31], v[28:29]
	ds_bpermute_b32 v28, v58, v10
	ds_bpermute_b32 v29, v58, v11
	s_waitcnt vmcnt(5) lgkmcnt(2)
	v_add_f64 v[24:25], v[24:25], -v[32:33]
	ds_bpermute_b32 v30, v59, v12
	ds_bpermute_b32 v31, v59, v13
	s_waitcnt vmcnt(4)
	v_mul_f64 v[24:25], v[20:21], v[24:25]
	ds_bpermute_b32 v12, v60, v12
	ds_bpermute_b32 v13, v60, v13
	s_waitcnt lgkmcnt(4)
	v_fmac_f64_e32 v[4:5], v[24:25], v[28:29]
	ds_bpermute_b32 v24, v59, v10
	ds_bpermute_b32 v25, v59, v11
	;; [unrolled: 1-line block ×4, first 2 shown]
	v_add_f64 v[26:27], v[26:27], v[36:37]
	v_add_f64 v[26:27], v[26:27], v[34:35]
	s_waitcnt vmcnt(3) lgkmcnt(6)
	v_add_f64 v[22:23], v[22:23], -v[30:31]
	v_add_f64 v[20:21], v[26:27], v[20:21]
	s_waitcnt vmcnt(2)
	v_mul_f64 v[22:23], v[16:17], v[22:23]
	s_waitcnt vmcnt(1) lgkmcnt(4)
	v_add_f64 v[12:13], v[18:19], -v[12:13]
	s_waitcnt lgkmcnt(2)
	v_fmac_f64_e32 v[4:5], v[22:23], v[24:25]
	v_add_f64 v[16:17], v[20:21], v[16:17]
	s_waitcnt vmcnt(0)
	v_mul_f64 v[12:13], v[14:15], v[12:13]
	s_waitcnt lgkmcnt(0)
	v_fmac_f64_e32 v[4:5], v[12:13], v[10:11]
	v_add_f64 v[14:15], v[16:17], v[14:15]
	s_cbranch_vccz .LBB35_10
.LBB35_7:                               ; =>This Inner Loop Header: Depth=1
	v_mov_b64_e32 v[10:11], 0
	v_mov_b64_e32 v[12:13], 0
	s_and_saveexec_b64 s[28:29], s[0:1]
	s_cbranch_execz .LBB35_6
; %bb.8:                                ;   in Loop: Header=BB35_7 Depth=1
	v_cmp_gt_i64_e32 vcc, s[16:17], v[0:1]
	v_mov_b64_e32 v[12:13], 0
	v_mov_b64_e32 v[10:11], 0
	s_and_saveexec_b64 s[30:31], vcc
	s_cbranch_execz .LBB35_5
; %bb.9:                                ;   in Loop: Header=BB35_7 Depth=1
	v_lshl_add_u64 v[18:19], s[8:9], 0, v[2:3]
	v_lshl_add_u64 v[16:17], s[10:11], 0, v[2:3]
	global_load_dwordx2 v[12:13], v[18:19], off
	global_load_dwordx2 v[10:11], v[16:17], off
	s_branch .LBB35_5
.LBB35_10:
	v_mov_b32_e32 v1, v44
.LBB35_11:
	s_movk_i32 s0, 0x41
	v_mad_u32_u24 v0, v1, s0, v42
	v_lshl_add_u32 v0, v0, 3, 0
	ds_write_b64 v0, v[4:5]
	ds_write_b64 v0, v[14:15] offset:8320
	v_lshrrev_b32_e32 v0, 6, v42
	v_add_u32_e32 v0, v0, v1
	v_cmp_gt_u32_e32 vcc, 64, v0
	s_waitcnt lgkmcnt(0)
	s_barrier
	s_and_saveexec_b64 s[0:1], vcc
	s_cbranch_execz .LBB35_43
; %bb.12:
	v_and_b32_e32 v1, 63, v42
	v_cmp_gt_u32_e64 s[0:1], 16, v1
	v_mul_u32_u24_e32 v8, 0x41, v1
                                        ; implicit-def: $vgpr2_vgpr3
                                        ; implicit-def: $vgpr4_vgpr5
	s_and_saveexec_b64 s[4:5], s[0:1]
	s_cbranch_execz .LBB35_14
; %bb.13:
	v_add_u32_e32 v1, v0, v8
	v_lshl_add_u32 v1, v1, 3, 0
	ds_read_b64 v[4:5], v1
	ds_read_b64 v[2:3], v1 offset:8320
.LBB35_14:
	s_or_b64 exec, exec, s[4:5]
	v_mbcnt_hi_u32_b32 v1, -1, v43
	v_and_b32_e32 v6, 64, v1
	v_add_u32_e32 v14, 64, v6
	v_xor_b32_e32 v6, 8, v1
	v_cmp_lt_i32_e32 vcc, v6, v14
	s_mov_b32 s3, 0
	s_lshl_b64 s[4:5], s[2:3], 6
	v_cndmask_b32_e32 v6, v1, v6, vcc
	v_lshlrev_b32_e32 v9, 2, v6
	s_waitcnt lgkmcnt(1)
	ds_bpermute_b32 v6, v9, v4
	ds_bpermute_b32 v7, v9, v5
	s_waitcnt lgkmcnt(2)
	ds_bpermute_b32 v10, v9, v2
	ds_bpermute_b32 v11, v9, v3
	s_cmp_lg_u64 s[12:13], 0
	s_cselect_b64 s[8:9], -1, 0
	s_waitcnt lgkmcnt(2)
	v_add_f64 v[4:5], v[4:5], v[6:7]
	v_xor_b32_e32 v6, 4, v1
	v_cmp_lt_i32_e32 vcc, v6, v14
	s_waitcnt lgkmcnt(0)
	v_add_f64 v[2:3], v[2:3], v[10:11]
	s_cmp_lg_u64 s[14:15], 0
	v_cndmask_b32_e32 v6, v1, v6, vcc
	v_lshlrev_b32_e32 v10, 2, v6
	ds_bpermute_b32 v6, v10, v4
	ds_bpermute_b32 v7, v10, v5
	;; [unrolled: 1-line block ×4, first 2 shown]
	v_cmp_eq_u32_e64 s[2:3], 0, v42
	s_cselect_b64 s[6:7], -1, 0
	s_waitcnt lgkmcnt(2)
	v_add_f64 v[4:5], v[4:5], v[6:7]
	v_xor_b32_e32 v6, 2, v1
	v_cmp_lt_i32_e32 vcc, v6, v14
	s_waitcnt lgkmcnt(0)
	v_add_f64 v[2:3], v[2:3], v[12:13]
	v_cndmask_b32_e32 v6, v1, v6, vcc
	v_lshlrev_b32_e32 v11, 2, v6
	ds_bpermute_b32 v6, v11, v4
	ds_bpermute_b32 v7, v11, v5
	;; [unrolled: 1-line block ×4, first 2 shown]
	s_waitcnt lgkmcnt(2)
	v_add_f64 v[4:5], v[4:5], v[6:7]
	s_waitcnt lgkmcnt(0)
	v_add_f64 v[6:7], v[2:3], v[12:13]
	v_xor_b32_e32 v2, 1, v1
	v_cmp_lt_i32_e32 vcc, v2, v14
	s_nop 1
	v_cndmask_b32_e32 v1, v1, v2, vcc
	v_lshlrev_b32_e32 v12, 2, v1
	ds_bpermute_b32 v2, v12, v4
	ds_bpermute_b32 v3, v12, v5
	;; [unrolled: 1-line block ×4, first 2 shown]
	v_mov_b32_e32 v1, 0
	s_waitcnt lgkmcnt(2)
	v_add_f64 v[2:3], v[4:5], v[2:3]
	s_waitcnt lgkmcnt(0)
	v_add_f64 v[4:5], v[6:7], v[14:15]
	s_and_saveexec_b64 s[10:11], s[2:3]
	s_cbranch_execz .LBB35_19
; %bb.15:
	v_mov_b32_e32 v7, s5
	s_andn2_b64 vcc, exec, s[8:9]
	v_or_b32_e32 v6, s4, v0
	s_cbranch_vccnz .LBB35_17
; %bb.16:
	v_lshl_add_u64 v[14:15], v[6:7], 3, s[12:13]
	global_store_dwordx2 v[14:15], v[2:3], off
.LBB35_17:
	s_andn2_b64 vcc, exec, s[6:7]
	s_cbranch_vccnz .LBB35_19
; %bb.18:
	v_lshl_add_u64 v[6:7], v[6:7], 3, s[14:15]
	global_store_dwordx2 v[6:7], v[4:5], off
.LBB35_19:
	s_or_b64 exec, exec, s[10:11]
	v_cmp_gt_u32_e32 vcc, 48, v0
	s_and_b64 exec, exec, vcc
	s_cbranch_execz .LBB35_43
; %bb.20:
	s_and_saveexec_b64 s[10:11], s[0:1]
	s_cbranch_execz .LBB35_22
; %bb.21:
	v_add_u32_e32 v2, v0, v8
	v_lshl_add_u32 v4, v2, 3, 0
	ds_read_b64 v[2:3], v4 offset:128
	ds_read_b64 v[4:5], v4 offset:8448
.LBB35_22:
	s_or_b64 exec, exec, s[10:11]
	s_waitcnt lgkmcnt(1)
	ds_bpermute_b32 v6, v9, v2
	ds_bpermute_b32 v7, v9, v3
	s_waitcnt lgkmcnt(2)
	ds_bpermute_b32 v14, v9, v4
	ds_bpermute_b32 v15, v9, v5
	s_waitcnt lgkmcnt(2)
	v_add_f64 v[2:3], v[2:3], v[6:7]
	ds_bpermute_b32 v6, v10, v2
	s_waitcnt lgkmcnt(1)
	v_add_f64 v[4:5], v[4:5], v[14:15]
	ds_bpermute_b32 v7, v10, v3
	ds_bpermute_b32 v14, v10, v4
	ds_bpermute_b32 v15, v10, v5
	s_waitcnt lgkmcnt(2)
	v_add_f64 v[2:3], v[2:3], v[6:7]
	ds_bpermute_b32 v6, v11, v2
	s_waitcnt lgkmcnt(1)
	v_add_f64 v[4:5], v[4:5], v[14:15]
	ds_bpermute_b32 v7, v11, v3
	;; [unrolled: 8-line block ×3, first 2 shown]
	ds_bpermute_b32 v14, v12, v4
	ds_bpermute_b32 v15, v12, v5
	s_waitcnt lgkmcnt(2)
	v_add_f64 v[2:3], v[2:3], v[6:7]
	s_waitcnt lgkmcnt(0)
	v_add_f64 v[4:5], v[4:5], v[14:15]
	s_and_saveexec_b64 s[10:11], s[2:3]
	s_cbranch_execz .LBB35_27
; %bb.23:
	s_andn2_b64 vcc, exec, s[8:9]
	s_cbranch_vccnz .LBB35_25
; %bb.24:
	v_lshl_add_u64 v[6:7], s[4:5], 0, v[0:1]
	v_lshl_add_u64 v[6:7], v[6:7], 3, s[12:13]
	global_store_dwordx2 v[6:7], v[2:3], off offset:128
.LBB35_25:
	s_andn2_b64 vcc, exec, s[6:7]
	s_cbranch_vccnz .LBB35_27
; %bb.26:
	v_lshl_add_u64 v[6:7], s[4:5], 0, v[0:1]
	v_lshl_add_u64 v[6:7], v[6:7], 3, s[14:15]
	global_store_dwordx2 v[6:7], v[4:5], off offset:128
.LBB35_27:
	s_or_b64 exec, exec, s[10:11]
	v_cmp_gt_u32_e32 vcc, 32, v0
	s_and_b64 exec, exec, vcc
	s_cbranch_execz .LBB35_43
; %bb.28:
	s_and_saveexec_b64 s[10:11], s[0:1]
	s_cbranch_execz .LBB35_30
; %bb.29:
	v_add_u32_e32 v2, v0, v8
	v_lshl_add_u32 v4, v2, 3, 0
	ds_read_b64 v[2:3], v4 offset:256
	ds_read_b64 v[4:5], v4 offset:8576
.LBB35_30:
	s_or_b64 exec, exec, s[10:11]
	s_waitcnt lgkmcnt(1)
	ds_bpermute_b32 v6, v9, v2
	ds_bpermute_b32 v7, v9, v3
	s_waitcnt lgkmcnt(2)
	ds_bpermute_b32 v14, v9, v4
	ds_bpermute_b32 v15, v9, v5
	s_waitcnt lgkmcnt(2)
	v_add_f64 v[2:3], v[2:3], v[6:7]
	ds_bpermute_b32 v6, v10, v2
	s_waitcnt lgkmcnt(1)
	v_add_f64 v[4:5], v[4:5], v[14:15]
	ds_bpermute_b32 v7, v10, v3
	ds_bpermute_b32 v14, v10, v4
	ds_bpermute_b32 v15, v10, v5
	s_waitcnt lgkmcnt(2)
	v_add_f64 v[2:3], v[2:3], v[6:7]
	ds_bpermute_b32 v6, v11, v2
	s_waitcnt lgkmcnt(1)
	v_add_f64 v[4:5], v[4:5], v[14:15]
	ds_bpermute_b32 v7, v11, v3
	ds_bpermute_b32 v14, v11, v4
	ds_bpermute_b32 v15, v11, v5
	s_waitcnt lgkmcnt(2)
	v_add_f64 v[2:3], v[2:3], v[6:7]
	ds_bpermute_b32 v6, v12, v2
	s_waitcnt lgkmcnt(1)
	v_add_f64 v[4:5], v[4:5], v[14:15]
	ds_bpermute_b32 v7, v12, v3
	ds_bpermute_b32 v14, v12, v4
	ds_bpermute_b32 v15, v12, v5
	s_waitcnt lgkmcnt(2)
	v_add_f64 v[2:3], v[2:3], v[6:7]
	s_waitcnt lgkmcnt(0)
	v_add_f64 v[4:5], v[4:5], v[14:15]
	s_and_saveexec_b64 s[10:11], s[2:3]
	s_cbranch_execz .LBB35_35
; %bb.31:
	s_andn2_b64 vcc, exec, s[8:9]
	s_cbranch_vccnz .LBB35_33
; %bb.32:
	v_lshl_add_u64 v[6:7], s[4:5], 0, v[0:1]
	v_lshl_add_u64 v[6:7], v[6:7], 3, s[12:13]
	global_store_dwordx2 v[6:7], v[2:3], off offset:256
.LBB35_33:
	s_andn2_b64 vcc, exec, s[6:7]
	s_cbranch_vccnz .LBB35_35
; %bb.34:
	v_lshl_add_u64 v[6:7], s[4:5], 0, v[0:1]
	v_lshl_add_u64 v[6:7], v[6:7], 3, s[14:15]
	global_store_dwordx2 v[6:7], v[4:5], off offset:256
.LBB35_35:
	s_or_b64 exec, exec, s[10:11]
	v_cmp_gt_u32_e32 vcc, 16, v0
	s_and_b64 exec, exec, vcc
	s_cbranch_execz .LBB35_43
; %bb.36:
	s_and_saveexec_b64 s[10:11], s[0:1]
	s_cbranch_execz .LBB35_38
; %bb.37:
	v_add_u32_e32 v2, v0, v8
	v_lshl_add_u32 v4, v2, 3, 0
	ds_read_b64 v[2:3], v4 offset:384
	ds_read_b64 v[4:5], v4 offset:8704
.LBB35_38:
	s_or_b64 exec, exec, s[10:11]
	s_waitcnt lgkmcnt(1)
	ds_bpermute_b32 v6, v9, v2
	ds_bpermute_b32 v7, v9, v3
	s_waitcnt lgkmcnt(2)
	ds_bpermute_b32 v8, v9, v4
	ds_bpermute_b32 v9, v9, v5
	s_waitcnt lgkmcnt(2)
	v_add_f64 v[2:3], v[2:3], v[6:7]
	ds_bpermute_b32 v6, v10, v2
	s_waitcnt lgkmcnt(1)
	v_add_f64 v[4:5], v[4:5], v[8:9]
	ds_bpermute_b32 v7, v10, v3
	ds_bpermute_b32 v8, v10, v4
	;; [unrolled: 1-line block ×3, first 2 shown]
	s_waitcnt lgkmcnt(2)
	v_add_f64 v[2:3], v[2:3], v[6:7]
	ds_bpermute_b32 v6, v11, v2
	s_waitcnt lgkmcnt(1)
	v_add_f64 v[4:5], v[4:5], v[8:9]
	ds_bpermute_b32 v7, v11, v3
	ds_bpermute_b32 v8, v11, v4
	;; [unrolled: 1-line block ×3, first 2 shown]
	s_waitcnt lgkmcnt(2)
	v_add_f64 v[6:7], v[2:3], v[6:7]
	s_waitcnt lgkmcnt(0)
	v_add_f64 v[2:3], v[4:5], v[8:9]
	ds_bpermute_b32 v8, v12, v6
	ds_bpermute_b32 v9, v12, v7
	;; [unrolled: 1-line block ×4, first 2 shown]
	s_and_b64 exec, exec, s[2:3]
	s_cbranch_execz .LBB35_43
; %bb.39:
	s_andn2_b64 vcc, exec, s[8:9]
	v_lshl_add_u64 v[0:1], s[4:5], 0, v[0:1]
	s_cbranch_vccnz .LBB35_41
; %bb.40:
	s_waitcnt lgkmcnt(2)
	v_add_f64 v[6:7], v[6:7], v[8:9]
	v_lshl_add_u64 v[8:9], v[0:1], 3, s[12:13]
	global_store_dwordx2 v[8:9], v[6:7], off offset:384
.LBB35_41:
	s_andn2_b64 vcc, exec, s[6:7]
	s_cbranch_vccnz .LBB35_43
; %bb.42:
	s_waitcnt lgkmcnt(0)
	v_add_f64 v[2:3], v[2:3], v[4:5]
	v_lshl_add_u64 v[0:1], v[0:1], 3, s[14:15]
	global_store_dwordx2 v[0:1], v[2:3], off offset:384
.LBB35_43:
	s_endpgm
	.section	.rodata,"a",@progbits
	.p2align	6, 0x0
	.amdhsa_kernel _ZN2at6native12_GLOBAL__N_135GammaBetaBackwardCUDAKernelTemplateIddLj64ELj16ELj256ELb0ELb1ELb0EEEvllPKT_S5_PKT0_S8_PS3_S9_
		.amdhsa_group_segment_fixed_size 0
		.amdhsa_private_segment_fixed_size 0
		.amdhsa_kernarg_size 320
		.amdhsa_user_sgpr_count 2
		.amdhsa_user_sgpr_dispatch_ptr 0
		.amdhsa_user_sgpr_queue_ptr 0
		.amdhsa_user_sgpr_kernarg_segment_ptr 1
		.amdhsa_user_sgpr_dispatch_id 0
		.amdhsa_user_sgpr_kernarg_preload_length 0
		.amdhsa_user_sgpr_kernarg_preload_offset 0
		.amdhsa_user_sgpr_private_segment_size 0
		.amdhsa_uses_dynamic_stack 0
		.amdhsa_enable_private_segment 0
		.amdhsa_system_sgpr_workgroup_id_x 1
		.amdhsa_system_sgpr_workgroup_id_y 1
		.amdhsa_system_sgpr_workgroup_id_z 0
		.amdhsa_system_sgpr_workgroup_info 0
		.amdhsa_system_vgpr_workitem_id 1
		.amdhsa_next_free_vgpr 68
		.amdhsa_next_free_sgpr 32
		.amdhsa_accum_offset 68
		.amdhsa_reserve_vcc 1
		.amdhsa_float_round_mode_32 0
		.amdhsa_float_round_mode_16_64 0
		.amdhsa_float_denorm_mode_32 3
		.amdhsa_float_denorm_mode_16_64 3
		.amdhsa_dx10_clamp 1
		.amdhsa_ieee_mode 1
		.amdhsa_fp16_overflow 0
		.amdhsa_tg_split 0
		.amdhsa_exception_fp_ieee_invalid_op 0
		.amdhsa_exception_fp_denorm_src 0
		.amdhsa_exception_fp_ieee_div_zero 0
		.amdhsa_exception_fp_ieee_overflow 0
		.amdhsa_exception_fp_ieee_underflow 0
		.amdhsa_exception_fp_ieee_inexact 0
		.amdhsa_exception_int_div_zero 0
	.end_amdhsa_kernel
	.section	.text._ZN2at6native12_GLOBAL__N_135GammaBetaBackwardCUDAKernelTemplateIddLj64ELj16ELj256ELb0ELb1ELb0EEEvllPKT_S5_PKT0_S8_PS3_S9_,"axG",@progbits,_ZN2at6native12_GLOBAL__N_135GammaBetaBackwardCUDAKernelTemplateIddLj64ELj16ELj256ELb0ELb1ELb0EEEvllPKT_S5_PKT0_S8_PS3_S9_,comdat
.Lfunc_end35:
	.size	_ZN2at6native12_GLOBAL__N_135GammaBetaBackwardCUDAKernelTemplateIddLj64ELj16ELj256ELb0ELb1ELb0EEEvllPKT_S5_PKT0_S8_PS3_S9_, .Lfunc_end35-_ZN2at6native12_GLOBAL__N_135GammaBetaBackwardCUDAKernelTemplateIddLj64ELj16ELj256ELb0ELb1ELb0EEEvllPKT_S5_PKT0_S8_PS3_S9_
                                        ; -- End function
	.set _ZN2at6native12_GLOBAL__N_135GammaBetaBackwardCUDAKernelTemplateIddLj64ELj16ELj256ELb0ELb1ELb0EEEvllPKT_S5_PKT0_S8_PS3_S9_.num_vgpr, 68
	.set _ZN2at6native12_GLOBAL__N_135GammaBetaBackwardCUDAKernelTemplateIddLj64ELj16ELj256ELb0ELb1ELb0EEEvllPKT_S5_PKT0_S8_PS3_S9_.num_agpr, 0
	.set _ZN2at6native12_GLOBAL__N_135GammaBetaBackwardCUDAKernelTemplateIddLj64ELj16ELj256ELb0ELb1ELb0EEEvllPKT_S5_PKT0_S8_PS3_S9_.numbered_sgpr, 32
	.set _ZN2at6native12_GLOBAL__N_135GammaBetaBackwardCUDAKernelTemplateIddLj64ELj16ELj256ELb0ELb1ELb0EEEvllPKT_S5_PKT0_S8_PS3_S9_.num_named_barrier, 0
	.set _ZN2at6native12_GLOBAL__N_135GammaBetaBackwardCUDAKernelTemplateIddLj64ELj16ELj256ELb0ELb1ELb0EEEvllPKT_S5_PKT0_S8_PS3_S9_.private_seg_size, 0
	.set _ZN2at6native12_GLOBAL__N_135GammaBetaBackwardCUDAKernelTemplateIddLj64ELj16ELj256ELb0ELb1ELb0EEEvllPKT_S5_PKT0_S8_PS3_S9_.uses_vcc, 1
	.set _ZN2at6native12_GLOBAL__N_135GammaBetaBackwardCUDAKernelTemplateIddLj64ELj16ELj256ELb0ELb1ELb0EEEvllPKT_S5_PKT0_S8_PS3_S9_.uses_flat_scratch, 0
	.set _ZN2at6native12_GLOBAL__N_135GammaBetaBackwardCUDAKernelTemplateIddLj64ELj16ELj256ELb0ELb1ELb0EEEvllPKT_S5_PKT0_S8_PS3_S9_.has_dyn_sized_stack, 0
	.set _ZN2at6native12_GLOBAL__N_135GammaBetaBackwardCUDAKernelTemplateIddLj64ELj16ELj256ELb0ELb1ELb0EEEvllPKT_S5_PKT0_S8_PS3_S9_.has_recursion, 0
	.set _ZN2at6native12_GLOBAL__N_135GammaBetaBackwardCUDAKernelTemplateIddLj64ELj16ELj256ELb0ELb1ELb0EEEvllPKT_S5_PKT0_S8_PS3_S9_.has_indirect_call, 0
	.section	.AMDGPU.csdata,"",@progbits
; Kernel info:
; codeLenInByte = 3792
; TotalNumSgprs: 38
; NumVgprs: 68
; NumAgprs: 0
; TotalNumVgprs: 68
; ScratchSize: 0
; MemoryBound: 0
; FloatMode: 240
; IeeeMode: 1
; LDSByteSize: 0 bytes/workgroup (compile time only)
; SGPRBlocks: 4
; VGPRBlocks: 8
; NumSGPRsForWavesPerEU: 38
; NumVGPRsForWavesPerEU: 68
; AccumOffset: 68
; Occupancy: 7
; WaveLimiterHint : 0
; COMPUTE_PGM_RSRC2:SCRATCH_EN: 0
; COMPUTE_PGM_RSRC2:USER_SGPR: 2
; COMPUTE_PGM_RSRC2:TRAP_HANDLER: 0
; COMPUTE_PGM_RSRC2:TGID_X_EN: 1
; COMPUTE_PGM_RSRC2:TGID_Y_EN: 1
; COMPUTE_PGM_RSRC2:TGID_Z_EN: 0
; COMPUTE_PGM_RSRC2:TIDIG_COMP_CNT: 1
; COMPUTE_PGM_RSRC3_GFX90A:ACCUM_OFFSET: 16
; COMPUTE_PGM_RSRC3_GFX90A:TG_SPLIT: 0
	.section	.text._ZN2at6native12_GLOBAL__N_135GammaBetaBackwardCUDAKernelTemplateIddLj64ELj16ELj256ELb0ELb0ELb0EEEvllPKT_S5_PKT0_S8_PS3_S9_,"axG",@progbits,_ZN2at6native12_GLOBAL__N_135GammaBetaBackwardCUDAKernelTemplateIddLj64ELj16ELj256ELb0ELb0ELb0EEEvllPKT_S5_PKT0_S8_PS3_S9_,comdat
	.globl	_ZN2at6native12_GLOBAL__N_135GammaBetaBackwardCUDAKernelTemplateIddLj64ELj16ELj256ELb0ELb0ELb0EEEvllPKT_S5_PKT0_S8_PS3_S9_ ; -- Begin function _ZN2at6native12_GLOBAL__N_135GammaBetaBackwardCUDAKernelTemplateIddLj64ELj16ELj256ELb0ELb0ELb0EEEvllPKT_S5_PKT0_S8_PS3_S9_
	.p2align	8
	.type	_ZN2at6native12_GLOBAL__N_135GammaBetaBackwardCUDAKernelTemplateIddLj64ELj16ELj256ELb0ELb0ELb0EEEvllPKT_S5_PKT0_S8_PS3_S9_,@function
_ZN2at6native12_GLOBAL__N_135GammaBetaBackwardCUDAKernelTemplateIddLj64ELj16ELj256ELb0ELb0ELb0EEEvllPKT_S5_PKT0_S8_PS3_S9_: ; @_ZN2at6native12_GLOBAL__N_135GammaBetaBackwardCUDAKernelTemplateIddLj64ELj16ELj256ELb0ELb0ELb0EEEvllPKT_S5_PKT0_S8_PS3_S9_
; %bb.0:
	s_load_dwordx8 s[8:15], s[0:1], 0x0
	s_load_dwordx4 s[16:19], s[0:1], 0x20
	s_lshl_b32 s33, s2, 6
	s_or_b32 s4, s33, 63
	v_mov_b32_e32 v45, v0
	s_mov_b32 s21, 0
	v_mov_b32_e32 v0, s4
	v_mov_b32_e32 v1, 0
	s_lshl_b32 s20, s3, 8
	s_waitcnt lgkmcnt(0)
	v_cmp_le_i64_e32 vcc, s[10:11], v[0:1]
	v_mov_b64_e32 v[0:1], s[20:21]
	v_cmp_gt_i64_e64 s[4:5], s[8:9], v[0:1]
	s_nop 1
	v_cndmask_b32_e64 v0, 0, 1, s[4:5]
	v_cmp_ne_u32_e64 s[4:5], 1, v0
	s_cbranch_vccz .LBB36_81
; %bb.1:
	v_mov_b64_e32 v[90:91], 0
	s_and_b64 vcc, exec, s[4:5]
	v_mov_b64_e32 v[108:109], 0
	s_cbranch_vccnz .LBB36_83
; %bb.2:
	v_and_b32_e32 v0, 0x3ff, v45
	v_mov_b32_e32 v2, 0
	v_bfe_u32 v3, v45, 10, 10
	v_add_u32_e32 v0, s33, v0
	v_mov_b32_e32 v1, v2
	v_lshlrev_b32_e32 v4, 4, v3
	v_mov_b32_e32 v5, v2
	v_cmp_gt_i64_e64 s[6:7], s[10:11], v[0:1]
	v_lshlrev_b64 v[42:43], 3, v[0:1]
	v_lshl_add_u64 v[0:1], v[4:5], 0, s[20:21]
	scratch_store_dwordx2 off, v[4:5], off offset:72 ; 8-byte Folded Spill
	v_mul_lo_u32 v3, s11, v0
	v_mul_lo_u32 v6, s10, v1
	v_mad_u64_u32 v[4:5], s[24:25], s10, v0, 0
	v_add3_u32 v5, v5, v6, v3
	v_lshlrev_b64 v[4:5], 3, v[4:5]
	v_lshl_add_u64 v[8:9], s[12:13], 0, v[4:5]
	v_lshl_add_u64 v[46:47], s[14:15], 0, v[4:5]
	;; [unrolled: 1-line block ×3, first 2 shown]
	scratch_store_dwordx2 off, v[8:9], off offset:8 ; 8-byte Folded Spill
	v_mul_lo_u32 v7, s11, v4
	v_mul_lo_u32 v8, s10, v5
	v_mad_u64_u32 v[4:5], s[26:27], s10, v4, 0
	v_add3_u32 v5, v5, v8, v7
	v_lshlrev_b64 v[4:5], 3, v[4:5]
	v_lshl_add_u64 v[48:49], s[12:13], 0, v[4:5]
	v_lshl_add_u64 v[50:51], s[14:15], 0, v[4:5]
	v_lshl_add_u64 v[4:5], v[0:1], 0, 14
	v_mul_lo_u32 v7, s11, v4
	v_mul_lo_u32 v8, s10, v5
	v_mad_u64_u32 v[4:5], s[26:27], s10, v4, 0
	v_add3_u32 v5, v5, v8, v7
	v_lshlrev_b64 v[4:5], 3, v[4:5]
	v_lshl_add_u64 v[52:53], s[12:13], 0, v[4:5]
	v_lshl_add_u64 v[54:55], s[14:15], 0, v[4:5]
	v_lshl_add_u64 v[4:5], v[0:1], 0, 13
	;; [unrolled: 8-line block ×13, first 2 shown]
	s_load_dword s3, s[0:1], 0x44
	v_mul_lo_u32 v1, s11, v4
	v_mul_lo_u32 v7, s10, v5
	v_mad_u64_u32 v[4:5], s[26:27], s10, v4, 0
	v_add3_u32 v5, v5, v7, v1
	v_lshlrev_b64 v[4:5], 3, v[4:5]
	v_lshl_add_u64 v[100:101], s[12:13], 0, v[4:5]
	v_lshl_add_u64 v[102:103], s[14:15], 0, v[4:5]
	v_mov_b64_e32 v[4:5], s[10:11]
	s_add_u32 s22, s0, 64
	v_mad_u64_u32 v[0:1], s[26:27], s10, v0, v[4:5]
	s_addc_u32 s23, s1, 0
	s_waitcnt lgkmcnt(0)
	s_lshl_b32 s3, s3, 8
	v_add3_u32 v1, v3, v1, v6
	s_mul_i32 s24, s11, s3
	s_mul_hi_u32 s25, s10, s3
	v_lshlrev_b64 v[0:1], 3, v[0:1]
	s_add_i32 s25, s25, s24
	s_mul_i32 s24, s10, s3
	v_lshl_add_u64 v[104:105], s[12:13], 0, v[0:1]
	v_lshl_add_u64 v[106:107], s[14:15], 0, v[0:1]
	v_mbcnt_lo_u32_b32 v0, -1, 0
	s_lshl_b64 s[24:25], s[24:25], 3
	v_mbcnt_hi_u32_b32 v0, -1, v0
	s_add_u32 s26, s20, 0xff
	s_movk_i32 s28, 0xff01
	s_movk_i32 s30, 0xff02
	;; [unrolled: 1-line block ×16, first 2 shown]
	v_lshlrev_b32_e32 v0, 2, v0
	s_addc_u32 s27, 0, 0
	v_mov_b64_e32 v[116:117], 0
	s_mov_b32 s29, -1
	s_mov_b32 s31, -1
	;; [unrolled: 1-line block ×16, first 2 shown]
	v_and_b32_e32 v44, 0x100, v0
	v_mov_b64_e32 v[0:1], 0
	s_mov_b64 s[62:63], s[20:21]
	scratch_store_dwordx2 off, v[0:1], off  ; 8-byte Folded Spill
.LBB36_3:                               ; =>This Inner Loop Header: Depth=1
	v_mov_b64_e32 v[0:1], s[8:9]
	v_cmp_ge_i64_e32 vcc, s[26:27], v[0:1]
	scratch_load_dwordx2 v[0:1], off, off offset:72 ; 8-byte Folded Reload
	s_mov_b64 s[64:65], -1
	s_and_b64 vcc, exec, vcc
                                        ; implicit-def: $vgpr4_vgpr5_vgpr6_vgpr7_vgpr8_vgpr9_vgpr10_vgpr11_vgpr12_vgpr13_vgpr14_vgpr15_vgpr16_vgpr17_vgpr18_vgpr19_vgpr20_vgpr21_vgpr22_vgpr23_vgpr24_vgpr25_vgpr26_vgpr27_vgpr28_vgpr29_vgpr30_vgpr31_vgpr32_vgpr33_vgpr34_vgpr35
                                        ; implicit-def: $vgpr40_vgpr41
                                        ; implicit-def: $vgpr4
                                        ; implicit-def: $vgpr108_vgpr109
	s_waitcnt vmcnt(0)
	v_lshl_add_u64 v[36:37], v[0:1], 0, s[26:27]
                                        ; implicit-def: $vgpr0_vgpr1
                                        ; kill: killed $vgpr0_vgpr1
                                        ; implicit-def: $vgpr0_vgpr1
	s_cbranch_vccz .LBB36_41
; %bb.4:                                ;   in Loop: Header=BB36_3 Depth=1
	s_load_dword s64, s[22:23], 0xc
	v_and_b32_e32 v0, 0x3ff, v45
	v_bfe_u32 v1, v45, 10, 10
	v_mov_b64_e32 v[108:109], 0
	v_mov_b64_e32 v[112:113], 0
	s_waitcnt lgkmcnt(0)
	s_and_b32 s64, s64, 0xffff
	v_mad_u32_u24 v0, v1, s64, v0
	v_and_b32_e32 v0, 63, v0
	v_cmp_gt_u32_e32 vcc, 16, v0
	v_mov_b64_e32 v[110:111], 0
	s_and_saveexec_b64 s[64:65], vcc
	s_cbranch_execz .LBB36_8
; %bb.5:                                ;   in Loop: Header=BB36_3 Depth=1
	v_mov_b32_e32 v1, v2
	v_lshl_add_u64 v[0:1], v[36:37], 0, v[0:1]
	v_lshl_add_u64 v[0:1], v[0:1], 0, s[28:29]
	v_cmp_gt_i64_e32 vcc, s[8:9], v[0:1]
	v_mov_b64_e32 v[110:111], 0
	v_mov_b64_e32 v[112:113], 0
	s_and_saveexec_b64 s[66:67], vcc
	s_cbranch_execz .LBB36_7
; %bb.6:                                ;   in Loop: Header=BB36_3 Depth=1
	v_lshlrev_b64 v[0:1], 3, v[0:1]
	v_lshl_add_u64 v[4:5], s[18:19], 0, v[0:1]
	v_lshl_add_u64 v[0:1], s[16:17], 0, v[0:1]
	global_load_dwordx2 v[110:111], v[0:1], off
	global_load_dwordx2 v[112:113], v[4:5], off
.LBB36_7:                               ;   in Loop: Header=BB36_3 Depth=1
	s_or_b64 exec, exec, s[66:67]
.LBB36_8:                               ;   in Loop: Header=BB36_3 Depth=1
	s_or_b64 exec, exec, s[64:65]
	v_lshl_add_u64 v[0:1], v[36:37], 0, s[28:29]
	v_mov_b32_e32 v4, v2
	v_mov_b32_e32 v5, v2
	;; [unrolled: 1-line block ×30, first 2 shown]
	v_cmp_gt_i64_e32 vcc, s[8:9], v[0:1]
	v_mov_b32_e32 v3, v2
	v_mov_b64_e32 v[34:35], v[32:33]
	s_and_b64 s[66:67], s[6:7], vcc
	v_mov_b64_e32 v[32:33], v[30:31]
	v_mov_b64_e32 v[30:31], v[28:29]
	;; [unrolled: 1-line block ×15, first 2 shown]
	s_and_saveexec_b64 s[64:65], s[66:67]
	s_cbranch_execz .LBB36_10
; %bb.9:                                ;   in Loop: Header=BB36_3 Depth=1
	scratch_load_dwordx2 v[0:1], off, off offset:8 ; 8-byte Folded Reload
	v_mov_b32_e32 v6, v2
	v_mov_b32_e32 v7, v2
	;; [unrolled: 1-line block ×30, first 2 shown]
	s_waitcnt vmcnt(0)
	v_lshl_add_u64 v[0:1], v[0:1], 0, v[42:43]
	global_load_dwordx2 v[4:5], v[0:1], off
	v_lshl_add_u64 v[0:1], v[46:47], 0, v[42:43]
	global_load_dwordx2 v[108:109], v[0:1], off
.LBB36_10:                              ;   in Loop: Header=BB36_3 Depth=1
	s_or_b64 exec, exec, s[64:65]
	v_lshl_add_u64 v[0:1], v[36:37], 0, s[30:31]
	v_cmp_gt_i64_e32 vcc, s[8:9], v[0:1]
	s_and_b64 s[66:67], s[6:7], vcc
	v_mov_b64_e32 v[118:119], 0
	v_mov_b64_e32 v[122:123], 0
	s_and_saveexec_b64 s[64:65], s[66:67]
	s_cbranch_execz .LBB36_12
; %bb.11:                               ;   in Loop: Header=BB36_3 Depth=1
	v_lshl_add_u64 v[0:1], v[104:105], 0, v[42:43]
	global_load_dwordx2 v[6:7], v[0:1], off
	v_lshl_add_u64 v[0:1], v[106:107], 0, v[42:43]
	global_load_dwordx2 v[122:123], v[0:1], off
.LBB36_12:                              ;   in Loop: Header=BB36_3 Depth=1
	s_or_b64 exec, exec, s[64:65]
	v_lshl_add_u64 v[0:1], v[36:37], 0, s[34:35]
	v_cmp_gt_i64_e32 vcc, s[8:9], v[0:1]
	s_and_b64 s[66:67], s[6:7], vcc
	s_and_saveexec_b64 s[64:65], s[66:67]
	s_cbranch_execz .LBB36_14
; %bb.13:                               ;   in Loop: Header=BB36_3 Depth=1
	v_lshl_add_u64 v[0:1], v[100:101], 0, v[42:43]
	global_load_dwordx2 v[8:9], v[0:1], off
	v_lshl_add_u64 v[0:1], v[102:103], 0, v[42:43]
	global_load_dwordx2 v[118:119], v[0:1], off
.LBB36_14:                              ;   in Loop: Header=BB36_3 Depth=1
	s_or_b64 exec, exec, s[64:65]
	v_lshl_add_u64 v[0:1], v[36:37], 0, s[36:37]
	v_cmp_gt_i64_e32 vcc, s[8:9], v[0:1]
	s_and_b64 s[66:67], s[6:7], vcc
	v_mov_b64_e32 v[0:1], 0
	v_mov_b64_e32 v[120:121], 0
	s_and_saveexec_b64 s[64:65], s[66:67]
	s_cbranch_execz .LBB36_16
; %bb.15:                               ;   in Loop: Header=BB36_3 Depth=1
	v_lshl_add_u64 v[10:11], v[96:97], 0, v[42:43]
	v_lshl_add_u64 v[38:39], v[98:99], 0, v[42:43]
	global_load_dwordx2 v[10:11], v[10:11], off
	s_nop 0
	global_load_dwordx2 v[120:121], v[38:39], off
.LBB36_16:                              ;   in Loop: Header=BB36_3 Depth=1
	s_or_b64 exec, exec, s[64:65]
	v_lshl_add_u64 v[38:39], v[36:37], 0, s[38:39]
	v_cmp_gt_i64_e32 vcc, s[8:9], v[38:39]
	s_and_b64 s[66:67], s[6:7], vcc
	s_and_saveexec_b64 s[64:65], s[66:67]
	s_cbranch_execz .LBB36_18
; %bb.17:                               ;   in Loop: Header=BB36_3 Depth=1
	v_lshl_add_u64 v[0:1], v[92:93], 0, v[42:43]
	global_load_dwordx2 v[12:13], v[0:1], off
	v_lshl_add_u64 v[0:1], v[94:95], 0, v[42:43]
	global_load_dwordx2 v[0:1], v[0:1], off
.LBB36_18:                              ;   in Loop: Header=BB36_3 Depth=1
	s_or_b64 exec, exec, s[64:65]
	v_lshl_add_u64 v[38:39], v[36:37], 0, s[40:41]
	v_cmp_gt_i64_e32 vcc, s[8:9], v[38:39]
	s_and_b64 s[66:67], s[6:7], vcc
	v_mov_b64_e32 v[40:41], 0
	v_mov_b64_e32 v[38:39], 0
	s_and_saveexec_b64 s[64:65], s[66:67]
	s_cbranch_execz .LBB36_20
; %bb.19:                               ;   in Loop: Header=BB36_3 Depth=1
	v_lshl_add_u64 v[14:15], v[88:89], 0, v[42:43]
	v_lshl_add_u64 v[38:39], v[90:91], 0, v[42:43]
	global_load_dwordx2 v[14:15], v[14:15], off
	s_nop 0
	global_load_dwordx2 v[38:39], v[38:39], off
.LBB36_20:                              ;   in Loop: Header=BB36_3 Depth=1
	s_or_b64 exec, exec, s[64:65]
	v_lshl_add_u64 v[114:115], v[36:37], 0, s[42:43]
	v_cmp_gt_i64_e32 vcc, s[8:9], v[114:115]
	s_and_b64 s[66:67], s[6:7], vcc
	s_and_saveexec_b64 s[64:65], s[66:67]
	s_cbranch_execz .LBB36_22
; %bb.21:                               ;   in Loop: Header=BB36_3 Depth=1
	v_lshl_add_u64 v[16:17], v[84:85], 0, v[42:43]
	v_lshl_add_u64 v[40:41], v[86:87], 0, v[42:43]
	global_load_dwordx2 v[16:17], v[16:17], off
	s_nop 0
	global_load_dwordx2 v[40:41], v[40:41], off
.LBB36_22:                              ;   in Loop: Header=BB36_3 Depth=1
	s_or_b64 exec, exec, s[64:65]
	v_lshl_add_u64 v[114:115], v[36:37], 0, s[44:45]
	v_cmp_gt_i64_e32 vcc, s[8:9], v[114:115]
	v_mov_b64_e32 v[114:115], 0
	s_and_b64 s[66:67], s[6:7], vcc
	scratch_store_dwordx2 off, v[114:115], off offset:56 ; 8-byte Folded Spill
	v_mov_b64_e32 v[114:115], 0
	s_and_saveexec_b64 s[64:65], s[66:67]
	s_cbranch_execz .LBB36_24
; %bb.23:                               ;   in Loop: Header=BB36_3 Depth=1
	v_lshl_add_u64 v[18:19], v[80:81], 0, v[42:43]
	v_lshl_add_u64 v[114:115], v[82:83], 0, v[42:43]
	global_load_dwordx2 v[18:19], v[18:19], off
	s_nop 0
	global_load_dwordx2 v[114:115], v[114:115], off
.LBB36_24:                              ;   in Loop: Header=BB36_3 Depth=1
	s_or_b64 exec, exec, s[64:65]
	v_lshl_add_u64 v[126:127], v[36:37], 0, s[46:47]
	v_cmp_gt_i64_e32 vcc, s[8:9], v[126:127]
	s_and_b64 s[66:67], s[6:7], vcc
	s_and_saveexec_b64 s[64:65], s[66:67]
	s_cbranch_execz .LBB36_26
; %bb.25:                               ;   in Loop: Header=BB36_3 Depth=1
	v_lshl_add_u64 v[20:21], v[76:77], 0, v[42:43]
	v_lshl_add_u64 v[124:125], v[78:79], 0, v[42:43]
	global_load_dwordx2 v[20:21], v[20:21], off
	s_nop 0
	global_load_dwordx2 v[124:125], v[124:125], off
	s_waitcnt vmcnt(0)
	scratch_store_dwordx2 off, v[124:125], off offset:56 ; 8-byte Folded Spill
.LBB36_26:                              ;   in Loop: Header=BB36_3 Depth=1
	s_or_b64 exec, exec, s[64:65]
	v_lshl_add_u64 v[126:127], v[36:37], 0, s[48:49]
	v_cmp_gt_i64_e32 vcc, s[8:9], v[126:127]
	v_mov_b64_e32 v[124:125], 0
	s_and_b64 s[66:67], s[6:7], vcc
	scratch_store_dwordx2 off, v[124:125], off offset:40 ; 8-byte Folded Spill
	v_mov_b64_e32 v[124:125], 0
	scratch_store_dwordx2 off, v[124:125], off offset:64 ; 8-byte Folded Spill
	s_and_saveexec_b64 s[64:65], s[66:67]
	s_cbranch_execz .LBB36_28
; %bb.27:                               ;   in Loop: Header=BB36_3 Depth=1
	v_lshl_add_u64 v[22:23], v[72:73], 0, v[42:43]
	v_lshl_add_u64 v[126:127], v[74:75], 0, v[42:43]
	global_load_dwordx2 v[22:23], v[22:23], off
	s_nop 0
	global_load_dwordx2 v[124:125], v[126:127], off
	s_waitcnt vmcnt(0)
	scratch_store_dwordx2 off, v[124:125], off offset:64 ; 8-byte Folded Spill
.LBB36_28:                              ;   in Loop: Header=BB36_3 Depth=1
	s_or_b64 exec, exec, s[64:65]
	v_lshl_add_u64 v[124:125], v[36:37], 0, s[50:51]
	v_cmp_gt_i64_e32 vcc, s[8:9], v[124:125]
	s_and_b64 s[66:67], s[6:7], vcc
	s_and_saveexec_b64 s[64:65], s[66:67]
	s_cbranch_execz .LBB36_30
; %bb.29:                               ;   in Loop: Header=BB36_3 Depth=1
	v_lshl_add_u64 v[24:25], v[68:69], 0, v[42:43]
	v_lshl_add_u64 v[124:125], v[70:71], 0, v[42:43]
	global_load_dwordx2 v[24:25], v[24:25], off
	s_nop 0
	global_load_dwordx2 v[124:125], v[124:125], off
	s_waitcnt vmcnt(0)
	scratch_store_dwordx2 off, v[124:125], off offset:40 ; 8-byte Folded Spill
.LBB36_30:                              ;   in Loop: Header=BB36_3 Depth=1
	s_or_b64 exec, exec, s[64:65]
	v_lshl_add_u64 v[124:125], v[36:37], 0, s[52:53]
	v_cmp_gt_i64_e32 vcc, s[8:9], v[124:125]
	v_mov_b64_e32 v[124:125], 0
	s_and_b64 s[66:67], s[6:7], vcc
	scratch_store_dwordx2 off, v[124:125], off offset:24 ; 8-byte Folded Spill
	v_mov_b64_e32 v[124:125], 0
	scratch_store_dwordx2 off, v[124:125], off offset:48 ; 8-byte Folded Spill
	s_and_saveexec_b64 s[64:65], s[66:67]
	s_cbranch_execz .LBB36_32
; %bb.31:                               ;   in Loop: Header=BB36_3 Depth=1
	v_lshl_add_u64 v[26:27], v[64:65], 0, v[42:43]
	v_lshl_add_u64 v[124:125], v[66:67], 0, v[42:43]
	global_load_dwordx2 v[26:27], v[26:27], off
	s_nop 0
	global_load_dwordx2 v[124:125], v[124:125], off
	s_waitcnt vmcnt(0)
	scratch_store_dwordx2 off, v[124:125], off offset:48 ; 8-byte Folded Spill
.LBB36_32:                              ;   in Loop: Header=BB36_3 Depth=1
	s_or_b64 exec, exec, s[64:65]
	v_lshl_add_u64 v[124:125], v[36:37], 0, s[54:55]
	v_cmp_gt_i64_e32 vcc, s[8:9], v[124:125]
	s_and_b64 s[66:67], s[6:7], vcc
	s_and_saveexec_b64 s[64:65], s[66:67]
	s_cbranch_execz .LBB36_34
; %bb.33:                               ;   in Loop: Header=BB36_3 Depth=1
	v_lshl_add_u64 v[28:29], v[60:61], 0, v[42:43]
	v_lshl_add_u64 v[124:125], v[62:63], 0, v[42:43]
	global_load_dwordx2 v[28:29], v[28:29], off
	s_nop 0
	global_load_dwordx2 v[124:125], v[124:125], off
	s_waitcnt vmcnt(0)
	scratch_store_dwordx2 off, v[124:125], off offset:24 ; 8-byte Folded Spill
.LBB36_34:                              ;   in Loop: Header=BB36_3 Depth=1
	s_or_b64 exec, exec, s[64:65]
	v_lshl_add_u64 v[124:125], v[36:37], 0, s[56:57]
	v_cmp_gt_i64_e32 vcc, s[8:9], v[124:125]
	s_and_b64 s[66:67], s[6:7], vcc
	v_mov_b64_e32 v[126:127], 0
	v_mov_b64_e32 v[124:125], 0
	scratch_store_dwordx2 off, v[124:125], off offset:32 ; 8-byte Folded Spill
	s_and_saveexec_b64 s[64:65], s[66:67]
	s_cbranch_execz .LBB36_36
; %bb.35:                               ;   in Loop: Header=BB36_3 Depth=1
	v_lshl_add_u64 v[30:31], v[56:57], 0, v[42:43]
	v_lshl_add_u64 v[124:125], v[58:59], 0, v[42:43]
	global_load_dwordx2 v[30:31], v[30:31], off
	s_nop 0
	global_load_dwordx2 v[124:125], v[124:125], off
	s_waitcnt vmcnt(0)
	scratch_store_dwordx2 off, v[124:125], off offset:32 ; 8-byte Folded Spill
.LBB36_36:                              ;   in Loop: Header=BB36_3 Depth=1
	s_or_b64 exec, exec, s[64:65]
	v_lshl_add_u64 v[124:125], v[36:37], 0, s[58:59]
	v_cmp_gt_i64_e32 vcc, s[8:9], v[124:125]
	s_and_b64 s[66:67], s[6:7], vcc
	s_and_saveexec_b64 s[64:65], s[66:67]
	s_cbranch_execz .LBB36_38
; %bb.37:                               ;   in Loop: Header=BB36_3 Depth=1
	v_lshl_add_u64 v[32:33], v[52:53], 0, v[42:43]
	v_lshl_add_u64 v[124:125], v[54:55], 0, v[42:43]
	global_load_dwordx2 v[32:33], v[32:33], off
	s_nop 0
	global_load_dwordx2 v[126:127], v[124:125], off
.LBB36_38:                              ;   in Loop: Header=BB36_3 Depth=1
	s_or_b64 exec, exec, s[64:65]
	v_lshl_add_u64 v[124:125], v[36:37], 0, s[60:61]
	v_cmp_gt_i64_e32 vcc, s[8:9], v[124:125]
	s_and_b64 s[66:67], s[6:7], vcc
	v_mov_b64_e32 v[124:125], 0
	s_waitcnt vmcnt(0)
	scratch_store_dwordx2 off, v[126:127], off offset:80 ; 8-byte Folded Spill
	scratch_store_dwordx2 off, v[124:125], off offset:16 ; 8-byte Folded Spill
	s_and_saveexec_b64 s[64:65], s[66:67]
	s_cbranch_execz .LBB36_40
; %bb.39:                               ;   in Loop: Header=BB36_3 Depth=1
	v_lshl_add_u64 v[34:35], v[48:49], 0, v[42:43]
	v_lshl_add_u64 v[124:125], v[50:51], 0, v[42:43]
	global_load_dwordx2 v[34:35], v[34:35], off
	s_nop 0
	global_load_dwordx2 v[124:125], v[124:125], off
	s_waitcnt vmcnt(0)
	scratch_store_dwordx2 off, v[124:125], off offset:16 ; 8-byte Folded Spill
.LBB36_40:                              ;   in Loop: Header=BB36_3 Depth=1
	s_or_b64 exec, exec, s[64:65]
	ds_bpermute_b32 v126, v44, v110
	ds_bpermute_b32 v127, v44, v111
	;; [unrolled: 1-line block ×4, first 2 shown]
	s_mov_b64 s[64:65], 0
	s_waitcnt lgkmcnt(2)
	v_add_f64 v[108:109], v[108:109], -v[126:127]
	v_mul_f64 v[108:109], v[4:5], v[108:109]
	s_waitcnt lgkmcnt(0)
	v_fma_f64 v[108:109], v[108:109], v[124:125], v[116:117]
	scratch_load_dwordx2 v[124:125], off, off ; 8-byte Folded Reload
	ds_bpermute_b32 v126, v44, v110 offset:4
	ds_bpermute_b32 v127, v44, v111 offset:4
	s_waitcnt lgkmcnt(0)
	v_add_f64 v[122:123], v[122:123], -v[126:127]
	v_mul_f64 v[122:123], v[6:7], v[122:123]
	s_waitcnt vmcnt(0)
	v_add_f64 v[4:5], v[124:125], v[4:5]
	ds_bpermute_b32 v124, v44, v112 offset:4
	ds_bpermute_b32 v125, v44, v113 offset:4
	v_add_f64 v[4:5], v[6:7], v[4:5]
	ds_bpermute_b32 v6, v44, v112 offset:8
	ds_bpermute_b32 v7, v44, v113 offset:8
	v_add_f64 v[4:5], v[8:9], v[4:5]
	s_waitcnt lgkmcnt(2)
	v_fmac_f64_e32 v[108:109], v[122:123], v[124:125]
	ds_bpermute_b32 v122, v44, v110 offset:8
	ds_bpermute_b32 v123, v44, v111 offset:8
	v_add_f64 v[4:5], v[10:11], v[4:5]
	s_waitcnt lgkmcnt(0)
	v_add_f64 v[118:119], v[118:119], -v[122:123]
	v_mul_f64 v[118:119], v[8:9], v[118:119]
	ds_bpermute_b32 v8, v44, v110 offset:12
	ds_bpermute_b32 v9, v44, v111 offset:12
	v_fmac_f64_e32 v[108:109], v[118:119], v[6:7]
	ds_bpermute_b32 v6, v44, v112 offset:12
	ds_bpermute_b32 v7, v44, v113 offset:12
	s_waitcnt lgkmcnt(2)
	v_add_f64 v[8:9], v[120:121], -v[8:9]
	v_mul_f64 v[8:9], v[10:11], v[8:9]
	s_waitcnt lgkmcnt(0)
	v_fmac_f64_e32 v[108:109], v[8:9], v[6:7]
	ds_bpermute_b32 v8, v44, v110 offset:16
	ds_bpermute_b32 v9, v44, v111 offset:16
	;; [unrolled: 1-line block ×4, first 2 shown]
	s_waitcnt lgkmcnt(2)
	v_add_f64 v[0:1], v[0:1], -v[8:9]
	scratch_load_dwordx2 v[8:9], off, off offset:56 ; 8-byte Folded Reload
	v_mul_f64 v[0:1], v[12:13], v[0:1]
	s_waitcnt lgkmcnt(0)
	v_fmac_f64_e32 v[108:109], v[0:1], v[6:7]
	ds_bpermute_b32 v6, v44, v110 offset:20
	ds_bpermute_b32 v7, v44, v111 offset:20
	v_add_f64 v[0:1], v[12:13], v[4:5]
	ds_bpermute_b32 v4, v44, v112 offset:20
	ds_bpermute_b32 v5, v44, v113 offset:20
	v_add_f64 v[0:1], v[14:15], v[0:1]
	s_waitcnt lgkmcnt(2)
	v_add_f64 v[6:7], v[38:39], -v[6:7]
	v_mul_f64 v[6:7], v[14:15], v[6:7]
	v_add_f64 v[0:1], v[16:17], v[0:1]
	s_waitcnt lgkmcnt(0)
	v_fmac_f64_e32 v[108:109], v[6:7], v[4:5]
	ds_bpermute_b32 v6, v44, v110 offset:24
	ds_bpermute_b32 v7, v44, v111 offset:24
	;; [unrolled: 1-line block ×4, first 2 shown]
	v_add_f64 v[0:1], v[18:19], v[0:1]
	v_add_f64 v[0:1], v[20:21], v[0:1]
	s_waitcnt lgkmcnt(2)
	v_add_f64 v[6:7], v[40:41], -v[6:7]
	v_mul_f64 v[6:7], v[16:17], v[6:7]
	s_waitcnt lgkmcnt(0)
	v_fmac_f64_e32 v[108:109], v[6:7], v[4:5]
	ds_bpermute_b32 v6, v44, v110 offset:28
	ds_bpermute_b32 v7, v44, v111 offset:28
	;; [unrolled: 1-line block ×4, first 2 shown]
	v_add_f64 v[0:1], v[22:23], v[0:1]
	v_add_f64 v[0:1], v[24:25], v[0:1]
	s_waitcnt lgkmcnt(2)
	v_add_f64 v[6:7], v[114:115], -v[6:7]
	v_mul_f64 v[6:7], v[18:19], v[6:7]
	s_waitcnt lgkmcnt(0)
	v_fmac_f64_e32 v[108:109], v[6:7], v[4:5]
	ds_bpermute_b32 v6, v44, v110 offset:32
	ds_bpermute_b32 v7, v44, v111 offset:32
	;; [unrolled: 1-line block ×6, first 2 shown]
	v_add_f64 v[0:1], v[26:27], v[0:1]
	v_add_f64 v[0:1], v[28:29], v[0:1]
	;; [unrolled: 1-line block ×4, first 2 shown]
	s_waitcnt vmcnt(0) lgkmcnt(4)
	v_add_f64 v[6:7], v[8:9], -v[6:7]
	scratch_load_dwordx2 v[8:9], off, off offset:64 ; 8-byte Folded Reload
	v_mul_f64 v[6:7], v[20:21], v[6:7]
	s_waitcnt lgkmcnt(2)
	v_fmac_f64_e32 v[108:109], v[6:7], v[4:5]
	ds_bpermute_b32 v6, v44, v110 offset:36
	ds_bpermute_b32 v7, v44, v111 offset:36
	ds_bpermute_b32 v4, v44, v112 offset:36
	ds_bpermute_b32 v5, v44, v113 offset:36
	s_waitcnt vmcnt(0) lgkmcnt(2)
	v_add_f64 v[6:7], v[8:9], -v[6:7]
	scratch_load_dwordx2 v[8:9], off, off offset:40 ; 8-byte Folded Reload
	v_mul_f64 v[6:7], v[22:23], v[6:7]
	s_waitcnt lgkmcnt(0)
	v_fmac_f64_e32 v[108:109], v[6:7], v[4:5]
	ds_bpermute_b32 v6, v44, v110 offset:40
	ds_bpermute_b32 v7, v44, v111 offset:40
	ds_bpermute_b32 v4, v44, v112 offset:40
	ds_bpermute_b32 v5, v44, v113 offset:40
	;; [unrolled: 10-line block ×6, first 2 shown]
	s_waitcnt vmcnt(0) lgkmcnt(2)
	v_add_f64 v[6:7], v[8:9], -v[6:7]
	v_mul_f64 v[6:7], v[32:33], v[6:7]
	s_waitcnt lgkmcnt(0)
	v_fmac_f64_e32 v[108:109], v[6:7], v[4:5]
	ds_bpermute_b32 v4, v44, v110 offset:60
	ds_bpermute_b32 v5, v44, v111 offset:60
.LBB36_41:                              ;   in Loop: Header=BB36_3 Depth=1
	s_and_b64 vcc, exec, s[64:65]
	s_cbranch_vccz .LBB36_79
; %bb.42:                               ;   in Loop: Header=BB36_3 Depth=1
	s_load_dword s64, s[22:23], 0x0
	v_and_b32_e32 v1, 0x3ff, v45
	v_bfe_u32 v3, v45, 10, 10
	v_mov_b64_e32 v[126:127], 0
	v_mov_b64_e32 v[110:111], 0
	s_waitcnt lgkmcnt(0)
	s_cmp_lt_u32 s2, s64
	s_cselect_b32 s64, 12, 18
	s_add_u32 s64, s22, s64
	s_addc_u32 s65, s23, 0
	global_load_ushort v0, v2, s[64:65]
	v_mov_b64_e32 v[38:39], 0
	s_waitcnt vmcnt(0)
	v_mad_u32_u24 v0, v3, v0, v1
	v_and_b32_e32 v0, 63, v0
	v_cmp_gt_u32_e32 vcc, 16, v0
	s_and_saveexec_b64 s[64:65], vcc
	s_cbranch_execz .LBB36_46
; %bb.43:                               ;   in Loop: Header=BB36_3 Depth=1
	v_mov_b32_e32 v1, v2
	v_lshl_add_u64 v[0:1], v[36:37], 0, v[0:1]
	v_lshl_add_u64 v[0:1], v[0:1], 0, s[28:29]
	v_cmp_gt_i64_e32 vcc, s[8:9], v[0:1]
	v_mov_b64_e32 v[38:39], 0
	v_mov_b64_e32 v[110:111], 0
	s_and_saveexec_b64 s[66:67], vcc
	s_cbranch_execz .LBB36_45
; %bb.44:                               ;   in Loop: Header=BB36_3 Depth=1
	v_lshlrev_b64 v[0:1], 3, v[0:1]
	v_lshl_add_u64 v[4:5], s[18:19], 0, v[0:1]
	v_lshl_add_u64 v[0:1], s[16:17], 0, v[0:1]
	global_load_dwordx2 v[38:39], v[0:1], off
	global_load_dwordx2 v[110:111], v[4:5], off
.LBB36_45:                              ;   in Loop: Header=BB36_3 Depth=1
	s_or_b64 exec, exec, s[66:67]
.LBB36_46:                              ;   in Loop: Header=BB36_3 Depth=1
	s_or_b64 exec, exec, s[64:65]
	v_mov_b32_e32 v4, v2
	v_mov_b32_e32 v5, v2
	;; [unrolled: 1-line block ×31, first 2 shown]
	v_mov_b64_e32 v[34:35], v[32:33]
	v_mov_b64_e32 v[32:33], v[30:31]
	;; [unrolled: 1-line block ×16, first 2 shown]
	s_and_saveexec_b64 s[64:65], s[6:7]
	s_cbranch_execz .LBB36_48
; %bb.47:                               ;   in Loop: Header=BB36_3 Depth=1
	scratch_load_dwordx2 v[0:1], off, off offset:8 ; 8-byte Folded Reload
	v_mov_b32_e32 v6, v2
	v_mov_b32_e32 v7, v2
	;; [unrolled: 1-line block ×30, first 2 shown]
	s_waitcnt vmcnt(0)
	v_lshl_add_u64 v[0:1], v[0:1], 0, v[42:43]
	global_load_dwordx2 v[4:5], v[0:1], off
	v_lshl_add_u64 v[0:1], v[46:47], 0, v[42:43]
	global_load_dwordx2 v[126:127], v[0:1], off
.LBB36_48:                              ;   in Loop: Header=BB36_3 Depth=1
	s_or_b64 exec, exec, s[64:65]
	v_mov_b64_e32 v[108:109], 0
	v_mov_b64_e32 v[114:115], 0
	s_and_saveexec_b64 s[64:65], s[6:7]
	s_cbranch_execz .LBB36_50
; %bb.49:                               ;   in Loop: Header=BB36_3 Depth=1
	v_lshl_add_u64 v[0:1], v[104:105], 0, v[42:43]
	global_load_dwordx2 v[6:7], v[0:1], off
	v_lshl_add_u64 v[0:1], v[106:107], 0, v[42:43]
	global_load_dwordx2 v[114:115], v[0:1], off
.LBB36_50:                              ;   in Loop: Header=BB36_3 Depth=1
	s_or_b64 exec, exec, s[64:65]
	s_and_saveexec_b64 s[64:65], s[6:7]
	s_cbranch_execz .LBB36_52
; %bb.51:                               ;   in Loop: Header=BB36_3 Depth=1
	v_lshl_add_u64 v[0:1], v[100:101], 0, v[42:43]
	global_load_dwordx2 v[8:9], v[0:1], off
	v_lshl_add_u64 v[0:1], v[102:103], 0, v[42:43]
	global_load_dwordx2 v[108:109], v[0:1], off
.LBB36_52:                              ;   in Loop: Header=BB36_3 Depth=1
	s_or_b64 exec, exec, s[64:65]
	v_mov_b64_e32 v[124:125], 0
	v_mov_b64_e32 v[112:113], 0
	s_and_saveexec_b64 s[64:65], s[6:7]
	s_cbranch_execz .LBB36_54
; %bb.53:                               ;   in Loop: Header=BB36_3 Depth=1
	v_lshl_add_u64 v[0:1], v[96:97], 0, v[42:43]
	global_load_dwordx2 v[10:11], v[0:1], off
	v_lshl_add_u64 v[0:1], v[98:99], 0, v[42:43]
	global_load_dwordx2 v[112:113], v[0:1], off
.LBB36_54:                              ;   in Loop: Header=BB36_3 Depth=1
	s_or_b64 exec, exec, s[64:65]
	s_and_saveexec_b64 s[64:65], s[6:7]
	s_cbranch_execz .LBB36_56
; %bb.55:                               ;   in Loop: Header=BB36_3 Depth=1
	v_lshl_add_u64 v[0:1], v[92:93], 0, v[42:43]
	global_load_dwordx2 v[12:13], v[0:1], off
	v_lshl_add_u64 v[0:1], v[94:95], 0, v[42:43]
	global_load_dwordx2 v[124:125], v[0:1], off
.LBB36_56:                              ;   in Loop: Header=BB36_3 Depth=1
	s_or_b64 exec, exec, s[64:65]
	v_mov_b64_e32 v[0:1], 0
	v_mov_b64_e32 v[36:37], 0
	s_and_saveexec_b64 s[64:65], s[6:7]
	s_cbranch_execz .LBB36_58
; %bb.57:                               ;   in Loop: Header=BB36_3 Depth=1
	v_lshl_add_u64 v[14:15], v[88:89], 0, v[42:43]
	v_lshl_add_u64 v[36:37], v[90:91], 0, v[42:43]
	global_load_dwordx2 v[14:15], v[14:15], off
	s_nop 0
	global_load_dwordx2 v[36:37], v[36:37], off
.LBB36_58:                              ;   in Loop: Header=BB36_3 Depth=1
	s_or_b64 exec, exec, s[64:65]
	s_and_saveexec_b64 s[64:65], s[6:7]
	s_cbranch_execz .LBB36_60
; %bb.59:                               ;   in Loop: Header=BB36_3 Depth=1
	v_lshl_add_u64 v[0:1], v[84:85], 0, v[42:43]
	global_load_dwordx2 v[16:17], v[0:1], off
	v_lshl_add_u64 v[0:1], v[86:87], 0, v[42:43]
	global_load_dwordx2 v[0:1], v[0:1], off
.LBB36_60:                              ;   in Loop: Header=BB36_3 Depth=1
	s_or_b64 exec, exec, s[64:65]
	v_mov_b64_e32 v[40:41], 0
	v_mov_b64_e32 v[122:123], 0
	scratch_store_dwordx2 off, v[40:41], off offset:56 ; 8-byte Folded Spill
	s_and_saveexec_b64 s[64:65], s[6:7]
	s_cbranch_execz .LBB36_62
; %bb.61:                               ;   in Loop: Header=BB36_3 Depth=1
	v_lshl_add_u64 v[18:19], v[80:81], 0, v[42:43]
	v_lshl_add_u64 v[40:41], v[82:83], 0, v[42:43]
	global_load_dwordx2 v[18:19], v[18:19], off
	s_nop 0
	global_load_dwordx2 v[122:123], v[40:41], off
.LBB36_62:                              ;   in Loop: Header=BB36_3 Depth=1
	s_or_b64 exec, exec, s[64:65]
	s_and_saveexec_b64 s[64:65], s[6:7]
	s_cbranch_execz .LBB36_64
; %bb.63:                               ;   in Loop: Header=BB36_3 Depth=1
	v_lshl_add_u64 v[20:21], v[76:77], 0, v[42:43]
	v_lshl_add_u64 v[40:41], v[78:79], 0, v[42:43]
	global_load_dwordx2 v[20:21], v[20:21], off
	s_nop 0
	global_load_dwordx2 v[40:41], v[40:41], off
	s_waitcnt vmcnt(0)
	scratch_store_dwordx2 off, v[40:41], off offset:56 ; 8-byte Folded Spill
.LBB36_64:                              ;   in Loop: Header=BB36_3 Depth=1
	s_or_b64 exec, exec, s[64:65]
	v_mov_b64_e32 v[40:41], 0
	scratch_store_dwordx2 off, v[40:41], off offset:40 ; 8-byte Folded Spill
	v_mov_b64_e32 v[40:41], 0
	s_and_saveexec_b64 s[64:65], s[6:7]
	s_cbranch_execz .LBB36_66
; %bb.65:                               ;   in Loop: Header=BB36_3 Depth=1
	v_lshl_add_u64 v[22:23], v[72:73], 0, v[42:43]
	v_lshl_add_u64 v[40:41], v[74:75], 0, v[42:43]
	global_load_dwordx2 v[22:23], v[22:23], off
	s_nop 0
	global_load_dwordx2 v[40:41], v[40:41], off
.LBB36_66:                              ;   in Loop: Header=BB36_3 Depth=1
	s_or_b64 exec, exec, s[64:65]
	s_and_saveexec_b64 s[64:65], s[6:7]
	s_cbranch_execz .LBB36_68
; %bb.67:                               ;   in Loop: Header=BB36_3 Depth=1
	v_lshl_add_u64 v[24:25], v[68:69], 0, v[42:43]
	v_lshl_add_u64 v[118:119], v[70:71], 0, v[42:43]
	global_load_dwordx2 v[24:25], v[24:25], off
	s_nop 0
	global_load_dwordx2 v[118:119], v[118:119], off
	s_waitcnt vmcnt(0)
	scratch_store_dwordx2 off, v[118:119], off offset:40 ; 8-byte Folded Spill
.LBB36_68:                              ;   in Loop: Header=BB36_3 Depth=1
	s_or_b64 exec, exec, s[64:65]
	v_mov_b64_e32 v[118:119], 0
	scratch_store_dwordx2 off, v[118:119], off offset:24 ; 8-byte Folded Spill
	v_mov_b64_e32 v[118:119], 0
	scratch_store_dwordx2 off, v[118:119], off offset:48 ; 8-byte Folded Spill
	s_and_saveexec_b64 s[64:65], s[6:7]
	s_cbranch_execz .LBB36_70
; %bb.69:                               ;   in Loop: Header=BB36_3 Depth=1
	v_lshl_add_u64 v[26:27], v[64:65], 0, v[42:43]
	v_lshl_add_u64 v[118:119], v[66:67], 0, v[42:43]
	global_load_dwordx2 v[26:27], v[26:27], off
	s_nop 0
	global_load_dwordx2 v[118:119], v[118:119], off
	s_waitcnt vmcnt(0)
	scratch_store_dwordx2 off, v[118:119], off offset:48 ; 8-byte Folded Spill
.LBB36_70:                              ;   in Loop: Header=BB36_3 Depth=1
	s_or_b64 exec, exec, s[64:65]
	s_and_saveexec_b64 s[64:65], s[6:7]
	s_cbranch_execz .LBB36_72
; %bb.71:                               ;   in Loop: Header=BB36_3 Depth=1
	v_lshl_add_u64 v[28:29], v[60:61], 0, v[42:43]
	v_lshl_add_u64 v[118:119], v[62:63], 0, v[42:43]
	global_load_dwordx2 v[28:29], v[28:29], off
	s_nop 0
	global_load_dwordx2 v[118:119], v[118:119], off
	s_waitcnt vmcnt(0)
	scratch_store_dwordx2 off, v[118:119], off offset:24 ; 8-byte Folded Spill
.LBB36_72:                              ;   in Loop: Header=BB36_3 Depth=1
	s_or_b64 exec, exec, s[64:65]
	v_mov_b64_e32 v[120:121], 0
	v_mov_b64_e32 v[118:119], 0
	scratch_store_dwordx2 off, v[118:119], off offset:32 ; 8-byte Folded Spill
	s_and_saveexec_b64 s[64:65], s[6:7]
	s_cbranch_execz .LBB36_74
; %bb.73:                               ;   in Loop: Header=BB36_3 Depth=1
	v_lshl_add_u64 v[30:31], v[56:57], 0, v[42:43]
	v_lshl_add_u64 v[118:119], v[58:59], 0, v[42:43]
	global_load_dwordx2 v[30:31], v[30:31], off
	s_nop 0
	global_load_dwordx2 v[118:119], v[118:119], off
	s_waitcnt vmcnt(0)
	scratch_store_dwordx2 off, v[118:119], off offset:32 ; 8-byte Folded Spill
.LBB36_74:                              ;   in Loop: Header=BB36_3 Depth=1
	s_or_b64 exec, exec, s[64:65]
	s_and_saveexec_b64 s[64:65], s[6:7]
	s_cbranch_execz .LBB36_76
; %bb.75:                               ;   in Loop: Header=BB36_3 Depth=1
	v_lshl_add_u64 v[32:33], v[52:53], 0, v[42:43]
	v_lshl_add_u64 v[118:119], v[54:55], 0, v[42:43]
	global_load_dwordx2 v[32:33], v[32:33], off
	s_nop 0
	global_load_dwordx2 v[120:121], v[118:119], off
.LBB36_76:                              ;   in Loop: Header=BB36_3 Depth=1
	s_or_b64 exec, exec, s[64:65]
	v_mov_b64_e32 v[118:119], 0
	s_waitcnt vmcnt(0)
	scratch_store_dwordx2 off, v[120:121], off offset:64 ; 8-byte Folded Spill
	scratch_store_dwordx2 off, v[118:119], off offset:16 ; 8-byte Folded Spill
	s_and_saveexec_b64 s[64:65], s[6:7]
	s_cbranch_execz .LBB36_78
; %bb.77:                               ;   in Loop: Header=BB36_3 Depth=1
	v_lshl_add_u64 v[34:35], v[48:49], 0, v[42:43]
	v_lshl_add_u64 v[118:119], v[50:51], 0, v[42:43]
	global_load_dwordx2 v[34:35], v[34:35], off
	s_nop 0
	global_load_dwordx2 v[118:119], v[118:119], off
	s_waitcnt vmcnt(0)
	scratch_store_dwordx2 off, v[118:119], off offset:16 ; 8-byte Folded Spill
.LBB36_78:                              ;   in Loop: Header=BB36_3 Depth=1
	s_or_b64 exec, exec, s[64:65]
	ds_bpermute_b32 v120, v44, v38
	ds_bpermute_b32 v121, v44, v39
	;; [unrolled: 1-line block ×4, first 2 shown]
	s_waitcnt lgkmcnt(2)
	v_add_f64 v[120:121], v[126:127], -v[120:121]
	v_mul_f64 v[120:121], v[4:5], v[120:121]
	s_waitcnt lgkmcnt(0)
	v_fmac_f64_e32 v[116:117], v[120:121], v[118:119]
	scratch_load_dwordx2 v[118:119], off, off ; 8-byte Folded Reload
	ds_bpermute_b32 v120, v44, v38 offset:4
	ds_bpermute_b32 v121, v44, v39 offset:4
	s_waitcnt lgkmcnt(0)
	v_add_f64 v[114:115], v[114:115], -v[120:121]
	v_mul_f64 v[114:115], v[6:7], v[114:115]
	s_waitcnt vmcnt(0)
	v_add_f64 v[4:5], v[118:119], v[4:5]
	ds_bpermute_b32 v118, v44, v110 offset:4
	ds_bpermute_b32 v119, v44, v111 offset:4
	v_add_f64 v[4:5], v[6:7], v[4:5]
	ds_bpermute_b32 v6, v44, v110 offset:8
	ds_bpermute_b32 v7, v44, v111 offset:8
	v_add_f64 v[4:5], v[8:9], v[4:5]
	s_waitcnt lgkmcnt(2)
	v_fmac_f64_e32 v[116:117], v[114:115], v[118:119]
	ds_bpermute_b32 v114, v44, v38 offset:8
	ds_bpermute_b32 v115, v44, v39 offset:8
	v_add_f64 v[4:5], v[10:11], v[4:5]
	v_add_f64 v[4:5], v[12:13], v[4:5]
	;; [unrolled: 1-line block ×3, first 2 shown]
	s_waitcnt lgkmcnt(0)
	v_add_f64 v[108:109], v[108:109], -v[114:115]
	v_mul_f64 v[108:109], v[8:9], v[108:109]
	ds_bpermute_b32 v8, v44, v38 offset:12
	ds_bpermute_b32 v9, v44, v39 offset:12
	v_fmac_f64_e32 v[116:117], v[108:109], v[6:7]
	ds_bpermute_b32 v6, v44, v110 offset:12
	ds_bpermute_b32 v7, v44, v111 offset:12
	s_waitcnt lgkmcnt(2)
	v_add_f64 v[8:9], v[112:113], -v[8:9]
	v_mul_f64 v[8:9], v[10:11], v[8:9]
	s_waitcnt lgkmcnt(0)
	v_fmac_f64_e32 v[116:117], v[8:9], v[6:7]
	ds_bpermute_b32 v8, v44, v38 offset:16
	ds_bpermute_b32 v9, v44, v39 offset:16
	ds_bpermute_b32 v6, v44, v110 offset:16
	ds_bpermute_b32 v7, v44, v111 offset:16
	s_waitcnt lgkmcnt(2)
	v_add_f64 v[8:9], v[124:125], -v[8:9]
	v_mul_f64 v[8:9], v[12:13], v[8:9]
	s_waitcnt lgkmcnt(0)
	v_fmac_f64_e32 v[116:117], v[8:9], v[6:7]
	ds_bpermute_b32 v8, v44, v38 offset:20
	ds_bpermute_b32 v9, v44, v39 offset:20
	ds_bpermute_b32 v6, v44, v110 offset:20
	ds_bpermute_b32 v7, v44, v111 offset:20
	s_waitcnt lgkmcnt(2)
	v_add_f64 v[8:9], v[36:37], -v[8:9]
	v_mul_f64 v[8:9], v[14:15], v[8:9]
	s_waitcnt lgkmcnt(0)
	v_fmac_f64_e32 v[116:117], v[8:9], v[6:7]
	ds_bpermute_b32 v8, v44, v38 offset:24
	ds_bpermute_b32 v9, v44, v39 offset:24
	ds_bpermute_b32 v6, v44, v110 offset:24
	ds_bpermute_b32 v7, v44, v111 offset:24
	s_waitcnt lgkmcnt(2)
	v_add_f64 v[0:1], v[0:1], -v[8:9]
	scratch_load_dwordx2 v[8:9], off, off offset:56 ; 8-byte Folded Reload
	v_mul_f64 v[0:1], v[16:17], v[0:1]
	s_waitcnt lgkmcnt(0)
	v_fmac_f64_e32 v[116:117], v[0:1], v[6:7]
	ds_bpermute_b32 v6, v44, v38 offset:28
	ds_bpermute_b32 v7, v44, v39 offset:28
	v_add_f64 v[0:1], v[16:17], v[4:5]
	ds_bpermute_b32 v4, v44, v110 offset:28
	ds_bpermute_b32 v5, v44, v111 offset:28
	v_add_f64 v[0:1], v[18:19], v[0:1]
	s_waitcnt lgkmcnt(2)
	v_add_f64 v[6:7], v[122:123], -v[6:7]
	v_mul_f64 v[6:7], v[18:19], v[6:7]
	v_add_f64 v[0:1], v[20:21], v[0:1]
	s_waitcnt lgkmcnt(0)
	v_fmac_f64_e32 v[116:117], v[6:7], v[4:5]
	ds_bpermute_b32 v6, v44, v38 offset:32
	ds_bpermute_b32 v7, v44, v39 offset:32
	;; [unrolled: 1-line block ×4, first 2 shown]
	v_add_f64 v[0:1], v[22:23], v[0:1]
	v_add_f64 v[0:1], v[24:25], v[0:1]
	;; [unrolled: 1-line block ×6, first 2 shown]
	s_waitcnt vmcnt(0) lgkmcnt(2)
	v_add_f64 v[6:7], v[8:9], -v[6:7]
	scratch_load_dwordx2 v[8:9], off, off offset:40 ; 8-byte Folded Reload
	v_mul_f64 v[6:7], v[20:21], v[6:7]
	s_waitcnt lgkmcnt(0)
	v_fmac_f64_e32 v[116:117], v[6:7], v[4:5]
	ds_bpermute_b32 v6, v44, v38 offset:36
	ds_bpermute_b32 v7, v44, v39 offset:36
	;; [unrolled: 1-line block ×4, first 2 shown]
	s_waitcnt lgkmcnt(2)
	v_add_f64 v[6:7], v[40:41], -v[6:7]
	v_mul_f64 v[6:7], v[22:23], v[6:7]
	s_waitcnt lgkmcnt(0)
	v_fmac_f64_e32 v[116:117], v[6:7], v[4:5]
	ds_bpermute_b32 v6, v44, v38 offset:40
	ds_bpermute_b32 v7, v44, v39 offset:40
	;; [unrolled: 1-line block ×6, first 2 shown]
	s_waitcnt vmcnt(0) lgkmcnt(4)
	v_add_f64 v[6:7], v[8:9], -v[6:7]
	scratch_load_dwordx2 v[8:9], off, off offset:48 ; 8-byte Folded Reload
	v_mul_f64 v[6:7], v[24:25], v[6:7]
	s_waitcnt lgkmcnt(2)
	v_fmac_f64_e32 v[116:117], v[6:7], v[4:5]
	ds_bpermute_b32 v6, v44, v38 offset:44
	ds_bpermute_b32 v7, v44, v39 offset:44
	ds_bpermute_b32 v4, v44, v110 offset:44
	ds_bpermute_b32 v5, v44, v111 offset:44
	s_waitcnt vmcnt(0) lgkmcnt(2)
	v_add_f64 v[6:7], v[8:9], -v[6:7]
	scratch_load_dwordx2 v[8:9], off, off offset:24 ; 8-byte Folded Reload
	v_mul_f64 v[6:7], v[26:27], v[6:7]
	s_waitcnt lgkmcnt(0)
	v_fmac_f64_e32 v[116:117], v[6:7], v[4:5]
	ds_bpermute_b32 v6, v44, v38 offset:48
	ds_bpermute_b32 v7, v44, v39 offset:48
	ds_bpermute_b32 v4, v44, v110 offset:48
	ds_bpermute_b32 v5, v44, v111 offset:48
	;; [unrolled: 10-line block ×4, first 2 shown]
	s_waitcnt vmcnt(0) lgkmcnt(2)
	v_add_f64 v[6:7], v[8:9], -v[6:7]
	v_mul_f64 v[6:7], v[32:33], v[6:7]
	s_waitcnt lgkmcnt(0)
	v_fmac_f64_e32 v[116:117], v[6:7], v[4:5]
	ds_bpermute_b32 v4, v44, v38 offset:60
	ds_bpermute_b32 v5, v44, v39 offset:60
	v_mov_b64_e32 v[108:109], v[116:117]
.LBB36_79:                              ;   in Loop: Header=BB36_3 Depth=1
	v_add_f64 v[0:1], v[0:1], v[34:35]
	scratch_load_dwordx2 v[6:7], off, off offset:16 ; 8-byte Folded Reload
	s_add_u32 s62, s62, s3
	scratch_store_dwordx2 off, v[0:1], off  ; 8-byte Folded Spill
	scratch_load_dwordx2 v[0:1], off, off offset:8 ; 8-byte Folded Reload
	s_addc_u32 s63, s63, 0
	s_add_u32 s26, s26, s3
	v_lshl_add_u64 v[46:47], v[46:47], 0, s[24:25]
	v_lshl_add_u64 v[48:49], v[48:49], 0, s[24:25]
	;; [unrolled: 1-line block ×31, first 2 shown]
	s_addc_u32 s27, s27, 0
	s_waitcnt vmcnt(2) lgkmcnt(0)
	v_add_f64 v[4:5], v[6:7], -v[4:5]
	v_mul_f64 v[4:5], v[34:35], v[4:5]
	v_fmac_f64_e32 v[108:109], v[4:5], v[40:41]
	s_waitcnt vmcnt(0)
	v_lshl_add_u64 v[0:1], v[0:1], 0, s[24:25]
	scratch_store_dwordx2 off, v[0:1], off offset:8 ; 8-byte Folded Spill
	v_mov_b64_e32 v[0:1], s[8:9]
	v_cmp_lt_i64_e32 vcc, s[62:63], v[0:1]
	s_cbranch_vccz .LBB36_82
; %bb.80:                               ;   in Loop: Header=BB36_3 Depth=1
	v_mov_b64_e32 v[116:117], v[108:109]
	s_branch .LBB36_3
.LBB36_81:
                                        ; implicit-def: $vgpr90_vgpr91
                                        ; implicit-def: $vgpr108_vgpr109
	s_branch .LBB36_84
.LBB36_82:
	scratch_load_dwordx2 v[90:91], off, off ; 8-byte Folded Reload
.LBB36_83:
	s_cbranch_execnz .LBB36_132
.LBB36_84:
	s_waitcnt vmcnt(0)
	v_mov_b64_e32 v[90:91], 0
	s_and_b64 vcc, exec, s[4:5]
	v_mov_b64_e32 v[108:109], 0
	s_cbranch_vccnz .LBB36_132
; %bb.85:
	v_mov_b32_e32 v2, 0
	v_bfe_u32 v18, v45, 10, 10
	v_lshlrev_b32_e32 v0, 7, v18
	v_mov_b32_e32 v1, v2
	v_lshl_add_u64 v[0:1], s[20:21], 3, v[0:1]
	v_lshl_add_u64 v[8:9], v[0:1], 0, 8
	v_mov_b64_e32 v[4:5], s[12:13]
	v_mov_b64_e32 v[6:7], s[14:15]
	v_mad_u64_u32 v[92:93], s[4:5], s10, v8, v[4:5]
	v_mul_lo_u32 v3, s10, v9
	v_mul_lo_u32 v9, s11, v8
	v_lshl_add_u64 v[10:11], v[0:1], 0, 16
	v_lshl_add_u64 v[14:15], v[0:1], 0, 32
	v_mad_u64_u32 v[98:99], s[4:5], s10, v8, v[6:7]
	v_add3_u32 v93, v9, v93, v3
	v_mad_u64_u32 v[94:95], s[4:5], s10, v10, v[4:5]
	v_mul_lo_u32 v16, s11, v10
	v_add3_u32 v99, v9, v99, v3
	v_mad_u64_u32 v[80:81], s[4:5], s10, v14, v[4:5]
	v_mad_u64_u32 v[110:111], s[4:5], s10, v10, v[6:7]
	v_mul_lo_u32 v3, s10, v15
	v_mul_lo_u32 v10, s11, v14
	v_lshl_add_u64 v[8:9], v[0:1], 0, 40
	v_mad_u64_u32 v[114:115], s[4:5], s10, v14, v[6:7]
	v_add3_u32 v81, v10, v81, v3
	v_add3_u32 v115, v10, v115, v3
	v_mul_lo_u32 v3, s10, v9
	v_mul_lo_u32 v9, s11, v8
	v_mad_u64_u32 v[116:117], s[4:5], s10, v8, v[4:5]
	v_mad_u64_u32 v[118:119], s[4:5], s10, v8, v[6:7]
	v_add3_u32 v117, v9, v117, v3
	v_add3_u32 v119, v9, v119, v3
	v_lshl_add_u64 v[8:9], v[0:1], 0, 48
	v_mul_lo_u32 v3, s10, v9
	v_mul_lo_u32 v9, s11, v8
	v_mad_u64_u32 v[120:121], s[4:5], s10, v8, v[4:5]
	v_mad_u64_u32 v[122:123], s[4:5], s10, v8, v[6:7]
	v_add3_u32 v121, v9, v121, v3
	v_add3_u32 v123, v9, v123, v3
	v_lshl_add_u64 v[8:9], v[0:1], 0, 56
	v_mul_lo_u32 v3, s10, v9
	v_mul_lo_u32 v9, s11, v8
	v_mad_u64_u32 v[124:125], s[4:5], s10, v8, v[4:5]
	v_mad_u64_u32 v[126:127], s[4:5], s10, v8, v[6:7]
	v_lshl_add_u64 v[12:13], v[0:1], 0, 24
	v_add3_u32 v125, v9, v125, v3
	v_add3_u32 v127, v9, v127, v3
	v_lshl_add_u64 v[8:9], v[0:1], 0, 64
	v_mad_u64_u32 v[96:97], s[4:5], s10, v12, v[4:5]
	v_mad_u64_u32 v[112:113], s[4:5], s10, v12, v[6:7]
	;; [unrolled: 1-line block ×4, first 2 shown]
	v_mul_lo_u32 v3, s10, v9
	v_mul_lo_u32 v9, s11, v8
	s_mov_b64 s[4:5], 0x48
	v_add3_u32 v101, v9, v101, v3
	v_add3_u32 v37, v9, v37, v3
	v_lshl_add_u64 v[8:9], v[0:1], 0, s[4:5]
	v_mad_u64_u32 v[38:39], s[4:5], s10, v8, v[4:5]
	v_mad_u64_u32 v[40:41], s[4:5], s10, v8, v[6:7]
	v_mul_lo_u32 v3, s10, v9
	v_mul_lo_u32 v9, s11, v8
	s_mov_b64 s[4:5], 0x50
	v_add3_u32 v39, v9, v39, v3
	v_add3_u32 v41, v9, v41, v3
	v_lshl_add_u64 v[8:9], v[0:1], 0, s[4:5]
	v_mad_u64_u32 v[42:43], s[4:5], s10, v8, v[4:5]
	v_mad_u64_u32 v[46:47], s[4:5], s10, v8, v[6:7]
	v_mul_lo_u32 v3, s10, v9
	v_mul_lo_u32 v9, s11, v8
	s_mov_b64 s[4:5], 0x58
	v_add3_u32 v43, v9, v43, v3
	v_add3_u32 v47, v9, v47, v3
	v_lshl_add_u64 v[8:9], v[0:1], 0, s[4:5]
	v_mad_u64_u32 v[48:49], s[4:5], s10, v8, v[4:5]
	v_mad_u64_u32 v[50:51], s[4:5], s10, v8, v[6:7]
	v_mul_lo_u32 v3, s10, v9
	v_mul_lo_u32 v9, s11, v8
	s_mov_b64 s[4:5], 0x60
	v_mul_lo_u32 v11, s10, v11
	v_add3_u32 v49, v9, v49, v3
	v_add3_u32 v51, v9, v51, v3
	v_lshl_add_u64 v[8:9], v[0:1], 0, s[4:5]
	v_add3_u32 v95, v16, v95, v11
	v_add3_u32 v111, v16, v111, v11
	v_mad_u64_u32 v[52:53], s[4:5], s10, v8, v[4:5]
	v_mad_u64_u32 v[10:11], s[4:5], s10, v8, v[6:7]
	v_mul_lo_u32 v3, s10, v9
	v_mul_lo_u32 v9, s11, v8
	s_mov_b64 s[4:5], 0x68
	v_add3_u32 v53, v9, v53, v3
	v_add3_u32 v11, v9, v11, v3
	v_lshl_add_u64 v[8:9], v[0:1], 0, s[4:5]
	scratch_store_dwordx2 off, v[10:11], off offset:8 ; 8-byte Folded Spill
	v_mul_lo_u32 v3, s10, v9
	v_mul_lo_u32 v9, s11, v8
	v_mad_u64_u32 v[10:11], s[4:5], s10, v8, v[4:5]
	v_add3_u32 v11, v9, v11, v3
	scratch_store_dwordx2 off, v[10:11], off offset:16 ; 8-byte Folded Spill
	v_mad_u64_u32 v[10:11], s[4:5], s10, v8, v[6:7]
	s_mov_b64 s[4:5], 0x70
	v_add3_u32 v11, v9, v11, v3
	v_lshl_add_u64 v[8:9], v[0:1], 0, s[4:5]
	scratch_store_dwordx2 off, v[10:11], off offset:24 ; 8-byte Folded Spill
	v_mul_lo_u32 v3, s10, v9
	v_mul_lo_u32 v9, s11, v8
	v_mad_u64_u32 v[10:11], s[4:5], s10, v8, v[4:5]
	v_add3_u32 v11, v9, v11, v3
	scratch_store_dwordx2 off, v[10:11], off offset:32 ; 8-byte Folded Spill
	v_mad_u64_u32 v[10:11], s[4:5], s10, v8, v[6:7]
	s_mov_b64 s[4:5], 0x78
	s_nop 0
	v_lshl_add_u64 v[0:1], v[0:1], 0, s[4:5]
	v_mad_u64_u32 v[4:5], s[4:5], s10, v0, v[4:5]
	v_mad_u64_u32 v[6:7], s[4:5], s10, v0, v[6:7]
	v_mul_lo_u32 v1, s10, v1
	v_mul_lo_u32 v0, s11, v0
	v_add3_u32 v11, v9, v11, v3
	v_add3_u32 v5, v0, v5, v1
	;; [unrolled: 1-line block ×3, first 2 shown]
	v_lshlrev_b32_e32 v0, 4, v18
	v_mov_b32_e32 v1, v2
	scratch_store_dwordx2 off, v[10:11], off offset:40 ; 8-byte Folded Spill
	scratch_store_dwordx2 off, v[4:5], off offset:48 ; 8-byte Folded Spill
	;; [unrolled: 1-line block ×3, first 2 shown]
	scratch_store_dword off, v18, off offset:312 ; 4-byte Folded Spill
	v_lshl_add_u64 v[6:7], v[0:1], 0, s[20:21]
	scratch_store_dwordx2 off, v[0:1], off offset:304 ; 8-byte Folded Spill
	v_lshl_add_u64 v[0:1], v[6:7], 0, 15
	v_mul_lo_u32 v3, s11, v0
	v_mul_lo_u32 v4, s10, v1
	v_mad_u64_u32 v[0:1], s[4:5], s10, v0, 0
	v_add3_u32 v1, v1, v4, v3
	v_lshl_add_u64 v[4:5], v[6:7], 0, 14
	v_mul_lo_u32 v3, s11, v4
	v_mul_lo_u32 v8, s10, v5
	v_mad_u64_u32 v[4:5], s[4:5], s10, v4, 0
	v_add3_u32 v5, v5, v8, v3
	;; [unrolled: 5-line block ×3, first 2 shown]
	v_lshl_add_u64 v[10:11], v[6:7], 0, 12
	v_mul_lo_u32 v13, s10, v13
	v_mul_lo_u32 v17, s11, v12
	;; [unrolled: 1-line block ×4, first 2 shown]
	v_mad_u64_u32 v[10:11], s[4:5], s10, v10, 0
	v_add3_u32 v97, v17, v97, v13
	v_add3_u32 v113, v17, v113, v13
	;; [unrolled: 1-line block ×3, first 2 shown]
	v_lshl_add_u64 v[12:13], v[6:7], 0, 11
	v_mul_lo_u32 v3, s11, v12
	v_mul_lo_u32 v14, s10, v13
	v_mad_u64_u32 v[12:13], s[4:5], s10, v12, 0
	v_add3_u32 v13, v13, v14, v3
	v_lshl_add_u64 v[14:15], v[6:7], 0, 10
	v_mul_lo_u32 v3, s11, v14
	v_mul_lo_u32 v16, s10, v15
	v_mad_u64_u32 v[14:15], s[4:5], s10, v14, 0
	v_add3_u32 v15, v15, v16, v3
	;; [unrolled: 5-line block ×10, first 2 shown]
	v_mov_b64_e32 v[32:33], s[10:11]
	v_mad_u64_u32 v[32:33], s[4:5], s10, v6, v[32:33]
	v_mul_lo_u32 v3, s11, v6
	v_mul_lo_u32 v34, s10, v7
	v_mad_u64_u32 v[6:7], s[4:5], s10, v6, 0
	v_add3_u32 v7, v7, v34, v3
	v_lshlrev_b64 v[6:7], 3, v[6:7]
	v_lshlrev_b64 v[0:1], 3, v[0:1]
	v_lshl_add_u64 v[104:105], s[12:13], 0, v[6:7]
	v_lshl_add_u64 v[106:107], s[14:15], 0, v[6:7]
	;; [unrolled: 1-line block ×4, first 2 shown]
	scratch_store_dwordx2 off, v[0:1], off offset:72 ; 8-byte Folded Spill
	v_lshlrev_b64 v[0:1], 3, v[4:5]
	v_lshl_add_u64 v[4:5], s[12:13], 0, v[0:1]
	v_lshl_add_u64 v[0:1], s[14:15], 0, v[0:1]
	scratch_store_dwordx2 off, v[0:1], off offset:88 ; 8-byte Folded Spill
	v_lshlrev_b64 v[0:1], 3, v[8:9]
	scratch_store_dwordx2 off, v[4:5], off offset:80 ; 8-byte Folded Spill
	v_lshl_add_u64 v[4:5], s[12:13], 0, v[0:1]
	v_lshl_add_u64 v[0:1], s[14:15], 0, v[0:1]
	scratch_store_dwordx2 off, v[0:1], off offset:104 ; 8-byte Folded Spill
	v_lshlrev_b64 v[0:1], 3, v[10:11]
	scratch_store_dwordx2 off, v[4:5], off offset:96 ; 8-byte Folded Spill
	;; [unrolled: 5-line block ×4, first 2 shown]
	v_lshl_add_u64 v[4:5], s[12:13], 0, v[0:1]
	scratch_store_dwordx2 off, v[4:5], off offset:144 ; 8-byte Folded Spill
	v_lshlrev_b64 v[4:5], 3, v[16:17]
	scratch_store_dwordx2 off, v[6:7], off offset:64 ; 8-byte Folded Spill
	v_lshl_add_u64 v[6:7], s[12:13], 0, v[4:5]
	v_lshl_add_u64 v[4:5], s[14:15], 0, v[4:5]
	scratch_store_dwordx2 off, v[4:5], off offset:168 ; 8-byte Folded Spill
	v_lshlrev_b64 v[4:5], 3, v[18:19]
	s_load_dword s3, s[0:1], 0x44
	scratch_store_dwordx2 off, v[6:7], off offset:160 ; 8-byte Folded Spill
	v_lshl_add_u64 v[6:7], s[12:13], 0, v[4:5]
	v_lshl_add_u64 v[4:5], s[14:15], 0, v[4:5]
	scratch_store_dwordx2 off, v[4:5], off offset:184 ; 8-byte Folded Spill
	v_lshlrev_b64 v[4:5], 3, v[20:21]
	scratch_store_dwordx2 off, v[6:7], off offset:176 ; 8-byte Folded Spill
	v_lshl_add_u64 v[6:7], s[12:13], 0, v[4:5]
	v_lshl_add_u64 v[4:5], s[14:15], 0, v[4:5]
	scratch_store_dwordx2 off, v[4:5], off offset:200 ; 8-byte Folded Spill
	v_lshlrev_b64 v[4:5], 3, v[22:23]
	v_add3_u32 v33, v3, v33, v34
	scratch_store_dword off, v45, off offset:332 ; 4-byte Folded Spill
	v_and_b32_e32 v3, 0x3ff, v45
	v_mov_b64_e32 v[44:45], v[46:47]
	v_mov_b64_e32 v[46:47], v[48:49]
	;; [unrolled: 1-line block ×4, first 2 shown]
	s_add_u32 s4, s0, 64
	scratch_store_dwordx2 off, v[6:7], off offset:192 ; 8-byte Folded Spill
	v_lshl_add_u64 v[6:7], s[12:13], 0, v[4:5]
	v_lshl_add_u64 v[52:53], s[14:15], 0, v[4:5]
	v_lshlrev_b64 v[4:5], 3, v[24:25]
	s_addc_u32 s5, s1, 0
	s_waitcnt lgkmcnt(0)
	s_lshl_b32 s3, s3, 8
	v_lshl_add_u64 v[54:55], s[12:13], 0, v[4:5]
	v_lshl_add_u64 v[56:57], s[14:15], 0, v[4:5]
	v_lshlrev_b64 v[4:5], 3, v[26:27]
	s_mul_i32 s6, s11, s3
	s_mul_hi_u32 s7, s10, s3
	v_lshl_add_u64 v[58:59], s[12:13], 0, v[4:5]
	v_lshl_add_u64 v[60:61], s[14:15], 0, v[4:5]
	v_lshlrev_b64 v[4:5], 3, v[28:29]
	v_mov_b32_e32 v89, v3
	v_add_u32_e32 v34, s33, v3
	s_add_i32 s7, s7, s6
	s_mul_i32 s6, s10, s3
	v_lshl_add_u64 v[62:63], s[12:13], 0, v[4:5]
	v_lshl_add_u64 v[64:65], s[14:15], 0, v[4:5]
	v_lshlrev_b64 v[4:5], 3, v[30:31]
	v_mbcnt_lo_u32_b32 v3, -1, 0
	s_lshl_b64 s[6:7], s[6:7], 3
	v_lshl_add_u64 v[66:67], s[12:13], 0, v[4:5]
	v_lshl_add_u64 v[68:69], s[14:15], 0, v[4:5]
	v_lshlrev_b64 v[4:5], 3, v[32:33]
	v_mbcnt_hi_u32_b32 v3, -1, v3
	v_mov_b32_e32 v35, v2
	s_add_u32 s22, s20, 0xff
	v_lshl_add_u64 v[0:1], s[14:15], 0, v[0:1]
	v_lshl_add_u64 v[70:71], s[12:13], 0, v[4:5]
	v_lshl_add_u64 v[72:73], s[14:15], 0, v[4:5]
	s_movk_i32 s12, 0xff01
	s_movk_i32 s14, 0xff02
	;; [unrolled: 1-line block ×16, first 2 shown]
	v_lshlrev_b32_e32 v3, 2, v3
	v_lshlrev_b64 v[102:103], 3, v[34:35]
	s_addc_u32 s23, 0, 0
	scratch_store_dwordx2 off, v[0:1], off offset:152 ; 8-byte Folded Spill
	v_mov_b64_e32 v[0:1], v[36:37]
	v_mov_b64_e32 v[36:37], v[38:39]
	s_mov_b32 s13, -1
	s_mov_b32 s15, -1
	;; [unrolled: 1-line block ×16, first 2 shown]
	v_and_b32_e32 v88, 0x100, v3
	v_mov_b64_e32 v[108:109], 0
	v_mov_b64_e32 v[90:91], 0
	scratch_store_dwordx2 off, v[6:7], off offset:208 ; 8-byte Folded Spill
	s_branch .LBB36_89
.LBB36_86:                              ;   in Loop: Header=BB36_89 Depth=1
	s_or_b64 exec, exec, s[56:57]
.LBB36_87:                              ;   in Loop: Header=BB36_89 Depth=1
	s_or_b64 exec, exec, s[54:55]
	v_lshl_add_u64 v[8:9], v[106:107], 0, v[102:103]
	global_load_dwordx2 v[28:29], v[8:9], off
	v_lshl_add_u64 v[8:9], v[104:105], 0, v[102:103]
	global_load_dwordx2 v[8:9], v[8:9], off
	;; [unrolled: 2-line block ×9, first 2 shown]
	v_lshl_add_u64 v[16:17], v[80:81], 0, v[102:103]
	v_lshl_add_u64 v[18:19], v[118:119], 0, v[102:103]
	global_load_dwordx2 v[16:17], v[16:17], off
	s_waitcnt vmcnt(11)
	ds_bpermute_b32 v74, v88, v6
	global_load_dwordx2 v[24:25], v[18:19], off
	v_lshl_add_u64 v[18:19], v[116:117], 0, v[102:103]
	global_load_dwordx2 v[18:19], v[18:19], off
	ds_bpermute_b32 v75, v88, v7
	s_waitcnt vmcnt(12)
	ds_bpermute_b32 v76, v88, v4
	ds_bpermute_b32 v77, v88, v5
	v_lshl_add_u64 v[20:21], v[122:123], 0, v[102:103]
	global_load_dwordx2 v[22:23], v[20:21], off
	v_lshl_add_u64 v[20:21], v[120:121], 0, v[102:103]
	v_lshl_add_u64 v[82:83], v[124:125], 0, v[102:103]
	;; [unrolled: 1-line block ×3, first 2 shown]
	global_load_dwordx2 v[20:21], v[20:21], off
	v_lshl_add_u64 v[86:87], v[100:101], 0, v[102:103]
	v_lshl_add_u64 v[90:91], v[0:1], 0, v[102:103]
	;; [unrolled: 1-line block ×4, first 2 shown]
	v_mov_b64_e32 v[46:47], v[44:45]
	s_waitcnt vmcnt(13) lgkmcnt(2)
	v_add_f64 v[28:29], v[28:29], -v[74:75]
	ds_bpermute_b32 v74, v88, v6 offset:4
	ds_bpermute_b32 v75, v88, v7 offset:4
	s_waitcnt vmcnt(12)
	v_mul_f64 v[28:29], v[8:9], v[28:29]
	s_waitcnt lgkmcnt(2)
	v_fmac_f64_e32 v[108:109], v[28:29], v[76:77]
	ds_bpermute_b32 v28, v88, v4 offset:4
	ds_bpermute_b32 v29, v88, v5 offset:4
	s_waitcnt vmcnt(11) lgkmcnt(2)
	v_add_f64 v[30:31], v[30:31], -v[74:75]
	ds_bpermute_b32 v76, v88, v6 offset:8
	ds_bpermute_b32 v77, v88, v7 offset:8
	s_waitcnt vmcnt(10)
	v_mul_f64 v[30:31], v[10:11], v[30:31]
	s_waitcnt lgkmcnt(2)
	v_fmac_f64_e32 v[108:109], v[30:31], v[28:29]
	ds_bpermute_b32 v28, v88, v4 offset:8
	ds_bpermute_b32 v29, v88, v5 offset:8
	s_waitcnt vmcnt(9) lgkmcnt(2)
	v_add_f64 v[30:31], v[34:35], -v[76:77]
	ds_bpermute_b32 v34, v88, v6 offset:12
	ds_bpermute_b32 v35, v88, v7 offset:12
	s_waitcnt vmcnt(8)
	v_mul_f64 v[30:31], v[12:13], v[30:31]
	s_waitcnt lgkmcnt(2)
	v_fmac_f64_e32 v[108:109], v[30:31], v[28:29]
	global_load_dwordx2 v[30:31], v[84:85], off
	global_load_dwordx2 v[28:29], v[82:83], off
	ds_bpermute_b32 v82, v88, v4 offset:12
	ds_bpermute_b32 v83, v88, v5 offset:12
	v_lshl_add_u64 v[74:75], v[42:43], 0, v[102:103]
	v_lshl_add_u64 v[76:77], v[44:45], 0, v[102:103]
	v_mov_b64_e32 v[44:45], v[42:43]
	v_mov_b64_e32 v[42:43], v[40:41]
	;; [unrolled: 1-line block ×19, first 2 shown]
	ds_bpermute_b32 v92, v88, v6 offset:16
	ds_bpermute_b32 v93, v88, v7 offset:16
	s_waitcnt vmcnt(9) lgkmcnt(4)
	v_add_f64 v[84:85], v[26:27], -v[34:35]
	global_load_dwordx2 v[26:27], v[86:87], off
	global_load_dwordx2 v[34:35], v[90:91], off
	s_waitcnt vmcnt(10)
	v_mul_f64 v[84:85], v[14:15], v[84:85]
	ds_bpermute_b32 v90, v88, v6 offset:20
	ds_bpermute_b32 v91, v88, v7 offset:20
	s_waitcnt lgkmcnt(4)
	v_fmac_f64_e32 v[108:109], v[84:85], v[82:83]
	ds_bpermute_b32 v82, v88, v4 offset:16
	ds_bpermute_b32 v83, v88, v5 offset:16
	s_waitcnt vmcnt(9) lgkmcnt(4)
	v_add_f64 v[32:33], v[32:33], -v[92:93]
	ds_bpermute_b32 v92, v88, v4 offset:20
	ds_bpermute_b32 v93, v88, v5 offset:20
	s_waitcnt vmcnt(8)
	v_mul_f64 v[32:33], v[16:17], v[32:33]
	s_waitcnt vmcnt(7) lgkmcnt(4)
	v_add_f64 v[24:25], v[24:25], -v[90:91]
	s_waitcnt lgkmcnt(2)
	v_fmac_f64_e32 v[108:109], v[32:33], v[82:83]
	v_lshl_add_u64 v[82:83], v[50:51], 0, v[102:103]
	s_waitcnt vmcnt(6)
	v_mul_f64 v[24:25], v[18:19], v[24:25]
	global_load_dwordx2 v[78:79], v[78:79], off
	s_nop 0
	global_load_dwordx2 v[38:39], v[38:39], off
	s_waitcnt lgkmcnt(0)
	v_fmac_f64_e32 v[108:109], v[24:25], v[92:93]
	global_load_dwordx2 v[84:85], v[76:77], off
	v_lshl_add_u64 v[86:87], v[48:49], 0, v[102:103]
	scratch_load_dwordx2 v[76:77], off, off offset:216 ; 8-byte Folded Reload
	global_load_dwordx2 v[32:33], v[74:75], off
	s_nop 0
	global_load_dwordx2 v[82:83], v[82:83], off
	ds_bpermute_b32 v74, v88, v6 offset:24
	scratch_load_dwordx2 v[24:25], off, off offset:8 ; 8-byte Folded Reload
	ds_bpermute_b32 v75, v88, v7 offset:24
	v_mov_b64_e32 v[92:93], v[94:95]
	v_mov_b64_e32 v[94:95], v[96:97]
	;; [unrolled: 1-line block ×4, first 2 shown]
	s_waitcnt vmcnt(12) lgkmcnt(0)
	v_add_f64 v[22:23], v[22:23], -v[74:75]
	ds_bpermute_b32 v74, v88, v4 offset:24
	ds_bpermute_b32 v75, v88, v5 offset:24
	s_waitcnt vmcnt(11)
	v_mul_f64 v[22:23], v[20:21], v[22:23]
	v_mov_b64_e32 v[80:81], v[110:111]
	v_mov_b64_e32 v[110:111], v[112:113]
	;; [unrolled: 1-line block ×18, first 2 shown]
	s_waitcnt lgkmcnt(0)
	v_fmac_f64_e32 v[108:109], v[22:23], v[74:75]
	s_waitcnt vmcnt(3)
	v_lshl_add_u64 v[90:91], v[76:77], 0, v[102:103]
	v_mov_b64_e32 v[50:51], v[76:77]
	s_waitcnt vmcnt(0)
	v_lshl_add_u64 v[24:25], v[24:25], 0, v[102:103]
	global_load_dwordx2 v[76:77], v[86:87], off
	s_nop 0
	global_load_dwordx2 v[86:87], v[24:25], off
	s_nop 0
	global_load_dwordx2 v[24:25], v[90:91], off
	scratch_load_dwordx2 v[22:23], off, off offset:16 ; 8-byte Folded Reload
	scratch_load_dwordx2 v[74:75], off, off offset:24 ; 8-byte Folded Reload
	s_waitcnt vmcnt(1)
	v_lshl_add_u64 v[22:23], v[22:23], 0, v[102:103]
	s_waitcnt vmcnt(0)
	v_lshl_add_u64 v[74:75], v[74:75], 0, v[102:103]
	global_load_dwordx2 v[90:91], v[74:75], off
	s_nop 0
	global_load_dwordx2 v[22:23], v[22:23], off
	s_nop 0
	scratch_load_dwordx2 v[74:75], off, off ; 8-byte Folded Reload
	s_waitcnt vmcnt(0)
	v_add_f64 v[74:75], v[74:75], v[8:9]
	v_add_f64 v[10:11], v[74:75], v[10:11]
	scratch_load_dwordx2 v[8:9], off, off offset:32 ; 8-byte Folded Reload
	scratch_load_dwordx2 v[74:75], off, off offset:40 ; 8-byte Folded Reload
	v_add_f64 v[10:11], v[10:11], v[12:13]
	scratch_load_dwordx2 v[12:13], off, off offset:48 ; 8-byte Folded Reload
	v_add_f64 v[14:15], v[10:11], v[14:15]
	;; [unrolled: 2-line block ×3, first 2 shown]
	ds_bpermute_b32 v16, v88, v6 offset:28
	ds_bpermute_b32 v17, v88, v7 offset:28
	v_add_f64 v[14:15], v[14:15], v[18:19]
	v_add_f64 v[14:15], v[14:15], v[20:21]
	ds_bpermute_b32 v18, v88, v4 offset:28
	ds_bpermute_b32 v19, v88, v5 offset:28
	ds_bpermute_b32 v20, v88, v6 offset:32
	ds_bpermute_b32 v21, v88, v7 offset:32
	s_waitcnt lgkmcnt(4)
	v_add_f64 v[16:17], v[30:31], -v[16:17]
	v_mul_f64 v[16:17], v[28:29], v[16:17]
	s_waitcnt lgkmcnt(2)
	v_fmac_f64_e32 v[108:109], v[16:17], v[18:19]
	ds_bpermute_b32 v16, v88, v4 offset:32
	s_waitcnt lgkmcnt(1)
	v_add_f64 v[18:19], v[34:35], -v[20:21]
	ds_bpermute_b32 v17, v88, v5 offset:32
	ds_bpermute_b32 v20, v88, v6 offset:36
	;; [unrolled: 1-line block ×3, first 2 shown]
	v_mul_f64 v[18:19], v[26:27], v[18:19]
	v_add_f64 v[14:15], v[14:15], v[28:29]
	s_waitcnt lgkmcnt(2)
	v_fmac_f64_e32 v[108:109], v[18:19], v[16:17]
	ds_bpermute_b32 v16, v88, v4 offset:36
	ds_bpermute_b32 v17, v88, v5 offset:36
	s_waitcnt lgkmcnt(2)
	v_add_f64 v[18:19], v[78:79], -v[20:21]
	ds_bpermute_b32 v20, v88, v6 offset:40
	ds_bpermute_b32 v21, v88, v7 offset:40
	v_mul_f64 v[18:19], v[38:39], v[18:19]
	s_waitcnt lgkmcnt(2)
	v_fmac_f64_e32 v[108:109], v[18:19], v[16:17]
	ds_bpermute_b32 v16, v88, v4 offset:40
	ds_bpermute_b32 v17, v88, v5 offset:40
	s_waitcnt lgkmcnt(2)
	v_add_f64 v[18:19], v[84:85], -v[20:21]
	ds_bpermute_b32 v20, v88, v6 offset:44
	ds_bpermute_b32 v21, v88, v7 offset:44
	v_mul_f64 v[18:19], v[32:33], v[18:19]
	s_waitcnt lgkmcnt(2)
	v_fmac_f64_e32 v[108:109], v[18:19], v[16:17]
	ds_bpermute_b32 v16, v88, v4 offset:44
	ds_bpermute_b32 v17, v88, v5 offset:44
	s_waitcnt lgkmcnt(2)
	v_add_f64 v[18:19], v[82:83], -v[20:21]
	ds_bpermute_b32 v20, v88, v6 offset:48
	ds_bpermute_b32 v21, v88, v7 offset:48
	v_add_f64 v[14:15], v[14:15], v[26:27]
	ds_bpermute_b32 v26, v88, v4 offset:48
	ds_bpermute_b32 v27, v88, v5 offset:48
	v_mul_f64 v[18:19], v[76:77], v[18:19]
	s_waitcnt lgkmcnt(4)
	v_fmac_f64_e32 v[108:109], v[18:19], v[16:17]
	s_waitcnt lgkmcnt(2)
	v_add_f64 v[16:17], v[86:87], -v[20:21]
	v_mul_f64 v[16:17], v[24:25], v[16:17]
	s_waitcnt lgkmcnt(0)
	v_fmac_f64_e32 v[108:109], v[16:17], v[26:27]
	ds_bpermute_b32 v16, v88, v6 offset:52
	ds_bpermute_b32 v17, v88, v7 offset:52
	v_add_f64 v[14:15], v[14:15], v[38:39]
	ds_bpermute_b32 v18, v88, v4 offset:52
	ds_bpermute_b32 v19, v88, v5 offset:52
	v_add_f64 v[14:15], v[14:15], v[32:33]
	v_add_f64 v[14:15], v[14:15], v[76:77]
	s_waitcnt lgkmcnt(2)
	v_add_f64 v[16:17], v[90:91], -v[16:17]
	v_mul_f64 v[16:17], v[22:23], v[16:17]
	s_waitcnt lgkmcnt(0)
	v_fmac_f64_e32 v[108:109], v[16:17], v[18:19]
	ds_bpermute_b32 v16, v88, v4 offset:56
	ds_bpermute_b32 v17, v88, v5 offset:56
	;; [unrolled: 1-line block ×4, first 2 shown]
	s_waitcnt vmcnt(3)
	v_lshl_add_u64 v[8:9], v[8:9], 0, v[102:103]
	s_waitcnt vmcnt(2)
	v_lshl_add_u64 v[74:75], v[74:75], 0, v[102:103]
	global_load_dwordx2 v[74:75], v[74:75], off
	s_waitcnt vmcnt(2)
	v_lshl_add_u64 v[12:13], v[12:13], 0, v[102:103]
	global_load_dwordx2 v[8:9], v[8:9], off
	s_waitcnt vmcnt(2)
	v_lshl_add_u64 v[10:11], v[10:11], 0, v[102:103]
	global_load_dwordx2 v[10:11], v[10:11], off
	s_nop 0
	global_load_dwordx2 v[34:35], v[12:13], off
	v_add_f64 v[12:13], v[14:15], v[24:25]
	ds_bpermute_b32 v14, v88, v6 offset:56
	ds_bpermute_b32 v15, v88, v7 offset:56
	;; [unrolled: 1-line block ×4, first 2 shown]
	v_add_f64 v[12:13], v[12:13], v[22:23]
	s_waitcnt vmcnt(3) lgkmcnt(2)
	v_add_f64 v[14:15], v[74:75], -v[14:15]
	s_waitcnt vmcnt(2)
	v_mul_f64 v[14:15], v[8:9], v[14:15]
	v_fmac_f64_e32 v[108:109], v[14:15], v[16:17]
	s_waitcnt vmcnt(1) lgkmcnt(0)
	v_add_f64 v[6:7], v[10:11], -v[6:7]
	v_add_f64 v[4:5], v[12:13], v[8:9]
	s_waitcnt vmcnt(0)
	v_mul_f64 v[6:7], v[34:35], v[6:7]
	v_mul_f64 v[6:7], v[6:7], v[18:19]
	v_mov_b64_e32 v[38:39], v[108:109]
.LBB36_88:                              ;   in Loop: Header=BB36_89 Depth=1
	s_add_u32 s20, s20, s3
	v_add_f64 v[90:91], v[4:5], v[34:35]
	s_addc_u32 s21, s21, 0
	v_mov_b64_e32 v[4:5], s[8:9]
	v_cmp_ge_i64_e32 vcc, s[20:21], v[4:5]
	scratch_load_dwordx2 v[4:5], off, off offset:16 ; 8-byte Folded Reload
	s_add_u32 s22, s22, s3
	v_add_f64 v[108:109], v[38:39], v[6:7]
	v_lshl_add_u64 v[104:105], v[104:105], 0, s[6:7]
	v_lshl_add_u64 v[106:107], v[106:107], 0, s[6:7]
	s_addc_u32 s23, s23, 0
	v_lshl_add_u64 v[92:93], v[92:93], 0, s[6:7]
	v_lshl_add_u64 v[94:95], v[94:95], 0, s[6:7]
	;; [unrolled: 1-line block ×34, first 2 shown]
	s_and_b64 vcc, exec, vcc
	s_waitcnt vmcnt(0)
	v_lshl_add_u64 v[4:5], v[4:5], 0, s[6:7]
	scratch_store_dwordx2 off, v[4:5], off offset:16 ; 8-byte Folded Spill
	scratch_load_dwordx2 v[4:5], off, off offset:32 ; 8-byte Folded Reload
	s_waitcnt vmcnt(0)
	v_lshl_add_u64 v[4:5], v[4:5], 0, s[6:7]
	scratch_store_dwordx2 off, v[4:5], off offset:32 ; 8-byte Folded Spill
	scratch_load_dwordx2 v[4:5], off, off offset:48 ; 8-byte Folded Reload
	;; [unrolled: 4-line block ×25, first 2 shown]
	s_waitcnt vmcnt(0)
	v_lshl_add_u64 v[4:5], v[4:5], 0, s[6:7]
	scratch_store_dwordx2 off, v[4:5], off offset:208 ; 8-byte Folded Spill
	s_cbranch_vccnz .LBB36_131
.LBB36_89:                              ; =>This Inner Loop Header: Depth=1
	v_mov_b64_e32 v[4:5], s[8:9]
	v_cmp_ge_i64_e32 vcc, s[22:23], v[4:5]
	scratch_load_dwordx2 v[4:5], off, off offset:304 ; 8-byte Folded Reload
	s_mov_b64 s[54:55], -1
	s_and_b64 vcc, exec, vcc
                                        ; implicit-def: $vgpr34_vgpr35
                                        ; implicit-def: $vgpr6_vgpr7
                                        ; implicit-def: $vgpr38_vgpr39
	s_waitcnt vmcnt(0)
	v_lshl_add_u64 v[74:75], v[4:5], 0, s[22:23]
                                        ; implicit-def: $vgpr4_vgpr5
	s_cbranch_vccz .LBB36_127
; %bb.90:                               ;   in Loop: Header=BB36_89 Depth=1
	scratch_load_dword v3, off, off offset:312 ; 4-byte Folded Reload
	s_load_dword s33, s[4:5], 0xc
	v_mov_b64_e32 v[38:39], 0
	v_mov_b64_e32 v[78:79], 0
	;; [unrolled: 1-line block ×3, first 2 shown]
	s_waitcnt lgkmcnt(0)
	s_and_b32 s33, s33, 0xffff
	s_waitcnt vmcnt(0)
	v_mad_u32_u24 v3, v3, s33, v89
	v_and_b32_e32 v4, 63, v3
	v_cmp_gt_u32_e32 vcc, 16, v4
	s_and_saveexec_b64 s[54:55], vcc
	s_cbranch_execz .LBB36_94
; %bb.91:                               ;   in Loop: Header=BB36_89 Depth=1
	v_mov_b32_e32 v5, v2
	v_lshl_add_u64 v[4:5], v[74:75], 0, v[4:5]
	v_lshl_add_u64 v[4:5], v[4:5], 0, s[12:13]
	v_cmp_gt_i64_e32 vcc, s[8:9], v[4:5]
	v_mov_b64_e32 v[76:77], 0
	v_mov_b64_e32 v[78:79], 0
	s_and_saveexec_b64 s[56:57], vcc
	s_cbranch_execz .LBB36_93
; %bb.92:                               ;   in Loop: Header=BB36_89 Depth=1
	v_lshlrev_b64 v[4:5], 3, v[4:5]
	v_lshl_add_u64 v[6:7], s[18:19], 0, v[4:5]
	v_lshl_add_u64 v[4:5], s[16:17], 0, v[4:5]
	global_load_dwordx2 v[76:77], v[4:5], off
	global_load_dwordx2 v[78:79], v[6:7], off
.LBB36_93:                              ;   in Loop: Header=BB36_89 Depth=1
	s_or_b64 exec, exec, s[56:57]
.LBB36_94:                              ;   in Loop: Header=BB36_89 Depth=1
	s_or_b64 exec, exec, s[54:55]
	v_lshl_add_u64 v[4:5], v[74:75], 0, s[12:13]
	v_cmp_gt_i64_e32 vcc, s[8:9], v[4:5]
	v_mov_b32_e32 v4, v2
	v_mov_b32_e32 v5, v2
	;; [unrolled: 1-line block ×31, first 2 shown]
	v_mov_b64_e32 v[34:35], v[32:33]
	v_mov_b64_e32 v[32:33], v[30:31]
	;; [unrolled: 1-line block ×16, first 2 shown]
	s_and_saveexec_b64 s[54:55], vcc
	s_cbranch_execz .LBB36_96
; %bb.95:                               ;   in Loop: Header=BB36_89 Depth=1
	v_lshl_add_u64 v[4:5], v[104:105], 0, v[102:103]
	v_lshl_add_u64 v[6:7], v[106:107], 0, v[102:103]
	global_load_dwordx2 v[4:5], v[4:5], off
	v_mov_b32_e32 v8, v2
	global_load_dwordx2 v[38:39], v[6:7], off
	v_mov_b32_e32 v6, v2
	v_mov_b32_e32 v7, v2
	;; [unrolled: 1-line block ×29, first 2 shown]
.LBB36_96:                              ;   in Loop: Header=BB36_89 Depth=1
	s_or_b64 exec, exec, s[54:55]
	v_lshl_add_u64 v[82:83], v[74:75], 0, s[14:15]
	v_cmp_gt_i64_e32 vcc, s[8:9], v[82:83]
	v_mov_b64_e32 v[82:83], 0
	scratch_store_dwordx2 off, v[82:83], off offset:288 ; 8-byte Folded Spill
	v_mov_b64_e32 v[82:83], 0
	s_and_saveexec_b64 s[54:55], vcc
	s_cbranch_execz .LBB36_98
; %bb.97:                               ;   in Loop: Header=BB36_89 Depth=1
	v_lshl_add_u64 v[6:7], v[70:71], 0, v[102:103]
	v_lshl_add_u64 v[82:83], v[72:73], 0, v[102:103]
	global_load_dwordx2 v[6:7], v[6:7], off
	s_nop 0
	global_load_dwordx2 v[82:83], v[82:83], off
.LBB36_98:                              ;   in Loop: Header=BB36_89 Depth=1
	s_or_b64 exec, exec, s[54:55]
	v_lshl_add_u64 v[84:85], v[74:75], 0, s[24:25]
	v_cmp_gt_i64_e32 vcc, s[8:9], v[84:85]
	s_and_saveexec_b64 s[54:55], vcc
	s_cbranch_execz .LBB36_100
; %bb.99:                               ;   in Loop: Header=BB36_89 Depth=1
	v_lshl_add_u64 v[8:9], v[66:67], 0, v[102:103]
	v_lshl_add_u64 v[84:85], v[68:69], 0, v[102:103]
	global_load_dwordx2 v[8:9], v[8:9], off
	s_nop 0
	global_load_dwordx2 v[84:85], v[84:85], off
	s_waitcnt vmcnt(0)
	scratch_store_dwordx2 off, v[84:85], off offset:288 ; 8-byte Folded Spill
.LBB36_100:                             ;   in Loop: Header=BB36_89 Depth=1
	s_or_b64 exec, exec, s[54:55]
	v_lshl_add_u64 v[84:85], v[74:75], 0, s[26:27]
	v_cmp_gt_i64_e32 vcc, s[8:9], v[84:85]
	v_mov_b64_e32 v[84:85], 0
	scratch_store_dwordx2 off, v[84:85], off offset:272 ; 8-byte Folded Spill
	v_mov_b64_e32 v[84:85], 0
	scratch_store_dwordx2 off, v[84:85], off offset:296 ; 8-byte Folded Spill
	s_and_saveexec_b64 s[54:55], vcc
	s_cbranch_execz .LBB36_102
; %bb.101:                              ;   in Loop: Header=BB36_89 Depth=1
	v_lshl_add_u64 v[10:11], v[62:63], 0, v[102:103]
	v_lshl_add_u64 v[84:85], v[64:65], 0, v[102:103]
	global_load_dwordx2 v[10:11], v[10:11], off
	s_nop 0
	global_load_dwordx2 v[84:85], v[84:85], off
	s_waitcnt vmcnt(0)
	scratch_store_dwordx2 off, v[84:85], off offset:296 ; 8-byte Folded Spill
.LBB36_102:                             ;   in Loop: Header=BB36_89 Depth=1
	s_or_b64 exec, exec, s[54:55]
	v_lshl_add_u64 v[84:85], v[74:75], 0, s[28:29]
	v_cmp_gt_i64_e32 vcc, s[8:9], v[84:85]
	s_and_saveexec_b64 s[54:55], vcc
	s_cbranch_execz .LBB36_104
; %bb.103:                              ;   in Loop: Header=BB36_89 Depth=1
	v_lshl_add_u64 v[12:13], v[58:59], 0, v[102:103]
	v_lshl_add_u64 v[84:85], v[60:61], 0, v[102:103]
	global_load_dwordx2 v[12:13], v[12:13], off
	s_nop 0
	global_load_dwordx2 v[84:85], v[84:85], off
	s_waitcnt vmcnt(0)
	scratch_store_dwordx2 off, v[84:85], off offset:272 ; 8-byte Folded Spill
.LBB36_104:                             ;   in Loop: Header=BB36_89 Depth=1
	s_or_b64 exec, exec, s[54:55]
	v_lshl_add_u64 v[84:85], v[74:75], 0, s[30:31]
	v_cmp_gt_i64_e32 vcc, s[8:9], v[84:85]
	v_mov_b64_e32 v[84:85], 0
	scratch_store_dwordx2 off, v[84:85], off offset:256 ; 8-byte Folded Spill
	v_mov_b64_e32 v[84:85], 0
	scratch_store_dwordx2 off, v[84:85], off offset:280 ; 8-byte Folded Spill
	s_and_saveexec_b64 s[54:55], vcc
	s_cbranch_execz .LBB36_106
; %bb.105:                              ;   in Loop: Header=BB36_89 Depth=1
	v_lshl_add_u64 v[14:15], v[54:55], 0, v[102:103]
	v_lshl_add_u64 v[84:85], v[56:57], 0, v[102:103]
	global_load_dwordx2 v[14:15], v[14:15], off
	s_nop 0
	global_load_dwordx2 v[84:85], v[84:85], off
	s_waitcnt vmcnt(0)
	scratch_store_dwordx2 off, v[84:85], off offset:280 ; 8-byte Folded Spill
.LBB36_106:                             ;   in Loop: Header=BB36_89 Depth=1
	s_or_b64 exec, exec, s[54:55]
	v_lshl_add_u64 v[84:85], v[74:75], 0, s[34:35]
	v_cmp_gt_i64_e32 vcc, s[8:9], v[84:85]
	s_and_saveexec_b64 s[54:55], vcc
	s_cbranch_execz .LBB36_108
; %bb.107:                              ;   in Loop: Header=BB36_89 Depth=1
	scratch_load_dwordx2 v[16:17], off, off offset:208 ; 8-byte Folded Reload
	v_lshl_add_u64 v[84:85], v[52:53], 0, v[102:103]
	global_load_dwordx2 v[84:85], v[84:85], off
	s_waitcnt vmcnt(1)
	v_lshl_add_u64 v[16:17], v[16:17], 0, v[102:103]
	global_load_dwordx2 v[16:17], v[16:17], off
	s_waitcnt vmcnt(1)
	scratch_store_dwordx2 off, v[84:85], off offset:256 ; 8-byte Folded Spill
.LBB36_108:                             ;   in Loop: Header=BB36_89 Depth=1
	s_or_b64 exec, exec, s[54:55]
	v_lshl_add_u64 v[84:85], v[74:75], 0, s[36:37]
	v_cmp_gt_i64_e32 vcc, s[8:9], v[84:85]
	v_mov_b64_e32 v[84:85], 0
	scratch_store_dwordx2 off, v[84:85], off offset:240 ; 8-byte Folded Spill
	v_mov_b64_e32 v[84:85], 0
	scratch_store_dwordx2 off, v[84:85], off offset:264 ; 8-byte Folded Spill
	s_and_saveexec_b64 s[54:55], vcc
	s_cbranch_execz .LBB36_110
; %bb.109:                              ;   in Loop: Header=BB36_89 Depth=1
	scratch_load_dwordx2 v[18:19], off, off offset:192 ; 8-byte Folded Reload
	s_waitcnt vmcnt(0)
	v_lshl_add_u64 v[18:19], v[18:19], 0, v[102:103]
	global_load_dwordx2 v[18:19], v[18:19], off
	s_nop 0
	scratch_load_dwordx2 v[84:85], off, off offset:200 ; 8-byte Folded Reload
	s_waitcnt vmcnt(0)
	v_lshl_add_u64 v[84:85], v[84:85], 0, v[102:103]
	global_load_dwordx2 v[84:85], v[84:85], off
	s_waitcnt vmcnt(0)
	scratch_store_dwordx2 off, v[84:85], off offset:264 ; 8-byte Folded Spill
.LBB36_110:                             ;   in Loop: Header=BB36_89 Depth=1
	s_or_b64 exec, exec, s[54:55]
	v_lshl_add_u64 v[84:85], v[74:75], 0, s[38:39]
	v_cmp_gt_i64_e32 vcc, s[8:9], v[84:85]
	s_and_saveexec_b64 s[54:55], vcc
	s_cbranch_execz .LBB36_112
; %bb.111:                              ;   in Loop: Header=BB36_89 Depth=1
	scratch_load_dwordx2 v[20:21], off, off offset:176 ; 8-byte Folded Reload
	s_waitcnt vmcnt(0)
	v_lshl_add_u64 v[20:21], v[20:21], 0, v[102:103]
	global_load_dwordx2 v[20:21], v[20:21], off
	s_nop 0
	scratch_load_dwordx2 v[84:85], off, off offset:184 ; 8-byte Folded Reload
	s_waitcnt vmcnt(0)
	v_lshl_add_u64 v[84:85], v[84:85], 0, v[102:103]
	global_load_dwordx2 v[84:85], v[84:85], off
	s_waitcnt vmcnt(0)
	scratch_store_dwordx2 off, v[84:85], off offset:240 ; 8-byte Folded Spill
.LBB36_112:                             ;   in Loop: Header=BB36_89 Depth=1
	s_or_b64 exec, exec, s[54:55]
	v_lshl_add_u64 v[84:85], v[74:75], 0, s[40:41]
	v_cmp_gt_i64_e32 vcc, s[8:9], v[84:85]
	v_mov_b64_e32 v[84:85], 0
	scratch_store_dwordx2 off, v[84:85], off offset:224 ; 8-byte Folded Spill
	v_mov_b64_e32 v[84:85], 0
	scratch_store_dwordx2 off, v[84:85], off offset:248 ; 8-byte Folded Spill
	s_and_saveexec_b64 s[54:55], vcc
	s_cbranch_execz .LBB36_114
; %bb.113:                              ;   in Loop: Header=BB36_89 Depth=1
	scratch_load_dwordx2 v[22:23], off, off offset:160 ; 8-byte Folded Reload
	s_waitcnt vmcnt(0)
	v_lshl_add_u64 v[22:23], v[22:23], 0, v[102:103]
	global_load_dwordx2 v[22:23], v[22:23], off
	s_nop 0
	scratch_load_dwordx2 v[84:85], off, off offset:168 ; 8-byte Folded Reload
	s_waitcnt vmcnt(0)
	v_lshl_add_u64 v[84:85], v[84:85], 0, v[102:103]
	global_load_dwordx2 v[84:85], v[84:85], off
	s_waitcnt vmcnt(0)
	scratch_store_dwordx2 off, v[84:85], off offset:248 ; 8-byte Folded Spill
.LBB36_114:                             ;   in Loop: Header=BB36_89 Depth=1
	s_or_b64 exec, exec, s[54:55]
	v_lshl_add_u64 v[84:85], v[74:75], 0, s[42:43]
	v_cmp_gt_i64_e32 vcc, s[8:9], v[84:85]
	s_and_saveexec_b64 s[54:55], vcc
	s_cbranch_execz .LBB36_116
; %bb.115:                              ;   in Loop: Header=BB36_89 Depth=1
	scratch_load_dwordx2 v[24:25], off, off offset:144 ; 8-byte Folded Reload
	s_waitcnt vmcnt(0)
	v_lshl_add_u64 v[24:25], v[24:25], 0, v[102:103]
	global_load_dwordx2 v[24:25], v[24:25], off
	s_nop 0
	scratch_load_dwordx2 v[84:85], off, off offset:152 ; 8-byte Folded Reload
	s_waitcnt vmcnt(0)
	v_lshl_add_u64 v[84:85], v[84:85], 0, v[102:103]
	global_load_dwordx2 v[84:85], v[84:85], off
	s_waitcnt vmcnt(0)
	scratch_store_dwordx2 off, v[84:85], off offset:224 ; 8-byte Folded Spill
.LBB36_116:                             ;   in Loop: Header=BB36_89 Depth=1
	s_or_b64 exec, exec, s[54:55]
	v_lshl_add_u64 v[84:85], v[74:75], 0, s[44:45]
	v_cmp_gt_i64_e32 vcc, s[8:9], v[84:85]
	v_mov_b64_e32 v[84:85], 0
	scratch_store_dwordx2 off, v[84:85], off ; 8-byte Folded Spill
	v_mov_b64_e32 v[84:85], 0
	scratch_store_dwordx2 off, v[84:85], off offset:232 ; 8-byte Folded Spill
	s_and_saveexec_b64 s[54:55], vcc
	s_cbranch_execz .LBB36_118
; %bb.117:                              ;   in Loop: Header=BB36_89 Depth=1
	scratch_load_dwordx2 v[26:27], off, off offset:128 ; 8-byte Folded Reload
	s_waitcnt vmcnt(0)
	v_lshl_add_u64 v[26:27], v[26:27], 0, v[102:103]
	global_load_dwordx2 v[26:27], v[26:27], off
	s_nop 0
	scratch_load_dwordx2 v[84:85], off, off offset:136 ; 8-byte Folded Reload
	s_waitcnt vmcnt(0)
	v_lshl_add_u64 v[84:85], v[84:85], 0, v[102:103]
	global_load_dwordx2 v[84:85], v[84:85], off
	s_waitcnt vmcnt(0)
	scratch_store_dwordx2 off, v[84:85], off offset:232 ; 8-byte Folded Spill
.LBB36_118:                             ;   in Loop: Header=BB36_89 Depth=1
	s_or_b64 exec, exec, s[54:55]
	v_lshl_add_u64 v[84:85], v[74:75], 0, s[46:47]
	v_cmp_gt_i64_e32 vcc, s[8:9], v[84:85]
	s_and_saveexec_b64 s[54:55], vcc
	s_cbranch_execz .LBB36_120
; %bb.119:                              ;   in Loop: Header=BB36_89 Depth=1
	scratch_load_dwordx2 v[28:29], off, off offset:112 ; 8-byte Folded Reload
	s_waitcnt vmcnt(0)
	v_lshl_add_u64 v[28:29], v[28:29], 0, v[102:103]
	global_load_dwordx2 v[28:29], v[28:29], off
	s_nop 0
	scratch_load_dwordx2 v[84:85], off, off offset:120 ; 8-byte Folded Reload
	s_waitcnt vmcnt(0)
	v_lshl_add_u64 v[84:85], v[84:85], 0, v[102:103]
	global_load_dwordx2 v[84:85], v[84:85], off
	s_waitcnt vmcnt(0)
	scratch_store_dwordx2 off, v[84:85], off ; 8-byte Folded Spill
.LBB36_120:                             ;   in Loop: Header=BB36_89 Depth=1
	s_or_b64 exec, exec, s[54:55]
	v_lshl_add_u64 v[84:85], v[74:75], 0, s[48:49]
	v_cmp_gt_i64_e32 vcc, s[8:9], v[84:85]
	v_mov_b64_e32 v[86:87], 0
	v_mov_b64_e32 v[84:85], 0
	scratch_store_dwordx2 off, v[84:85], off offset:216 ; 8-byte Folded Spill
	s_and_saveexec_b64 s[54:55], vcc
	s_cbranch_execz .LBB36_122
; %bb.121:                              ;   in Loop: Header=BB36_89 Depth=1
	scratch_load_dwordx2 v[30:31], off, off offset:96 ; 8-byte Folded Reload
	s_waitcnt vmcnt(0)
	v_lshl_add_u64 v[30:31], v[30:31], 0, v[102:103]
	global_load_dwordx2 v[30:31], v[30:31], off
	s_nop 0
	scratch_load_dwordx2 v[84:85], off, off offset:104 ; 8-byte Folded Reload
	s_waitcnt vmcnt(0)
	v_lshl_add_u64 v[84:85], v[84:85], 0, v[102:103]
	global_load_dwordx2 v[84:85], v[84:85], off
	s_waitcnt vmcnt(0)
	scratch_store_dwordx2 off, v[84:85], off offset:216 ; 8-byte Folded Spill
.LBB36_122:                             ;   in Loop: Header=BB36_89 Depth=1
	s_or_b64 exec, exec, s[54:55]
	v_lshl_add_u64 v[84:85], v[74:75], 0, s[50:51]
	v_cmp_gt_i64_e32 vcc, s[8:9], v[84:85]
	s_and_saveexec_b64 s[54:55], vcc
	s_cbranch_execz .LBB36_124
; %bb.123:                              ;   in Loop: Header=BB36_89 Depth=1
	scratch_load_dwordx2 v[32:33], off, off offset:80 ; 8-byte Folded Reload
	s_waitcnt vmcnt(0)
	v_lshl_add_u64 v[32:33], v[32:33], 0, v[102:103]
	global_load_dwordx2 v[32:33], v[32:33], off
	s_nop 0
	scratch_load_dwordx2 v[84:85], off, off offset:88 ; 8-byte Folded Reload
	s_waitcnt vmcnt(0)
	v_lshl_add_u64 v[84:85], v[84:85], 0, v[102:103]
	global_load_dwordx2 v[86:87], v[84:85], off
.LBB36_124:                             ;   in Loop: Header=BB36_89 Depth=1
	s_or_b64 exec, exec, s[54:55]
	v_lshl_add_u64 v[84:85], v[74:75], 0, s[52:53]
	v_cmp_gt_i64_e32 vcc, s[8:9], v[84:85]
	v_mov_b64_e32 v[84:85], 0
	s_waitcnt vmcnt(0)
	scratch_store_dwordx2 off, v[86:87], off offset:316 ; 8-byte Folded Spill
	s_and_saveexec_b64 s[54:55], vcc
	s_cbranch_execz .LBB36_126
; %bb.125:                              ;   in Loop: Header=BB36_89 Depth=1
	scratch_load_dwordx2 v[34:35], off, off offset:64 ; 8-byte Folded Reload
	s_waitcnt vmcnt(0)
	v_lshl_add_u64 v[34:35], v[34:35], 0, v[102:103]
	global_load_dwordx2 v[34:35], v[34:35], off
	s_nop 0
	scratch_load_dwordx2 v[84:85], off, off offset:72 ; 8-byte Folded Reload
	s_waitcnt vmcnt(0)
	v_lshl_add_u64 v[84:85], v[84:85], 0, v[102:103]
	global_load_dwordx2 v[84:85], v[84:85], off
.LBB36_126:                             ;   in Loop: Header=BB36_89 Depth=1
	s_or_b64 exec, exec, s[54:55]
	ds_bpermute_b32 v86, v88, v76
	ds_bpermute_b32 v87, v88, v77
	s_waitcnt vmcnt(0)
	scratch_store_dwordx2 off, v[84:85], off offset:324 ; 8-byte Folded Spill
	ds_bpermute_b32 v84, v88, v78
	ds_bpermute_b32 v85, v88, v79
	s_mov_b64 s[54:55], 0
	s_waitcnt lgkmcnt(2)
	v_add_f64 v[38:39], v[38:39], -v[86:87]
	ds_bpermute_b32 v86, v88, v76 offset:4
	ds_bpermute_b32 v87, v88, v77 offset:4
	v_mul_f64 v[38:39], v[4:5], v[38:39]
	s_waitcnt lgkmcnt(2)
	v_fma_f64 v[38:39], v[38:39], v[84:85], v[108:109]
	ds_bpermute_b32 v84, v88, v78 offset:4
	ds_bpermute_b32 v85, v88, v79 offset:4
	s_waitcnt lgkmcnt(2)
	v_add_f64 v[82:83], v[82:83], -v[86:87]
	v_mul_f64 v[82:83], v[6:7], v[82:83]
	v_add_f64 v[4:5], v[90:91], v[4:5]
	v_add_f64 v[4:5], v[6:7], v[4:5]
	s_waitcnt lgkmcnt(0)
	v_fmac_f64_e32 v[38:39], v[82:83], v[84:85]
	scratch_load_dwordx2 v[84:85], off, off offset:288 ; 8-byte Folded Reload
	ds_bpermute_b32 v82, v88, v76 offset:8
	ds_bpermute_b32 v83, v88, v77 offset:8
	;; [unrolled: 1-line block ×4, first 2 shown]
	v_add_f64 v[4:5], v[8:9], v[4:5]
	v_add_f64 v[4:5], v[10:11], v[4:5]
	;; [unrolled: 1-line block ×13, first 2 shown]
	s_waitcnt vmcnt(0) lgkmcnt(2)
	v_add_f64 v[82:83], v[84:85], -v[82:83]
	v_mul_f64 v[82:83], v[8:9], v[82:83]
	s_waitcnt lgkmcnt(0)
	v_fmac_f64_e32 v[38:39], v[82:83], v[6:7]
	scratch_load_dwordx2 v[82:83], off, off offset:296 ; 8-byte Folded Reload
	ds_bpermute_b32 v8, v88, v76 offset:12
	ds_bpermute_b32 v9, v88, v77 offset:12
	;; [unrolled: 1-line block ×4, first 2 shown]
	s_waitcnt vmcnt(0) lgkmcnt(2)
	v_add_f64 v[8:9], v[82:83], -v[8:9]
	v_mul_f64 v[8:9], v[10:11], v[8:9]
	scratch_load_dwordx2 v[10:11], off, off offset:272 ; 8-byte Folded Reload
	s_waitcnt lgkmcnt(0)
	v_fmac_f64_e32 v[38:39], v[8:9], v[6:7]
	ds_bpermute_b32 v8, v88, v76 offset:16
	ds_bpermute_b32 v9, v88, v77 offset:16
	ds_bpermute_b32 v6, v88, v78 offset:16
	ds_bpermute_b32 v7, v88, v79 offset:16
	s_waitcnt vmcnt(0) lgkmcnt(2)
	v_add_f64 v[8:9], v[10:11], -v[8:9]
	scratch_load_dwordx2 v[10:11], off, off offset:280 ; 8-byte Folded Reload
	v_mul_f64 v[8:9], v[12:13], v[8:9]
	s_waitcnt lgkmcnt(0)
	v_fmac_f64_e32 v[38:39], v[8:9], v[6:7]
	ds_bpermute_b32 v8, v88, v76 offset:20
	ds_bpermute_b32 v9, v88, v77 offset:20
	ds_bpermute_b32 v6, v88, v78 offset:20
	ds_bpermute_b32 v7, v88, v79 offset:20
	s_waitcnt vmcnt(0) lgkmcnt(2)
	v_add_f64 v[8:9], v[10:11], -v[8:9]
	scratch_load_dwordx2 v[10:11], off, off offset:256 ; 8-byte Folded Reload
	v_mul_f64 v[8:9], v[14:15], v[8:9]
	;; [unrolled: 10-line block ×7, first 2 shown]
	s_waitcnt lgkmcnt(0)
	v_fmac_f64_e32 v[38:39], v[8:9], v[6:7]
	ds_bpermute_b32 v8, v88, v76 offset:44
	ds_bpermute_b32 v9, v88, v77 offset:44
	;; [unrolled: 1-line block ×4, first 2 shown]
	s_waitcnt vmcnt(0) lgkmcnt(2)
	v_add_f64 v[8:9], v[10:11], -v[8:9]
	scratch_load_dwordx2 v[10:11], off, off ; 8-byte Folded Reload
	v_mul_f64 v[8:9], v[26:27], v[8:9]
	s_waitcnt lgkmcnt(0)
	v_fmac_f64_e32 v[38:39], v[8:9], v[6:7]
	ds_bpermute_b32 v8, v88, v76 offset:48
	ds_bpermute_b32 v9, v88, v77 offset:48
	ds_bpermute_b32 v6, v88, v78 offset:48
	ds_bpermute_b32 v7, v88, v79 offset:48
	s_waitcnt vmcnt(0) lgkmcnt(2)
	v_add_f64 v[8:9], v[10:11], -v[8:9]
	scratch_load_dwordx2 v[10:11], off, off offset:216 ; 8-byte Folded Reload
	v_mul_f64 v[8:9], v[28:29], v[8:9]
	s_waitcnt lgkmcnt(0)
	v_fmac_f64_e32 v[38:39], v[8:9], v[6:7]
	ds_bpermute_b32 v8, v88, v76 offset:52
	ds_bpermute_b32 v9, v88, v77 offset:52
	ds_bpermute_b32 v6, v88, v78 offset:52
	ds_bpermute_b32 v7, v88, v79 offset:52
	s_waitcnt vmcnt(0) lgkmcnt(2)
	v_add_f64 v[8:9], v[10:11], -v[8:9]
	scratch_load_dwordx2 v[10:11], off, off offset:316 ; 8-byte Folded Reload
	;; [unrolled: 10-line block ×3, first 2 shown]
	v_mul_f64 v[8:9], v[32:33], v[8:9]
	s_waitcnt lgkmcnt(0)
	v_fmac_f64_e32 v[38:39], v[8:9], v[6:7]
	ds_bpermute_b32 v8, v88, v76 offset:60
	ds_bpermute_b32 v9, v88, v77 offset:60
	ds_bpermute_b32 v6, v88, v78 offset:60
	ds_bpermute_b32 v7, v88, v79 offset:60
	s_waitcnt vmcnt(0) lgkmcnt(2)
	v_add_f64 v[8:9], v[10:11], -v[8:9]
	v_mul_f64 v[8:9], v[34:35], v[8:9]
	s_waitcnt lgkmcnt(0)
	v_mul_f64 v[6:7], v[8:9], v[6:7]
.LBB36_127:                             ;   in Loop: Header=BB36_89 Depth=1
	s_and_b64 vcc, exec, s[54:55]
	s_cbranch_vccz .LBB36_88
; %bb.128:                              ;   in Loop: Header=BB36_89 Depth=1
	s_load_dword s33, s[4:5], 0x0
	scratch_load_dword v6, off, off offset:312 ; 4-byte Folded Reload
	v_mov_b64_e32 v[4:5], 0
	scratch_store_dwordx2 off, v[50:51], off offset:216 ; 8-byte Folded Spill
	v_mov_b64_e32 v[50:51], v[48:49]
	s_waitcnt lgkmcnt(0)
	s_cmp_lt_u32 s2, s33
	s_cselect_b32 s33, 12, 18
	s_add_u32 s54, s4, s33
	s_addc_u32 s55, s5, 0
	global_load_ushort v3, v2, s[54:55]
	v_mov_b64_e32 v[48:49], v[46:47]
	scratch_store_dwordx2 off, v[90:91], off ; 8-byte Folded Spill
	s_waitcnt vmcnt(1)
	v_mad_u32_u24 v3, v6, v3, v89
	v_and_b32_e32 v8, 63, v3
	v_cmp_gt_u32_e32 vcc, 16, v8
	v_mov_b64_e32 v[6:7], 0
	s_and_saveexec_b64 s[54:55], vcc
	s_cbranch_execz .LBB36_87
; %bb.129:                              ;   in Loop: Header=BB36_89 Depth=1
	v_mov_b32_e32 v9, v2
	v_lshl_add_u64 v[4:5], v[74:75], 0, v[8:9]
	v_lshl_add_u64 v[8:9], v[4:5], 0, s[12:13]
	v_cmp_gt_i64_e32 vcc, s[8:9], v[8:9]
	v_mov_b64_e32 v[6:7], 0
	v_mov_b64_e32 v[4:5], 0
	s_and_saveexec_b64 s[56:57], vcc
	s_cbranch_execz .LBB36_86
; %bb.130:                              ;   in Loop: Header=BB36_89 Depth=1
	v_lshlrev_b64 v[4:5], 3, v[8:9]
	v_lshl_add_u64 v[8:9], s[18:19], 0, v[4:5]
	v_lshl_add_u64 v[4:5], s[16:17], 0, v[4:5]
	global_load_dwordx2 v[6:7], v[4:5], off
	s_nop 0
	global_load_dwordx2 v[4:5], v[8:9], off
	s_branch .LBB36_86
.LBB36_131:
	scratch_load_dword v45, off, off offset:332 ; 4-byte Folded Reload
.LBB36_132:
	s_waitcnt vmcnt(0)
	v_and_b32_e32 v1, 0x3ff, v45
	v_bfe_u32 v0, v45, 10, 10
	s_movk_i32 s3, 0x41
	v_mad_u32_u24 v2, v0, s3, v1
	v_lshl_add_u32 v2, v2, 3, 0
	ds_write_b64 v2, v[108:109]
	ds_write_b64 v2, v[90:91] offset:8320
	v_bfe_u32 v2, v45, 6, 4
	v_add_u32_e32 v0, v2, v0
	v_cmp_gt_u32_e32 vcc, 64, v0
	s_waitcnt lgkmcnt(0)
	s_barrier
	s_and_saveexec_b64 s[4:5], vcc
	s_cbranch_execz .LBB36_164
; %bb.133:
	s_load_dwordx4 s[4:7], s[0:1], 0x30
	v_and_b32_e32 v2, 63, v1
	v_cmp_gt_u32_e64 s[0:1], 16, v2
	v_mul_u32_u24_e32 v8, 0x41, v2
                                        ; implicit-def: $vgpr2_vgpr3
                                        ; implicit-def: $vgpr4_vgpr5
	s_and_saveexec_b64 s[8:9], s[0:1]
	s_cbranch_execz .LBB36_135
; %bb.134:
	v_add_u32_e32 v2, v0, v8
	v_lshl_add_u32 v2, v2, 3, 0
	ds_read_b64 v[4:5], v2
	ds_read_b64 v[2:3], v2 offset:8320
.LBB36_135:
	s_or_b64 exec, exec, s[8:9]
	v_mbcnt_lo_u32_b32 v6, -1, 0
	v_mbcnt_hi_u32_b32 v14, -1, v6
	v_and_b32_e32 v6, 64, v14
	v_add_u32_e32 v15, 64, v6
	v_xor_b32_e32 v6, 8, v14
	v_cmp_lt_i32_e32 vcc, v6, v15
	s_mov_b32 s3, 0
	s_lshl_b64 s[8:9], s[2:3], 6
	v_cndmask_b32_e32 v6, v14, v6, vcc
	v_lshlrev_b32_e32 v9, 2, v6
	s_waitcnt lgkmcnt(0)
	ds_bpermute_b32 v6, v9, v4
	ds_bpermute_b32 v7, v9, v5
	;; [unrolled: 1-line block ×4, first 2 shown]
	v_cmp_eq_u32_e64 s[2:3], 0, v1
	v_xor_b32_e32 v1, 1, v14
	s_waitcnt lgkmcnt(2)
	v_add_f64 v[4:5], v[4:5], v[6:7]
	v_xor_b32_e32 v6, 4, v14
	v_cmp_lt_i32_e32 vcc, v6, v15
	s_waitcnt lgkmcnt(0)
	v_add_f64 v[2:3], v[2:3], v[10:11]
	s_cmp_lg_u64 s[4:5], 0
	v_cndmask_b32_e32 v6, v14, v6, vcc
	v_lshlrev_b32_e32 v10, 2, v6
	ds_bpermute_b32 v6, v10, v4
	ds_bpermute_b32 v7, v10, v5
	;; [unrolled: 1-line block ×4, first 2 shown]
	s_cselect_b64 s[14:15], -1, 0
	s_cmp_lg_u64 s[6:7], 0
	s_waitcnt lgkmcnt(2)
	v_add_f64 v[4:5], v[4:5], v[6:7]
	v_xor_b32_e32 v6, 2, v14
	v_cmp_lt_i32_e32 vcc, v6, v15
	s_waitcnt lgkmcnt(0)
	v_add_f64 v[2:3], v[2:3], v[12:13]
	s_cselect_b64 s[12:13], -1, 0
	v_cndmask_b32_e32 v6, v14, v6, vcc
	v_lshlrev_b32_e32 v11, 2, v6
	ds_bpermute_b32 v6, v11, v4
	ds_bpermute_b32 v7, v11, v5
	;; [unrolled: 1-line block ×4, first 2 shown]
	v_cmp_lt_i32_e32 vcc, v1, v15
	s_waitcnt lgkmcnt(2)
	v_add_f64 v[4:5], v[4:5], v[6:7]
	v_cndmask_b32_e32 v1, v14, v1, vcc
	s_waitcnt lgkmcnt(0)
	v_add_f64 v[6:7], v[2:3], v[12:13]
	v_lshlrev_b32_e32 v12, 2, v1
	ds_bpermute_b32 v2, v12, v4
	ds_bpermute_b32 v3, v12, v5
	;; [unrolled: 1-line block ×4, first 2 shown]
	v_mov_b32_e32 v1, 0
	s_waitcnt lgkmcnt(2)
	v_add_f64 v[2:3], v[4:5], v[2:3]
	s_waitcnt lgkmcnt(0)
	v_add_f64 v[4:5], v[6:7], v[14:15]
	v_or_b32_e32 v6, s8, v0
	v_mov_b32_e32 v7, s9
	v_cmp_gt_i64_e32 vcc, s[10:11], v[6:7]
	s_and_b64 s[18:19], s[2:3], vcc
	s_and_saveexec_b64 s[16:17], s[18:19]
	s_cbranch_execz .LBB36_140
; %bb.136:
	s_andn2_b64 vcc, exec, s[14:15]
	s_cbranch_vccnz .LBB36_138
; %bb.137:
	v_lshl_add_u64 v[14:15], v[6:7], 3, s[4:5]
	global_store_dwordx2 v[14:15], v[2:3], off
.LBB36_138:
	s_andn2_b64 vcc, exec, s[12:13]
	s_cbranch_vccnz .LBB36_140
; %bb.139:
	v_lshl_add_u64 v[6:7], v[6:7], 3, s[6:7]
	global_store_dwordx2 v[6:7], v[4:5], off
.LBB36_140:
	s_or_b64 exec, exec, s[16:17]
	v_cmp_gt_u32_e32 vcc, 48, v0
	s_and_b64 exec, exec, vcc
	s_cbranch_execz .LBB36_164
; %bb.141:
	s_and_saveexec_b64 s[16:17], s[0:1]
	s_cbranch_execz .LBB36_143
; %bb.142:
	v_add_u32_e32 v2, v0, v8
	v_lshl_add_u32 v4, v2, 3, 0
	ds_read_b64 v[2:3], v4 offset:128
	ds_read_b64 v[4:5], v4 offset:8448
.LBB36_143:
	s_or_b64 exec, exec, s[16:17]
	s_waitcnt lgkmcnt(1)
	ds_bpermute_b32 v6, v9, v2
	ds_bpermute_b32 v7, v9, v3
	s_waitcnt lgkmcnt(2)
	ds_bpermute_b32 v14, v9, v4
	ds_bpermute_b32 v15, v9, v5
	v_add_u32_e32 v16, 16, v0
	v_mov_b32_e32 v17, 0
	s_waitcnt lgkmcnt(2)
	v_add_f64 v[2:3], v[2:3], v[6:7]
	ds_bpermute_b32 v6, v10, v2
	ds_bpermute_b32 v7, v10, v3
	s_waitcnt lgkmcnt(2)
	v_add_f64 v[4:5], v[4:5], v[14:15]
	ds_bpermute_b32 v14, v10, v4
	ds_bpermute_b32 v15, v10, v5
	;; [unrolled: 4-line block ×6, first 2 shown]
	s_waitcnt lgkmcnt(2)
	v_add_f64 v[2:3], v[2:3], v[6:7]
	v_lshl_add_u64 v[6:7], s[8:9], 0, v[16:17]
	v_cmp_gt_i64_e32 vcc, s[10:11], v[6:7]
	s_waitcnt lgkmcnt(0)
	v_add_f64 v[4:5], v[4:5], v[14:15]
	s_and_b64 s[18:19], s[2:3], vcc
	s_and_saveexec_b64 s[16:17], s[18:19]
	s_cbranch_execz .LBB36_148
; %bb.144:
	s_andn2_b64 vcc, exec, s[14:15]
	s_cbranch_vccnz .LBB36_146
; %bb.145:
	v_lshl_add_u64 v[6:7], s[8:9], 0, v[0:1]
	v_lshl_add_u64 v[6:7], v[6:7], 3, s[4:5]
	global_store_dwordx2 v[6:7], v[2:3], off offset:128
.LBB36_146:
	s_andn2_b64 vcc, exec, s[12:13]
	s_cbranch_vccnz .LBB36_148
; %bb.147:
	v_lshl_add_u64 v[6:7], s[8:9], 0, v[0:1]
	v_lshl_add_u64 v[6:7], v[6:7], 3, s[6:7]
	global_store_dwordx2 v[6:7], v[4:5], off offset:128
.LBB36_148:
	s_or_b64 exec, exec, s[16:17]
	v_cmp_gt_u32_e32 vcc, 32, v0
	s_and_b64 exec, exec, vcc
	s_cbranch_execz .LBB36_164
; %bb.149:
	s_and_saveexec_b64 s[16:17], s[0:1]
	s_cbranch_execz .LBB36_151
; %bb.150:
	v_add_u32_e32 v2, v0, v8
	v_lshl_add_u32 v4, v2, 3, 0
	ds_read_b64 v[2:3], v4 offset:256
	ds_read_b64 v[4:5], v4 offset:8576
.LBB36_151:
	s_or_b64 exec, exec, s[16:17]
	s_waitcnt lgkmcnt(1)
	ds_bpermute_b32 v6, v9, v2
	ds_bpermute_b32 v7, v9, v3
	s_waitcnt lgkmcnt(2)
	ds_bpermute_b32 v14, v9, v4
	ds_bpermute_b32 v15, v9, v5
	v_add_u32_e32 v13, 32, v0
	s_waitcnt lgkmcnt(2)
	v_add_f64 v[2:3], v[2:3], v[6:7]
	ds_bpermute_b32 v6, v10, v2
	ds_bpermute_b32 v7, v10, v3
	s_waitcnt lgkmcnt(2)
	v_add_f64 v[4:5], v[4:5], v[14:15]
	ds_bpermute_b32 v14, v10, v4
	ds_bpermute_b32 v15, v10, v5
	;; [unrolled: 4-line block ×6, first 2 shown]
	s_waitcnt lgkmcnt(2)
	v_add_f64 v[2:3], v[2:3], v[6:7]
	v_or_b32_e32 v6, s8, v13
	v_mov_b32_e32 v7, s9
	v_cmp_gt_i64_e32 vcc, s[10:11], v[6:7]
	s_waitcnt lgkmcnt(0)
	v_add_f64 v[4:5], v[4:5], v[14:15]
	s_and_b64 s[18:19], s[2:3], vcc
	s_and_saveexec_b64 s[16:17], s[18:19]
	s_cbranch_execz .LBB36_156
; %bb.152:
	s_andn2_b64 vcc, exec, s[14:15]
	s_cbranch_vccnz .LBB36_154
; %bb.153:
	v_lshl_add_u64 v[6:7], s[8:9], 0, v[0:1]
	v_lshl_add_u64 v[6:7], v[6:7], 3, s[4:5]
	global_store_dwordx2 v[6:7], v[2:3], off offset:256
.LBB36_154:
	s_andn2_b64 vcc, exec, s[12:13]
	s_cbranch_vccnz .LBB36_156
; %bb.155:
	v_lshl_add_u64 v[6:7], s[8:9], 0, v[0:1]
	v_lshl_add_u64 v[6:7], v[6:7], 3, s[6:7]
	global_store_dwordx2 v[6:7], v[4:5], off offset:256
.LBB36_156:
	s_or_b64 exec, exec, s[16:17]
	v_cmp_gt_u32_e32 vcc, 16, v0
	s_and_b64 exec, exec, vcc
	s_cbranch_execz .LBB36_164
; %bb.157:
	s_and_saveexec_b64 s[16:17], s[0:1]
	s_cbranch_execz .LBB36_159
; %bb.158:
	v_add_u32_e32 v2, v0, v8
	v_lshl_add_u32 v4, v2, 3, 0
	ds_read_b64 v[2:3], v4 offset:384
	ds_read_b64 v[4:5], v4 offset:8704
.LBB36_159:
	s_or_b64 exec, exec, s[16:17]
	s_waitcnt lgkmcnt(1)
	ds_bpermute_b32 v6, v9, v2
	ds_bpermute_b32 v7, v9, v3
	s_waitcnt lgkmcnt(2)
	ds_bpermute_b32 v8, v9, v4
	ds_bpermute_b32 v9, v9, v5
	s_waitcnt lgkmcnt(2)
	v_add_f64 v[2:3], v[2:3], v[6:7]
	ds_bpermute_b32 v6, v10, v2
	s_waitcnt lgkmcnt(1)
	v_add_f64 v[4:5], v[4:5], v[8:9]
	ds_bpermute_b32 v7, v10, v3
	ds_bpermute_b32 v8, v10, v4
	;; [unrolled: 1-line block ×3, first 2 shown]
	v_add_u32_e32 v10, 48, v0
	v_or_b32_e32 v10, s8, v10
	s_waitcnt lgkmcnt(2)
	v_add_f64 v[2:3], v[2:3], v[6:7]
	ds_bpermute_b32 v6, v11, v2
	s_waitcnt lgkmcnt(1)
	v_add_f64 v[4:5], v[4:5], v[8:9]
	ds_bpermute_b32 v7, v11, v3
	ds_bpermute_b32 v8, v11, v4
	ds_bpermute_b32 v9, v11, v5
	v_mov_b32_e32 v11, s9
	v_cmp_gt_i64_e32 vcc, s[10:11], v[10:11]
	s_waitcnt lgkmcnt(2)
	v_add_f64 v[6:7], v[2:3], v[6:7]
	s_and_b64 s[0:1], s[2:3], vcc
	s_waitcnt lgkmcnt(0)
	v_add_f64 v[2:3], v[4:5], v[8:9]
	ds_bpermute_b32 v8, v12, v6
	ds_bpermute_b32 v9, v12, v7
	ds_bpermute_b32 v4, v12, v2
	ds_bpermute_b32 v5, v12, v3
	s_and_b64 exec, exec, s[0:1]
	s_cbranch_execz .LBB36_164
; %bb.160:
	s_andn2_b64 vcc, exec, s[14:15]
	v_lshl_add_u64 v[0:1], s[8:9], 0, v[0:1]
	s_cbranch_vccnz .LBB36_162
; %bb.161:
	s_waitcnt lgkmcnt(2)
	v_add_f64 v[6:7], v[6:7], v[8:9]
	v_lshl_add_u64 v[8:9], v[0:1], 3, s[4:5]
	global_store_dwordx2 v[8:9], v[6:7], off offset:384
.LBB36_162:
	s_andn2_b64 vcc, exec, s[12:13]
	s_cbranch_vccnz .LBB36_164
; %bb.163:
	s_waitcnt lgkmcnt(0)
	v_add_f64 v[2:3], v[2:3], v[4:5]
	v_lshl_add_u64 v[0:1], v[0:1], 3, s[6:7]
	global_store_dwordx2 v[0:1], v[2:3], off offset:384
.LBB36_164:
	s_endpgm
	.section	.rodata,"a",@progbits
	.p2align	6, 0x0
	.amdhsa_kernel _ZN2at6native12_GLOBAL__N_135GammaBetaBackwardCUDAKernelTemplateIddLj64ELj16ELj256ELb0ELb0ELb0EEEvllPKT_S5_PKT0_S8_PS3_S9_
		.amdhsa_group_segment_fixed_size 0
		.amdhsa_private_segment_fixed_size 340
		.amdhsa_kernarg_size 320
		.amdhsa_user_sgpr_count 2
		.amdhsa_user_sgpr_dispatch_ptr 0
		.amdhsa_user_sgpr_queue_ptr 0
		.amdhsa_user_sgpr_kernarg_segment_ptr 1
		.amdhsa_user_sgpr_dispatch_id 0
		.amdhsa_user_sgpr_kernarg_preload_length 0
		.amdhsa_user_sgpr_kernarg_preload_offset 0
		.amdhsa_user_sgpr_private_segment_size 0
		.amdhsa_uses_dynamic_stack 0
		.amdhsa_enable_private_segment 1
		.amdhsa_system_sgpr_workgroup_id_x 1
		.amdhsa_system_sgpr_workgroup_id_y 1
		.amdhsa_system_sgpr_workgroup_id_z 0
		.amdhsa_system_sgpr_workgroup_info 0
		.amdhsa_system_vgpr_workitem_id 1
		.amdhsa_next_free_vgpr 128
		.amdhsa_next_free_sgpr 68
		.amdhsa_accum_offset 128
		.amdhsa_reserve_vcc 1
		.amdhsa_float_round_mode_32 0
		.amdhsa_float_round_mode_16_64 0
		.amdhsa_float_denorm_mode_32 3
		.amdhsa_float_denorm_mode_16_64 3
		.amdhsa_dx10_clamp 1
		.amdhsa_ieee_mode 1
		.amdhsa_fp16_overflow 0
		.amdhsa_tg_split 0
		.amdhsa_exception_fp_ieee_invalid_op 0
		.amdhsa_exception_fp_denorm_src 0
		.amdhsa_exception_fp_ieee_div_zero 0
		.amdhsa_exception_fp_ieee_overflow 0
		.amdhsa_exception_fp_ieee_underflow 0
		.amdhsa_exception_fp_ieee_inexact 0
		.amdhsa_exception_int_div_zero 0
	.end_amdhsa_kernel
	.section	.text._ZN2at6native12_GLOBAL__N_135GammaBetaBackwardCUDAKernelTemplateIddLj64ELj16ELj256ELb0ELb0ELb0EEEvllPKT_S5_PKT0_S8_PS3_S9_,"axG",@progbits,_ZN2at6native12_GLOBAL__N_135GammaBetaBackwardCUDAKernelTemplateIddLj64ELj16ELj256ELb0ELb0ELb0EEEvllPKT_S5_PKT0_S8_PS3_S9_,comdat
.Lfunc_end36:
	.size	_ZN2at6native12_GLOBAL__N_135GammaBetaBackwardCUDAKernelTemplateIddLj64ELj16ELj256ELb0ELb0ELb0EEEvllPKT_S5_PKT0_S8_PS3_S9_, .Lfunc_end36-_ZN2at6native12_GLOBAL__N_135GammaBetaBackwardCUDAKernelTemplateIddLj64ELj16ELj256ELb0ELb0ELb0EEEvllPKT_S5_PKT0_S8_PS3_S9_
                                        ; -- End function
	.set _ZN2at6native12_GLOBAL__N_135GammaBetaBackwardCUDAKernelTemplateIddLj64ELj16ELj256ELb0ELb0ELb0EEEvllPKT_S5_PKT0_S8_PS3_S9_.num_vgpr, 128
	.set _ZN2at6native12_GLOBAL__N_135GammaBetaBackwardCUDAKernelTemplateIddLj64ELj16ELj256ELb0ELb0ELb0EEEvllPKT_S5_PKT0_S8_PS3_S9_.num_agpr, 0
	.set _ZN2at6native12_GLOBAL__N_135GammaBetaBackwardCUDAKernelTemplateIddLj64ELj16ELj256ELb0ELb0ELb0EEEvllPKT_S5_PKT0_S8_PS3_S9_.numbered_sgpr, 68
	.set _ZN2at6native12_GLOBAL__N_135GammaBetaBackwardCUDAKernelTemplateIddLj64ELj16ELj256ELb0ELb0ELb0EEEvllPKT_S5_PKT0_S8_PS3_S9_.num_named_barrier, 0
	.set _ZN2at6native12_GLOBAL__N_135GammaBetaBackwardCUDAKernelTemplateIddLj64ELj16ELj256ELb0ELb0ELb0EEEvllPKT_S5_PKT0_S8_PS3_S9_.private_seg_size, 340
	.set _ZN2at6native12_GLOBAL__N_135GammaBetaBackwardCUDAKernelTemplateIddLj64ELj16ELj256ELb0ELb0ELb0EEEvllPKT_S5_PKT0_S8_PS3_S9_.uses_vcc, 1
	.set _ZN2at6native12_GLOBAL__N_135GammaBetaBackwardCUDAKernelTemplateIddLj64ELj16ELj256ELb0ELb0ELb0EEEvllPKT_S5_PKT0_S8_PS3_S9_.uses_flat_scratch, 0
	.set _ZN2at6native12_GLOBAL__N_135GammaBetaBackwardCUDAKernelTemplateIddLj64ELj16ELj256ELb0ELb0ELb0EEEvllPKT_S5_PKT0_S8_PS3_S9_.has_dyn_sized_stack, 0
	.set _ZN2at6native12_GLOBAL__N_135GammaBetaBackwardCUDAKernelTemplateIddLj64ELj16ELj256ELb0ELb0ELb0EEEvllPKT_S5_PKT0_S8_PS3_S9_.has_recursion, 0
	.set _ZN2at6native12_GLOBAL__N_135GammaBetaBackwardCUDAKernelTemplateIddLj64ELj16ELj256ELb0ELb0ELb0EEEvllPKT_S5_PKT0_S8_PS3_S9_.has_indirect_call, 0
	.section	.AMDGPU.csdata,"",@progbits
; Kernel info:
; codeLenInByte = 17836
; TotalNumSgprs: 74
; NumVgprs: 128
; NumAgprs: 0
; TotalNumVgprs: 128
; ScratchSize: 340
; MemoryBound: 0
; FloatMode: 240
; IeeeMode: 1
; LDSByteSize: 0 bytes/workgroup (compile time only)
; SGPRBlocks: 9
; VGPRBlocks: 15
; NumSGPRsForWavesPerEU: 74
; NumVGPRsForWavesPerEU: 128
; AccumOffset: 128
; Occupancy: 4
; WaveLimiterHint : 0
; COMPUTE_PGM_RSRC2:SCRATCH_EN: 1
; COMPUTE_PGM_RSRC2:USER_SGPR: 2
; COMPUTE_PGM_RSRC2:TRAP_HANDLER: 0
; COMPUTE_PGM_RSRC2:TGID_X_EN: 1
; COMPUTE_PGM_RSRC2:TGID_Y_EN: 1
; COMPUTE_PGM_RSRC2:TGID_Z_EN: 0
; COMPUTE_PGM_RSRC2:TIDIG_COMP_CNT: 1
; COMPUTE_PGM_RSRC3_GFX90A:ACCUM_OFFSET: 31
; COMPUTE_PGM_RSRC3_GFX90A:TG_SPLIT: 0
	.section	.text._ZN2at6native12_GLOBAL__N_135GammaBetaBackwardCUDAKernelTemplateIddLj32ELj1ELj32ELb1ELb1ELb0EEEvllPKT_S5_PKT0_S8_PS3_S9_,"axG",@progbits,_ZN2at6native12_GLOBAL__N_135GammaBetaBackwardCUDAKernelTemplateIddLj32ELj1ELj32ELb1ELb1ELb0EEEvllPKT_S5_PKT0_S8_PS3_S9_,comdat
	.globl	_ZN2at6native12_GLOBAL__N_135GammaBetaBackwardCUDAKernelTemplateIddLj32ELj1ELj32ELb1ELb1ELb0EEEvllPKT_S5_PKT0_S8_PS3_S9_ ; -- Begin function _ZN2at6native12_GLOBAL__N_135GammaBetaBackwardCUDAKernelTemplateIddLj32ELj1ELj32ELb1ELb1ELb0EEEvllPKT_S5_PKT0_S8_PS3_S9_
	.p2align	8
	.type	_ZN2at6native12_GLOBAL__N_135GammaBetaBackwardCUDAKernelTemplateIddLj32ELj1ELj32ELb1ELb1ELb0EEEvllPKT_S5_PKT0_S8_PS3_S9_,@function
_ZN2at6native12_GLOBAL__N_135GammaBetaBackwardCUDAKernelTemplateIddLj32ELj1ELj32ELb1ELb1ELb0EEEvllPKT_S5_PKT0_S8_PS3_S9_: ; @_ZN2at6native12_GLOBAL__N_135GammaBetaBackwardCUDAKernelTemplateIddLj32ELj1ELj32ELb1ELb1ELb0EEEvllPKT_S5_PKT0_S8_PS3_S9_
; %bb.0:
	s_load_dwordx4 s[16:19], s[0:1], 0x0
	s_lshl_b32 s6, s3, 5
	s_mov_b32 s7, 0
	v_mov_b64_e32 v[2:3], s[6:7]
	s_mov_b32 s4, s3
	s_waitcnt lgkmcnt(0)
	v_cmp_gt_i64_e32 vcc, s[16:17], v[2:3]
	v_bfe_u32 v1, v0, 10, 10
	s_cbranch_vccnz .LBB37_2
; %bb.1:
	s_add_u32 s24, s0, 64
	s_addc_u32 s25, s1, 0
	s_mov_b64 s[8:9], 0
	v_bfe_u32 v4, v0, 10, 10
	s_branch .LBB37_3
.LBB37_2:
	s_mov_b64 s[8:9], -1
                                        ; implicit-def: $sgpr24_sgpr25
                                        ; implicit-def: $vgpr4
.LBB37_3:
	s_load_dwordx4 s[20:23], s[0:1], 0x30
	v_and_b32_e32 v0, 0x3ff, v0
	v_mov_b64_e32 v[10:11], 0
	s_andn2_b64 vcc, exec, s[8:9]
	v_mov_b64_e32 v[2:3], 0
	s_cbranch_vccnz .LBB37_11
; %bb.4:
	s_load_dword s3, s[0:1], 0x4c
	s_load_dword s5, s[0:1], 0x44
	s_load_dwordx8 s[8:15], s[0:1], 0x10
	s_add_u32 s24, s0, 64
	s_addc_u32 s25, s1, 0
	s_waitcnt lgkmcnt(0)
	s_and_b32 s0, s3, 0xffff
	v_mad_u32_u24 v2, v1, s0, v0
	v_lshlrev_b32_e32 v4, 5, v1
	v_mov_b32_e32 v5, 0
	v_mbcnt_lo_u32_b32 v6, -1, 0
	v_and_b32_e32 v2, 63, v2
	v_mov_b32_e32 v3, v5
	v_mbcnt_hi_u32_b32 v6, -1, v6
	s_lshl_b32 s26, s5, 5
	v_lshl_add_u64 v[10:11], v[4:5], 0, s[6:7]
	v_cmp_gt_u32_e64 s[0:1], 32, v2
	v_lshl_add_u32 v8, s2, 5, v0
	v_mov_b32_e32 v9, v5
	v_lshlrev_b32_e32 v6, 2, v6
	v_lshl_add_u64 v[4:5], v[10:11], 0, v[2:3]
	v_mul_lo_u32 v12, s19, v10
	v_mul_lo_u32 v11, s18, v11
	v_mad_u64_u32 v[2:3], s[30:31], s18, v10, 0
	s_mul_i32 s3, s19, s26
	s_mul_hi_u32 s5, s18, s26
	s_mov_b32 s27, 0
	v_and_b32_e32 v64, 0x100, v6
	v_add3_u32 v3, v3, v11, v12
	v_lshlrev_b64 v[8:9], 3, v[8:9]
	s_add_i32 s31, s5, s3
	s_mul_i32 s30, s18, s26
	v_or_b32_e32 v65, 4, v64
	v_or_b32_e32 v66, 8, v64
	;; [unrolled: 1-line block ×31, first 2 shown]
	v_lshlrev_b64 v[6:7], 3, v[4:5]
	s_lshl_b64 s[28:29], s[26:27], 3
	v_lshl_add_u64 v[8:9], v[2:3], 3, v[8:9]
	s_lshl_b64 s[30:31], s[30:31], 3
	s_lshl_b64 s[34:35], s[18:19], 3
	v_mov_b64_e32 v[2:3], 0
	v_mov_b64_e32 v[10:11], 0
	s_branch .LBB37_7
.LBB37_5:                               ;   in Loop: Header=BB37_7 Depth=1
	s_or_b64 exec, exec, s[38:39]
.LBB37_6:                               ;   in Loop: Header=BB37_7 Depth=1
	s_or_b64 exec, exec, s[36:37]
	v_lshl_add_u64 v[18:19], s[10:11], 0, v[8:9]
	v_lshl_add_u64 v[22:23], v[18:19], 0, s[34:35]
	global_load_dwordx2 v[40:41], v[18:19], off
	v_lshl_add_u64 v[20:21], s[8:9], 0, v[8:9]
	global_load_dwordx2 v[42:43], v[22:23], off
	;; [unrolled: 2-line block ×3, first 2 shown]
	v_lshl_add_u64 v[20:21], v[20:21], 0, s[34:35]
	v_lshl_add_u64 v[26:27], v[22:23], 0, s[34:35]
	global_load_dwordx2 v[18:19], v[20:21], off
	global_load_dwordx2 v[44:45], v[22:23], off
	v_lshl_add_u64 v[24:25], v[20:21], 0, s[34:35]
	global_load_dwordx2 v[46:47], v[26:27], off
	v_lshl_add_u64 v[26:27], v[26:27], 0, s[34:35]
	;; [unrolled: 2-line block ×5, first 2 shown]
	global_load_dwordx2 v[50:51], v[26:27], off
	global_load_dwordx2 v[24:25], v[28:29], off
	v_lshl_add_u64 v[30:31], v[26:27], 0, s[34:35]
	v_lshl_add_u64 v[28:29], v[28:29], 0, s[34:35]
	global_load_dwordx2 v[52:53], v[30:31], off
	global_load_dwordx2 v[26:27], v[28:29], off
	v_lshl_add_u64 v[32:33], v[28:29], 0, s[34:35]
	global_load_dwordx2 v[28:29], v[32:33], off
	v_lshl_add_u64 v[34:35], v[30:31], 0, s[34:35]
	;; [unrolled: 2-line block ×4, first 2 shown]
	v_lshl_add_u64 v[36:37], v[32:33], 0, s[34:35]
	global_load_dwordx2 v[62:63], v[34:35], off
	global_load_dwordx2 v[32:33], v[36:37], off
	v_lshl_add_u64 v[38:39], v[34:35], 0, s[34:35]
	global_load_dwordx2 v[106:107], v[38:39], off
	v_lshl_add_u64 v[36:37], v[36:37], 0, s[34:35]
	;; [unrolled: 2-line block ×3, first 2 shown]
	v_lshl_add_u64 v[116:117], v[36:37], 0, s[34:35]
	global_load_dwordx2 v[118:119], v[38:39], off
	global_load_dwordx2 v[36:37], v[116:117], off
	s_waitcnt vmcnt(23)
	ds_bpermute_b32 v56, v64, v14
	ds_bpermute_b32 v57, v64, v15
	;; [unrolled: 1-line block ×4, first 2 shown]
	s_waitcnt vmcnt(22)
	ds_bpermute_b32 v58, v64, v12
	ds_bpermute_b32 v59, v64, v13
	;; [unrolled: 1-line block ×19, first 2 shown]
	v_lshl_add_u64 v[122:123], v[38:39], 0, s[34:35]
	ds_bpermute_b32 v121, v70, v15
	ds_bpermute_b32 v114, v69, v12
	ds_bpermute_b32 v115, v69, v13
	v_lshl_add_u64 v[116:117], v[116:117], 0, s[34:35]
	global_load_dwordx2 v[124:125], v[122:123], off
	global_load_dwordx2 v[38:39], v[116:117], off
	s_add_u32 s6, s6, s26
	s_addc_u32 s7, s7, 0
	v_lshl_add_u64 v[6:7], v[6:7], 0, s[28:29]
	v_lshl_add_u64 v[4:5], v[4:5], 0, s[26:27]
	;; [unrolled: 1-line block ×3, first 2 shown]
	s_waitcnt vmcnt(23) lgkmcnt(14)
	v_add_f64 v[40:41], v[40:41], -v[56:57]
	ds_bpermute_b32 v56, v72, v12
	s_waitcnt vmcnt(22)
	v_add_f64 v[42:43], v[42:43], -v[60:61]
	ds_bpermute_b32 v57, v72, v13
	s_waitcnt vmcnt(21)
	v_mul_f64 v[40:41], v[16:17], v[40:41]
	v_fmac_f64_e32 v[2:3], v[40:41], v[58:59]
	v_add_f64 v[10:11], v[10:11], v[16:17]
	s_waitcnt vmcnt(20)
	v_mul_f64 v[40:41], v[18:19], v[42:43]
	s_waitcnt vmcnt(19)
	v_add_f64 v[42:43], v[44:45], -v[98:99]
	v_fmac_f64_e32 v[2:3], v[40:41], v[96:97]
	v_add_f64 v[10:11], v[10:11], v[18:19]
	ds_bpermute_b32 v16, v94, v14
	s_waitcnt vmcnt(17)
	v_mul_f64 v[40:41], v[20:21], v[42:43]
	v_add_f64 v[42:43], v[46:47], -v[102:103]
	s_waitcnt lgkmcnt(14)
	v_fmac_f64_e32 v[2:3], v[40:41], v[100:101]
	v_add_f64 v[10:11], v[10:11], v[20:21]
	s_waitcnt vmcnt(15)
	v_mul_f64 v[40:41], v[22:23], v[42:43]
	s_waitcnt lgkmcnt(13)
	v_add_f64 v[42:43], v[48:49], -v[108:109]
	s_waitcnt vmcnt(14) lgkmcnt(11)
	v_add_f64 v[44:45], v[50:51], -v[112:113]
	v_lshl_add_u64 v[50:51], v[122:123], 0, s[34:35]
	s_waitcnt lgkmcnt(9)
	v_fmac_f64_e32 v[2:3], v[40:41], v[104:105]
	s_waitcnt vmcnt(13)
	v_mul_f64 v[40:41], v[24:25], v[42:43]
	ds_bpermute_b32 v42, v70, v12
	ds_bpermute_b32 v43, v70, v13
	;; [unrolled: 1-line block ×3, first 2 shown]
	global_load_dwordx2 v[58:59], v[50:51], off
	v_lshl_add_u64 v[50:51], v[50:51], 0, s[34:35]
	ds_bpermute_b32 v49, v71, v15
	global_load_dwordx2 v[60:61], v[50:51], off
	s_waitcnt lgkmcnt(11)
	v_fmac_f64_e32 v[2:3], v[40:41], v[110:111]
	s_waitcnt vmcnt(14) lgkmcnt(9)
	v_add_f64 v[46:47], v[52:53], -v[120:121]
	s_waitcnt vmcnt(13)
	v_mul_f64 v[44:45], v[26:27], v[44:45]
	v_lshl_add_u64 v[52:53], v[116:117], 0, s[34:35]
	s_waitcnt lgkmcnt(7)
	v_fmac_f64_e32 v[2:3], v[44:45], v[114:115]
	s_waitcnt vmcnt(12)
	v_mul_f64 v[44:45], v[28:29], v[46:47]
	global_load_dwordx2 v[40:41], v[52:53], off
	s_waitcnt lgkmcnt(2)
	v_fmac_f64_e32 v[2:3], v[44:45], v[42:43]
	s_waitcnt vmcnt(12) lgkmcnt(0)
	v_add_f64 v[46:47], v[54:55], -v[48:49]
	ds_bpermute_b32 v48, v71, v12
	ds_bpermute_b32 v49, v71, v13
	ds_bpermute_b32 v54, v72, v14
	ds_bpermute_b32 v55, v72, v15
	v_lshl_add_u64 v[44:45], v[52:53], 0, s[34:35]
	v_lshl_add_u64 v[50:51], v[50:51], 0, s[34:35]
	global_load_dwordx2 v[42:43], v[44:45], off
	global_load_dwordx2 v[96:97], v[50:51], off
	v_lshl_add_u64 v[52:53], v[44:45], 0, s[34:35]
	global_load_dwordx2 v[44:45], v[52:53], off
	s_waitcnt vmcnt(14)
	v_mul_f64 v[46:47], v[30:31], v[46:47]
	s_waitcnt lgkmcnt(2)
	v_fmac_f64_e32 v[2:3], v[46:47], v[48:49]
	s_waitcnt vmcnt(13) lgkmcnt(0)
	v_add_f64 v[46:47], v[62:63], -v[54:55]
	v_lshl_add_u64 v[50:51], v[50:51], 0, s[34:35]
	s_waitcnt vmcnt(12)
	v_mul_f64 v[46:47], v[32:33], v[46:47]
	ds_bpermute_b32 v48, v73, v14
	ds_bpermute_b32 v49, v73, v15
	global_load_dwordx2 v[98:99], v[50:51], off
	v_lshl_add_u64 v[52:53], v[52:53], 0, s[34:35]
	v_fmac_f64_e32 v[2:3], v[46:47], v[56:57]
	global_load_dwordx2 v[46:47], v[52:53], off
	v_lshl_add_u64 v[50:51], v[50:51], 0, s[34:35]
	global_load_dwordx2 v[100:101], v[50:51], off
	v_lshl_add_u64 v[52:53], v[52:53], 0, s[34:35]
	s_waitcnt vmcnt(14) lgkmcnt(0)
	v_add_f64 v[56:57], v[106:107], -v[48:49]
	global_load_dwordx2 v[48:49], v[52:53], off
	v_lshl_add_u64 v[102:103], v[50:51], 0, s[34:35]
	global_load_dwordx2 v[104:105], v[102:103], off
	v_lshl_add_u64 v[52:53], v[52:53], 0, s[34:35]
	ds_bpermute_b32 v54, v73, v12
	ds_bpermute_b32 v55, v73, v13
	global_load_dwordx2 v[50:51], v[52:53], off
	ds_bpermute_b32 v62, v74, v14
	ds_bpermute_b32 v63, v74, v15
	;; [unrolled: 1-line block ×4, first 2 shown]
	s_waitcnt vmcnt(16)
	v_mul_f64 v[56:57], v[34:35], v[56:57]
	s_waitcnt lgkmcnt(4)
	v_fmac_f64_e32 v[2:3], v[56:57], v[54:55]
	v_lshl_add_u64 v[56:57], v[102:103], 0, s[34:35]
	s_waitcnt vmcnt(15) lgkmcnt(2)
	v_add_f64 v[54:55], v[118:119], -v[62:63]
	global_load_dwordx2 v[102:103], v[56:57], off
	v_lshl_add_u64 v[62:63], v[52:53], 0, s[34:35]
	s_waitcnt vmcnt(15)
	v_mul_f64 v[54:55], v[36:37], v[54:55]
	global_load_dwordx2 v[52:53], v[62:63], off
	v_lshl_add_u64 v[56:57], v[56:57], 0, s[34:35]
	s_waitcnt lgkmcnt(0)
	v_fmac_f64_e32 v[2:3], v[54:55], v[106:107]
	global_load_dwordx2 v[106:107], v[56:57], off
	ds_bpermute_b32 v54, v75, v14
	ds_bpermute_b32 v55, v75, v15
	;; [unrolled: 1-line block ×8, first 2 shown]
	s_waitcnt vmcnt(16) lgkmcnt(6)
	v_add_f64 v[54:55], v[124:125], -v[54:55]
	v_lshl_add_u64 v[62:63], v[62:63], 0, s[34:35]
	s_waitcnt vmcnt(15)
	v_mul_f64 v[110:111], v[38:39], v[54:55]
	global_load_dwordx2 v[54:55], v[62:63], off
	v_lshl_add_u64 v[62:63], v[62:63], 0, s[34:35]
	ds_bpermute_b32 v114, v76, v12
	ds_bpermute_b32 v115, v76, v13
	v_lshl_add_u64 v[118:119], v[56:57], 0, s[34:35]
	global_load_dwordx2 v[56:57], v[62:63], off
	s_waitcnt lgkmcnt(6)
	v_fmac_f64_e32 v[2:3], v[110:111], v[108:109]
	global_load_dwordx2 v[120:121], v[118:119], off
	v_lshl_add_u64 v[118:119], v[118:119], 0, s[34:35]
	ds_bpermute_b32 v110, v77, v12
	ds_bpermute_b32 v111, v77, v13
	global_load_dwordx2 v[122:123], v[118:119], off
	s_waitcnt vmcnt(17) lgkmcnt(6)
	v_add_f64 v[108:109], v[60:61], -v[116:117]
	v_lshl_add_u64 v[60:61], v[62:63], 0, s[34:35]
	ds_bpermute_b32 v62, v78, v14
	ds_bpermute_b32 v63, v78, v15
	s_waitcnt lgkmcnt(6)
	v_add_f64 v[58:59], v[58:59], -v[112:113]
	v_lshl_add_u64 v[112:113], v[118:119], 0, s[34:35]
	ds_bpermute_b32 v118, v78, v12
	ds_bpermute_b32 v119, v78, v13
	s_waitcnt vmcnt(16)
	v_mul_f64 v[58:59], v[40:41], v[58:59]
	s_waitcnt lgkmcnt(6)
	v_fmac_f64_e32 v[2:3], v[58:59], v[114:115]
	v_lshl_add_u64 v[116:117], v[60:61], 0, s[34:35]
	global_load_dwordx2 v[58:59], v[60:61], off
	global_load_dwordx2 v[114:115], v[112:113], off
	ds_bpermute_b32 v124, v85, v14
	global_load_dwordx2 v[60:61], v[116:117], off
	ds_bpermute_b32 v125, v85, v15
	s_waitcnt vmcnt(18)
	v_mul_f64 v[108:109], v[42:43], v[108:109]
	s_waitcnt vmcnt(17) lgkmcnt(4)
	v_add_f64 v[62:63], v[96:97], -v[62:63]
	ds_bpermute_b32 v96, v79, v14
	ds_bpermute_b32 v97, v79, v15
	v_fmac_f64_e32 v[2:3], v[108:109], v[110:111]
	s_waitcnt vmcnt(16)
	v_mul_f64 v[62:63], v[44:45], v[62:63]
	s_waitcnt lgkmcnt(4)
	v_fmac_f64_e32 v[2:3], v[62:63], v[118:119]
	v_lshl_add_u64 v[108:109], v[112:113], 0, s[34:35]
	v_lshl_add_u64 v[112:113], v[116:117], 0, s[34:35]
	ds_bpermute_b32 v116, v79, v12
	ds_bpermute_b32 v117, v79, v13
	;; [unrolled: 1-line block ×4, first 2 shown]
	s_waitcnt vmcnt(15) lgkmcnt(4)
	v_add_f64 v[96:97], v[98:99], -v[96:97]
	s_waitcnt vmcnt(14)
	v_mul_f64 v[96:97], v[46:47], v[96:97]
	ds_bpermute_b32 v98, v80, v12
	ds_bpermute_b32 v99, v80, v13
	s_waitcnt lgkmcnt(4)
	v_fmac_f64_e32 v[2:3], v[96:97], v[116:117]
	s_waitcnt vmcnt(13) lgkmcnt(2)
	v_add_f64 v[96:97], v[100:101], -v[118:119]
	ds_bpermute_b32 v100, v81, v14
	ds_bpermute_b32 v101, v81, v15
	;; [unrolled: 1-line block ×4, first 2 shown]
	s_waitcnt vmcnt(12)
	v_mul_f64 v[96:97], v[48:49], v[96:97]
	s_waitcnt lgkmcnt(4)
	v_fmac_f64_e32 v[2:3], v[96:97], v[98:99]
	v_lshl_add_u64 v[98:99], v[108:109], 0, s[34:35]
	s_waitcnt vmcnt(11) lgkmcnt(2)
	v_add_f64 v[96:97], v[104:105], -v[100:101]
	global_load_dwordx2 v[100:101], v[98:99], off
	global_load_dwordx2 v[110:111], v[108:109], off
	s_waitcnt vmcnt(12)
	v_mul_f64 v[96:97], v[50:51], v[96:97]
	global_load_dwordx2 v[62:63], v[112:113], off
	s_waitcnt lgkmcnt(0)
	v_fmac_f64_e32 v[2:3], v[96:97], v[116:117]
	ds_bpermute_b32 v96, v82, v14
	ds_bpermute_b32 v97, v82, v15
	v_lshl_add_u64 v[112:113], v[112:113], 0, s[34:35]
	global_load_dwordx2 v[116:117], v[112:113], off
	ds_bpermute_b32 v104, v82, v12
	ds_bpermute_b32 v105, v82, v13
	;; [unrolled: 1-line block ×4, first 2 shown]
	s_waitcnt vmcnt(13) lgkmcnt(4)
	v_add_f64 v[96:97], v[102:103], -v[96:97]
	s_waitcnt vmcnt(12)
	v_mul_f64 v[96:97], v[52:53], v[96:97]
	v_lshl_add_u64 v[98:99], v[98:99], 0, s[34:35]
	s_waitcnt lgkmcnt(2)
	v_fmac_f64_e32 v[2:3], v[96:97], v[104:105]
	s_waitcnt vmcnt(11) lgkmcnt(0)
	v_add_f64 v[96:97], v[106:107], -v[108:109]
	global_load_dwordx2 v[104:105], v[98:99], off
	v_lshl_add_u64 v[106:107], v[112:113], 0, s[34:35]
	global_load_dwordx2 v[108:109], v[106:107], off
	ds_bpermute_b32 v102, v83, v12
	ds_bpermute_b32 v103, v83, v13
	;; [unrolled: 1-line block ×6, first 2 shown]
	s_waitcnt vmcnt(12)
	v_mul_f64 v[96:97], v[54:55], v[96:97]
	s_waitcnt lgkmcnt(4)
	v_fmac_f64_e32 v[2:3], v[96:97], v[102:103]
	v_lshl_add_u64 v[98:99], v[98:99], 0, s[34:35]
	global_load_dwordx2 v[102:103], v[98:99], off
	v_lshl_add_u64 v[106:107], v[106:107], 0, s[34:35]
	s_waitcnt vmcnt(11) lgkmcnt(2)
	v_add_f64 v[96:97], v[120:121], -v[112:113]
	ds_bpermute_b32 v112, v85, v12
	ds_bpermute_b32 v113, v85, v13
	v_mul_f64 v[96:97], v[56:57], v[96:97]
	s_waitcnt lgkmcnt(2)
	v_fmac_f64_e32 v[2:3], v[96:97], v[118:119]
	s_waitcnt vmcnt(10)
	v_add_f64 v[96:97], v[122:123], -v[124:125]
	ds_bpermute_b32 v118, v86, v14
	ds_bpermute_b32 v119, v86, v15
	global_load_dwordx2 v[120:121], v[106:107], off
	ds_bpermute_b32 v124, v88, v14
	ds_bpermute_b32 v125, v88, v15
	v_lshl_add_u64 v[98:99], v[98:99], 0, s[34:35]
	v_lshl_add_u64 v[106:107], v[106:107], 0, s[34:35]
	v_add_f64 v[10:11], v[10:11], v[22:23]
	v_add_f64 v[10:11], v[10:11], v[24:25]
	;; [unrolled: 1-line block ×3, first 2 shown]
	s_waitcnt vmcnt(10)
	v_mul_f64 v[96:97], v[58:59], v[96:97]
	s_waitcnt lgkmcnt(4)
	v_fmac_f64_e32 v[2:3], v[96:97], v[112:113]
	ds_bpermute_b32 v96, v86, v12
	ds_bpermute_b32 v97, v86, v13
	s_waitcnt vmcnt(9) lgkmcnt(4)
	v_add_f64 v[112:113], v[114:115], -v[118:119]
	s_waitcnt vmcnt(8)
	v_mul_f64 v[112:113], v[60:61], v[112:113]
	global_load_dwordx2 v[114:115], v[98:99], off
	global_load_dwordx2 v[118:119], v[106:107], off
	s_waitcnt lgkmcnt(0)
	v_fmac_f64_e32 v[2:3], v[112:113], v[96:97]
	ds_bpermute_b32 v96, v87, v14
	ds_bpermute_b32 v97, v87, v15
	ds_bpermute_b32 v112, v87, v12
	ds_bpermute_b32 v113, v87, v13
	v_lshl_add_u64 v[98:99], v[98:99], 0, s[34:35]
	global_load_dwordx2 v[122:123], v[98:99], off
	v_lshl_add_u64 v[98:99], v[98:99], 0, s[34:35]
	v_add_f64 v[10:11], v[10:11], v[28:29]
	v_add_f64 v[10:11], v[10:11], v[30:31]
	;; [unrolled: 1-line block ×16, first 2 shown]
	s_waitcnt vmcnt(10)
	v_add_f64 v[100:101], v[100:101], -v[124:125]
	ds_bpermute_b32 v124, v88, v12
	ds_bpermute_b32 v125, v88, v13
	s_waitcnt vmcnt(9) lgkmcnt(4)
	v_add_f64 v[96:97], v[110:111], -v[96:97]
	s_waitcnt vmcnt(8)
	v_mul_f64 v[96:97], v[62:63], v[96:97]
	s_waitcnt lgkmcnt(2)
	v_fmac_f64_e32 v[2:3], v[96:97], v[112:113]
	v_lshl_add_u64 v[96:97], v[106:107], 0, s[34:35]
	global_load_dwordx2 v[106:107], v[96:97], off
	s_waitcnt vmcnt(8)
	v_mul_f64 v[100:101], v[116:117], v[100:101]
	s_waitcnt lgkmcnt(0)
	v_fmac_f64_e32 v[2:3], v[100:101], v[124:125]
	ds_bpermute_b32 v100, v89, v14
	ds_bpermute_b32 v101, v89, v15
	;; [unrolled: 1-line block ×4, first 2 shown]
	global_load_dwordx2 v[110:111], v[98:99], off
	v_lshl_add_u64 v[96:97], v[96:97], 0, s[34:35]
	global_load_dwordx2 v[112:113], v[96:97], off
	v_lshl_add_u64 v[96:97], v[96:97], 0, s[34:35]
	s_waitcnt vmcnt(9) lgkmcnt(2)
	v_add_f64 v[100:101], v[104:105], -v[100:101]
	v_lshl_add_u64 v[98:99], v[98:99], 0, s[34:35]
	s_waitcnt vmcnt(8)
	v_mul_f64 v[100:101], v[108:109], v[100:101]
	s_waitcnt lgkmcnt(0)
	v_fmac_f64_e32 v[2:3], v[100:101], v[124:125]
	global_load_dwordx2 v[100:101], v[98:99], off
	global_load_dwordx2 v[104:105], v[96:97], off
	v_lshl_add_u64 v[96:97], v[96:97], 0, s[34:35]
	v_lshl_add_u64 v[98:99], v[98:99], 0, s[34:35]
	global_load_dwordx2 v[98:99], v[98:99], off
	s_nop 0
	global_load_dwordx2 v[96:97], v[96:97], off
	ds_bpermute_b32 v124, v90, v14
	ds_bpermute_b32 v125, v90, v15
	;; [unrolled: 1-line block ×3, first 2 shown]
	v_add_f64 v[10:11], v[10:11], v[60:61]
	v_add_f64 v[10:11], v[10:11], v[62:63]
	ds_bpermute_b32 v18, v94, v12
	s_waitcnt vmcnt(11) lgkmcnt(2)
	v_add_f64 v[102:103], v[102:103], -v[124:125]
	ds_bpermute_b32 v124, v90, v12
	ds_bpermute_b32 v125, v90, v13
	;; [unrolled: 1-line block ×3, first 2 shown]
	v_add_f64 v[10:11], v[10:11], v[116:117]
	v_add_f64 v[10:11], v[10:11], v[108:109]
	s_waitcnt vmcnt(10)
	v_mul_f64 v[102:103], v[120:121], v[102:103]
	s_waitcnt lgkmcnt(1)
	v_fmac_f64_e32 v[2:3], v[102:103], v[124:125]
	ds_bpermute_b32 v102, v91, v14
	ds_bpermute_b32 v103, v91, v15
	;; [unrolled: 1-line block ×4, first 2 shown]
	v_add_f64 v[10:11], v[10:11], v[120:121]
	s_waitcnt vmcnt(9) lgkmcnt(2)
	v_add_f64 v[102:103], v[114:115], -v[102:103]
	ds_bpermute_b32 v114, v91, v12
	ds_bpermute_b32 v115, v91, v13
	s_waitcnt vmcnt(8)
	v_mul_f64 v[102:103], v[118:119], v[102:103]
	v_add_f64 v[10:11], v[10:11], v[118:119]
	s_waitcnt lgkmcnt(0)
	v_fmac_f64_e32 v[2:3], v[102:103], v[114:115]
	s_waitcnt vmcnt(7)
	v_add_f64 v[102:103], v[122:123], -v[124:125]
	ds_bpermute_b32 v114, v92, v12
	ds_bpermute_b32 v115, v92, v13
	;; [unrolled: 1-line block ×10, first 2 shown]
	s_waitcnt vmcnt(6)
	v_mul_f64 v[102:103], v[106:107], v[102:103]
	s_waitcnt lgkmcnt(8)
	v_fmac_f64_e32 v[2:3], v[102:103], v[114:115]
	v_add_f64 v[10:11], v[10:11], v[106:107]
	s_waitcnt vmcnt(5) lgkmcnt(6)
	v_add_f64 v[102:103], v[110:111], -v[122:123]
	s_waitcnt vmcnt(4)
	v_mul_f64 v[102:103], v[112:113], v[102:103]
	s_waitcnt lgkmcnt(4)
	v_fmac_f64_e32 v[2:3], v[102:103], v[124:125]
	v_add_f64 v[10:11], v[10:11], v[112:113]
	s_waitcnt vmcnt(3)
	v_add_f64 v[16:17], v[100:101], -v[16:17]
	s_waitcnt vmcnt(2)
	v_mul_f64 v[16:17], v[104:105], v[16:17]
	v_fmac_f64_e32 v[2:3], v[16:17], v[18:19]
	s_waitcnt vmcnt(1) lgkmcnt(2)
	v_add_f64 v[14:15], v[98:99], -v[14:15]
	s_waitcnt vmcnt(0)
	v_mul_f64 v[14:15], v[96:97], v[14:15]
	s_waitcnt lgkmcnt(0)
	v_fmac_f64_e32 v[2:3], v[14:15], v[12:13]
	v_mov_b64_e32 v[12:13], s[16:17]
	v_add_f64 v[10:11], v[10:11], v[104:105]
	v_cmp_lt_i64_e32 vcc, s[6:7], v[12:13]
	v_add_f64 v[10:11], v[10:11], v[96:97]
	s_cbranch_vccz .LBB37_10
.LBB37_7:                               ; =>This Inner Loop Header: Depth=1
	v_mov_b64_e32 v[12:13], 0
	v_mov_b64_e32 v[14:15], 0
	s_and_saveexec_b64 s[36:37], s[0:1]
	s_cbranch_execz .LBB37_6
; %bb.8:                                ;   in Loop: Header=BB37_7 Depth=1
	v_cmp_gt_i64_e32 vcc, s[16:17], v[4:5]
	v_mov_b64_e32 v[14:15], 0
	v_mov_b64_e32 v[12:13], 0
	s_and_saveexec_b64 s[38:39], vcc
	s_cbranch_execz .LBB37_5
; %bb.9:                                ;   in Loop: Header=BB37_7 Depth=1
	v_lshl_add_u64 v[18:19], s[12:13], 0, v[6:7]
	v_lshl_add_u64 v[16:17], s[14:15], 0, v[6:7]
	global_load_dwordx2 v[14:15], v[18:19], off
	global_load_dwordx2 v[12:13], v[16:17], off
	s_branch .LBB37_5
.LBB37_10:
	v_mov_b32_e32 v4, v1
.LBB37_11:
	s_load_dword s5, s[24:25], 0xc
	s_mov_b32 s3, 0
	v_mov_b32_e32 v1, 0
	s_lshl_b64 s[0:1], s[2:3], 5
	v_lshl_add_u64 v[6:7], s[0:1], 0, v[0:1]
	s_waitcnt lgkmcnt(0)
	s_lshr_b32 s0, s5, 16
	v_mov_b32_e32 v5, v1
	v_mov_b32_e32 v0, s4
	v_mad_u64_u32 v[0:1], s[0:1], s0, v0, v[4:5]
	s_cmp_eq_u64 s[20:21], 0
	v_mul_lo_u32 v1, v1, s18
	v_mul_lo_u32 v4, v0, s19
	s_cbranch_scc1 .LBB37_13
; %bb.12:
	v_mad_u64_u32 v[8:9], s[0:1], v0, s18, 0
	v_add3_u32 v9, v9, v4, v1
	v_lshl_add_u64 v[8:9], v[8:9], 3, s[20:21]
	v_lshl_add_u64 v[8:9], v[6:7], 3, v[8:9]
	global_store_dwordx2 v[8:9], v[2:3], off
.LBB37_13:
	s_cmp_eq_u64 s[22:23], 0
	s_cbranch_scc1 .LBB37_15
; %bb.14:
	v_mad_u64_u32 v[2:3], s[0:1], v0, s18, 0
	v_add3_u32 v3, v3, v4, v1
	v_lshl_add_u64 v[0:1], v[2:3], 3, s[22:23]
	v_lshl_add_u64 v[0:1], v[6:7], 3, v[0:1]
	global_store_dwordx2 v[0:1], v[10:11], off
.LBB37_15:
	s_endpgm
	.section	.rodata,"a",@progbits
	.p2align	6, 0x0
	.amdhsa_kernel _ZN2at6native12_GLOBAL__N_135GammaBetaBackwardCUDAKernelTemplateIddLj32ELj1ELj32ELb1ELb1ELb0EEEvllPKT_S5_PKT0_S8_PS3_S9_
		.amdhsa_group_segment_fixed_size 0
		.amdhsa_private_segment_fixed_size 0
		.amdhsa_kernarg_size 320
		.amdhsa_user_sgpr_count 2
		.amdhsa_user_sgpr_dispatch_ptr 0
		.amdhsa_user_sgpr_queue_ptr 0
		.amdhsa_user_sgpr_kernarg_segment_ptr 1
		.amdhsa_user_sgpr_dispatch_id 0
		.amdhsa_user_sgpr_kernarg_preload_length 0
		.amdhsa_user_sgpr_kernarg_preload_offset 0
		.amdhsa_user_sgpr_private_segment_size 0
		.amdhsa_uses_dynamic_stack 0
		.amdhsa_enable_private_segment 0
		.amdhsa_system_sgpr_workgroup_id_x 1
		.amdhsa_system_sgpr_workgroup_id_y 1
		.amdhsa_system_sgpr_workgroup_id_z 0
		.amdhsa_system_sgpr_workgroup_info 0
		.amdhsa_system_vgpr_workitem_id 1
		.amdhsa_next_free_vgpr 126
		.amdhsa_next_free_sgpr 40
		.amdhsa_accum_offset 128
		.amdhsa_reserve_vcc 1
		.amdhsa_float_round_mode_32 0
		.amdhsa_float_round_mode_16_64 0
		.amdhsa_float_denorm_mode_32 3
		.amdhsa_float_denorm_mode_16_64 3
		.amdhsa_dx10_clamp 1
		.amdhsa_ieee_mode 1
		.amdhsa_fp16_overflow 0
		.amdhsa_tg_split 0
		.amdhsa_exception_fp_ieee_invalid_op 0
		.amdhsa_exception_fp_denorm_src 0
		.amdhsa_exception_fp_ieee_div_zero 0
		.amdhsa_exception_fp_ieee_overflow 0
		.amdhsa_exception_fp_ieee_underflow 0
		.amdhsa_exception_fp_ieee_inexact 0
		.amdhsa_exception_int_div_zero 0
	.end_amdhsa_kernel
	.section	.text._ZN2at6native12_GLOBAL__N_135GammaBetaBackwardCUDAKernelTemplateIddLj32ELj1ELj32ELb1ELb1ELb0EEEvllPKT_S5_PKT0_S8_PS3_S9_,"axG",@progbits,_ZN2at6native12_GLOBAL__N_135GammaBetaBackwardCUDAKernelTemplateIddLj32ELj1ELj32ELb1ELb1ELb0EEEvllPKT_S5_PKT0_S8_PS3_S9_,comdat
.Lfunc_end37:
	.size	_ZN2at6native12_GLOBAL__N_135GammaBetaBackwardCUDAKernelTemplateIddLj32ELj1ELj32ELb1ELb1ELb0EEEvllPKT_S5_PKT0_S8_PS3_S9_, .Lfunc_end37-_ZN2at6native12_GLOBAL__N_135GammaBetaBackwardCUDAKernelTemplateIddLj32ELj1ELj32ELb1ELb1ELb0EEEvllPKT_S5_PKT0_S8_PS3_S9_
                                        ; -- End function
	.set _ZN2at6native12_GLOBAL__N_135GammaBetaBackwardCUDAKernelTemplateIddLj32ELj1ELj32ELb1ELb1ELb0EEEvllPKT_S5_PKT0_S8_PS3_S9_.num_vgpr, 126
	.set _ZN2at6native12_GLOBAL__N_135GammaBetaBackwardCUDAKernelTemplateIddLj32ELj1ELj32ELb1ELb1ELb0EEEvllPKT_S5_PKT0_S8_PS3_S9_.num_agpr, 0
	.set _ZN2at6native12_GLOBAL__N_135GammaBetaBackwardCUDAKernelTemplateIddLj32ELj1ELj32ELb1ELb1ELb0EEEvllPKT_S5_PKT0_S8_PS3_S9_.numbered_sgpr, 40
	.set _ZN2at6native12_GLOBAL__N_135GammaBetaBackwardCUDAKernelTemplateIddLj32ELj1ELj32ELb1ELb1ELb0EEEvllPKT_S5_PKT0_S8_PS3_S9_.num_named_barrier, 0
	.set _ZN2at6native12_GLOBAL__N_135GammaBetaBackwardCUDAKernelTemplateIddLj32ELj1ELj32ELb1ELb1ELb0EEEvllPKT_S5_PKT0_S8_PS3_S9_.private_seg_size, 0
	.set _ZN2at6native12_GLOBAL__N_135GammaBetaBackwardCUDAKernelTemplateIddLj32ELj1ELj32ELb1ELb1ELb0EEEvllPKT_S5_PKT0_S8_PS3_S9_.uses_vcc, 1
	.set _ZN2at6native12_GLOBAL__N_135GammaBetaBackwardCUDAKernelTemplateIddLj32ELj1ELj32ELb1ELb1ELb0EEEvllPKT_S5_PKT0_S8_PS3_S9_.uses_flat_scratch, 0
	.set _ZN2at6native12_GLOBAL__N_135GammaBetaBackwardCUDAKernelTemplateIddLj32ELj1ELj32ELb1ELb1ELb0EEEvllPKT_S5_PKT0_S8_PS3_S9_.has_dyn_sized_stack, 0
	.set _ZN2at6native12_GLOBAL__N_135GammaBetaBackwardCUDAKernelTemplateIddLj32ELj1ELj32ELb1ELb1ELb0EEEvllPKT_S5_PKT0_S8_PS3_S9_.has_recursion, 0
	.set _ZN2at6native12_GLOBAL__N_135GammaBetaBackwardCUDAKernelTemplateIddLj32ELj1ELj32ELb1ELb1ELb0EEEvllPKT_S5_PKT0_S8_PS3_S9_.has_indirect_call, 0
	.section	.AMDGPU.csdata,"",@progbits
; Kernel info:
; codeLenInByte = 4132
; TotalNumSgprs: 46
; NumVgprs: 126
; NumAgprs: 0
; TotalNumVgprs: 126
; ScratchSize: 0
; MemoryBound: 0
; FloatMode: 240
; IeeeMode: 1
; LDSByteSize: 0 bytes/workgroup (compile time only)
; SGPRBlocks: 5
; VGPRBlocks: 15
; NumSGPRsForWavesPerEU: 46
; NumVGPRsForWavesPerEU: 126
; AccumOffset: 128
; Occupancy: 4
; WaveLimiterHint : 0
; COMPUTE_PGM_RSRC2:SCRATCH_EN: 0
; COMPUTE_PGM_RSRC2:USER_SGPR: 2
; COMPUTE_PGM_RSRC2:TRAP_HANDLER: 0
; COMPUTE_PGM_RSRC2:TGID_X_EN: 1
; COMPUTE_PGM_RSRC2:TGID_Y_EN: 1
; COMPUTE_PGM_RSRC2:TGID_Z_EN: 0
; COMPUTE_PGM_RSRC2:TIDIG_COMP_CNT: 1
; COMPUTE_PGM_RSRC3_GFX90A:ACCUM_OFFSET: 31
; COMPUTE_PGM_RSRC3_GFX90A:TG_SPLIT: 0
	.section	.text._ZN2at6native12_GLOBAL__N_135GammaBetaBackwardCUDAKernelTemplateIddLj32ELj1ELj32ELb1ELb0ELb0EEEvllPKT_S5_PKT0_S8_PS3_S9_,"axG",@progbits,_ZN2at6native12_GLOBAL__N_135GammaBetaBackwardCUDAKernelTemplateIddLj32ELj1ELj32ELb1ELb0ELb0EEEvllPKT_S5_PKT0_S8_PS3_S9_,comdat
	.globl	_ZN2at6native12_GLOBAL__N_135GammaBetaBackwardCUDAKernelTemplateIddLj32ELj1ELj32ELb1ELb0ELb0EEEvllPKT_S5_PKT0_S8_PS3_S9_ ; -- Begin function _ZN2at6native12_GLOBAL__N_135GammaBetaBackwardCUDAKernelTemplateIddLj32ELj1ELj32ELb1ELb0ELb0EEEvllPKT_S5_PKT0_S8_PS3_S9_
	.p2align	8
	.type	_ZN2at6native12_GLOBAL__N_135GammaBetaBackwardCUDAKernelTemplateIddLj32ELj1ELj32ELb1ELb0ELb0EEEvllPKT_S5_PKT0_S8_PS3_S9_,@function
_ZN2at6native12_GLOBAL__N_135GammaBetaBackwardCUDAKernelTemplateIddLj32ELj1ELj32ELb1ELb0ELb0EEEvllPKT_S5_PKT0_S8_PS3_S9_: ; @_ZN2at6native12_GLOBAL__N_135GammaBetaBackwardCUDAKernelTemplateIddLj32ELj1ELj32ELb1ELb0ELb0EEEvllPKT_S5_PKT0_S8_PS3_S9_
; %bb.0:
	s_load_dwordx8 s[12:19], s[0:1], 0x0
	s_load_dwordx4 s[20:23], s[0:1], 0x20
	s_mov_b32 s8, s3
	s_lshl_b32 s3, s2, 5
	s_or_b32 s4, s3, 31
	s_mov_b32 s11, 0
	v_mov_b32_e32 v2, s4
	v_mov_b32_e32 v3, 0
	s_lshl_b32 s10, s8, 5
	s_waitcnt lgkmcnt(0)
	v_cmp_le_i64_e32 vcc, s[14:15], v[2:3]
	v_mov_b64_e32 v[2:3], s[10:11]
	v_cmp_gt_i64_e64 s[4:5], s[12:13], v[2:3]
	s_nop 1
	v_cndmask_b32_e64 v1, 0, 1, s[4:5]
	v_cmp_ne_u32_e64 s[4:5], 1, v1
	s_cbranch_vccz .LBB38_145
; %bb.1:
	v_mov_b64_e32 v[142:143], 0
	s_and_b64 vcc, exec, s[4:5]
	v_mov_b64_e32 v[138:139], 0
	s_cbranch_vccnz .LBB38_147
; %bb.2:
	v_and_b32_e32 v1, 0x3ff, v0
	v_mov_b32_e32 v3, 0
	v_mov_b32_e32 v141, v0
	v_bfe_u32 v0, v0, 10, 10
	v_lshlrev_b32_e32 v6, 5, v0
	v_mov_b32_e32 v7, v3
	v_accvgpr_write_b32 a2, v1
	v_add_u32_e32 v2, s3, v1
	v_accvgpr_write_b32 a3, v0
	v_lshl_add_u64 v[0:1], v[6:7], 0, s[10:11]
	v_cmp_gt_i64_e64 s[6:7], s[14:15], v[2:3]
	v_accvgpr_write_b32 a5, v3
	v_lshlrev_b64 v[8:9], 3, v[2:3]
	v_mul_lo_u32 v4, s15, v0
	v_mul_lo_u32 v5, s14, v1
	v_mad_u64_u32 v[2:3], s[28:29], s14, v0, 0
	v_add3_u32 v3, v3, v5, v4
	v_lshlrev_b64 v[2:3], 3, v[2:3]
	v_lshl_add_u64 v[10:11], s[16:17], 0, v[2:3]
	v_lshl_add_u64 v[12:13], s[18:19], 0, v[2:3]
	v_lshl_add_u64 v[2:3], v[0:1], 0, 31
	v_mul_lo_u32 v14, s15, v2
	v_mul_lo_u32 v15, s14, v3
	v_mad_u64_u32 v[2:3], s[34:35], s14, v2, 0
	v_add3_u32 v3, v3, v15, v14
	v_lshlrev_b64 v[2:3], 3, v[2:3]
	v_lshl_add_u64 v[14:15], s[16:17], 0, v[2:3]
	v_lshl_add_u64 v[16:17], s[18:19], 0, v[2:3]
	v_lshl_add_u64 v[2:3], v[0:1], 0, 30
	;; [unrolled: 8-line block ×29, first 2 shown]
	v_mul_lo_u32 v126, s15, v2
	v_mul_lo_u32 v127, s14, v3
	v_mad_u64_u32 v[2:3], s[34:35], s14, v2, 0
	v_add3_u32 v3, v3, v127, v126
	v_lshlrev_b64 v[2:3], 3, v[2:3]
	s_load_dword s9, s[0:1], 0x44
	v_lshl_add_u64 v[126:127], s[16:17], 0, v[2:3]
	v_lshl_add_u64 v[128:129], s[18:19], 0, v[2:3]
	v_lshl_add_u64 v[2:3], v[0:1], 0, 2
	v_mul_lo_u32 v1, s15, v2
	v_mul_lo_u32 v130, s14, v3
	v_mad_u64_u32 v[2:3], s[34:35], s14, v2, 0
	v_add3_u32 v3, v3, v130, v1
	v_lshlrev_b64 v[2:3], 3, v[2:3]
	s_add_u32 s26, s0, 64
	v_lshl_add_u64 v[130:131], s[16:17], 0, v[2:3]
	v_lshl_add_u64 v[132:133], s[18:19], 0, v[2:3]
	v_mov_b64_e32 v[2:3], s[14:15]
	s_addc_u32 s27, s1, 0
	s_waitcnt lgkmcnt(0)
	s_lshl_b32 s24, s9, 5
	v_mad_u64_u32 v[0:1], s[34:35], s14, v0, v[2:3]
	v_mbcnt_lo_u32_b32 v2, -1, 0
	s_mul_i32 s9, s15, s24
	s_mul_hi_u32 s28, s14, s24
	v_add3_u32 v1, v4, v1, v5
	v_mbcnt_hi_u32_b32 v2, -1, v2
	s_add_i32 s29, s28, s9
	s_mul_i32 s28, s14, s24
	v_lshlrev_b64 v[0:1], 3, v[0:1]
	v_lshlrev_b32_e32 v2, 2, v2
	v_accvgpr_write_b32 a0, 0
	s_mov_b32 s25, 0
	s_lshl_b64 s[28:29], s[28:29], 3
	s_mov_b64 s[30:31], 31
	v_lshl_add_u64 v[134:135], s[16:17], 0, v[0:1]
	v_lshl_add_u64 v[136:137], s[18:19], 0, v[0:1]
	v_mov_b64_e32 v[0:1], 0
	v_and_b32_e32 v140, 0x100, v2
	v_accvgpr_write_b32 a1, 0
	s_mov_b64 s[34:35], s[10:11]
.LBB38_3:                               ; =>This Inner Loop Header: Depth=1
	s_add_u32 s36, s10, s30
	s_addc_u32 s37, 0, s31
	v_mov_b64_e32 v[2:3], s[12:13]
	v_cmp_ge_i64_e32 vcc, s[36:37], v[2:3]
	v_lshl_add_u64 v[144:145], s[10:11], 0, v[6:7]
	s_mov_b64 s[36:37], -1
	s_and_b64 vcc, exec, vcc
                                        ; implicit-def: $vgpr4_vgpr5
                                        ; implicit-def: $agpr6_agpr7
                                        ; implicit-def: $agpr8_agpr9
                                        ; implicit-def: $vgpr142
                                        ; implicit-def: $vgpr2_vgpr3
                                        ; implicit-def: $vgpr138_vgpr139
	s_cbranch_vccz .LBB38_73
; %bb.4:                                ;   in Loop: Header=BB38_3 Depth=1
	s_load_dword s9, s[26:27], 0xc
	v_accvgpr_read_b32 v2, a2
	v_accvgpr_read_b32 v3, a3
	v_mov_b64_e32 v[158:159], 0
	v_mov_b64_e32 v[148:149], 0
	s_waitcnt lgkmcnt(0)
	s_and_b32 s9, s9, 0xffff
	v_mad_u32_u24 v2, v3, s9, v2
	v_accvgpr_read_b32 v3, a5
	v_and_b32_e32 v2, 63, v2
	v_accvgpr_write_b32 a5, v3
	v_accvgpr_write_b32 a4, v2
	v_cmp_gt_u32_e32 vcc, 32, v2
	v_mov_b64_e32 v[146:147], 0
	s_and_saveexec_b64 s[36:37], vcc
	s_cbranch_execz .LBB38_8
; %bb.5:                                ;   in Loop: Header=BB38_3 Depth=1
	v_accvgpr_read_b32 v2, a4
	v_accvgpr_read_b32 v3, a5
	v_lshl_add_u64 v[2:3], v[144:145], 0, v[2:3]
	v_cmp_gt_i64_e32 vcc, s[12:13], v[2:3]
	v_mov_b64_e32 v[146:147], 0
	v_mov_b64_e32 v[148:149], 0
	s_and_saveexec_b64 s[38:39], vcc
	s_cbranch_execz .LBB38_7
; %bb.6:                                ;   in Loop: Header=BB38_3 Depth=1
	v_lshlrev_b64 v[2:3], 3, v[2:3]
	v_lshl_add_u64 v[4:5], s[22:23], 0, v[2:3]
	v_lshl_add_u64 v[2:3], s[20:21], 0, v[2:3]
	global_load_dwordx2 v[146:147], v[2:3], off
	global_load_dwordx2 v[148:149], v[4:5], off
.LBB38_7:                               ;   in Loop: Header=BB38_3 Depth=1
	s_or_b64 exec, exec, s[38:39]
.LBB38_8:                               ;   in Loop: Header=BB38_3 Depth=1
	s_or_b64 exec, exec, s[36:37]
	v_cmp_gt_i64_e32 vcc, s[12:13], v[144:145]
	s_and_b64 s[38:39], s[6:7], vcc
	v_mov_b64_e32 v[138:139], 0
	s_and_saveexec_b64 s[36:37], s[38:39]
	s_cbranch_execz .LBB38_10
; %bb.9:                                ;   in Loop: Header=BB38_3 Depth=1
	v_lshl_add_u64 v[2:3], v[10:11], 0, v[8:9]
	global_load_dwordx2 v[158:159], v[2:3], off
	v_lshl_add_u64 v[2:3], v[12:13], 0, v[8:9]
	global_load_dwordx2 v[138:139], v[2:3], off
.LBB38_10:                              ;   in Loop: Header=BB38_3 Depth=1
	s_or_b64 exec, exec, s[36:37]
	v_lshl_add_u64 v[2:3], v[144:145], 0, 1
	v_cmp_gt_i64_e32 vcc, s[12:13], v[2:3]
	s_and_b64 s[38:39], s[6:7], vcc
	v_mov_b64_e32 v[4:5], 0
	v_mov_b64_e32 v[2:3], 0
	;; [unrolled: 1-line block ×3, first 2 shown]
	s_and_saveexec_b64 s[36:37], s[38:39]
	s_cbranch_execz .LBB38_12
; %bb.11:                               ;   in Loop: Header=BB38_3 Depth=1
	v_lshl_add_u64 v[2:3], v[134:135], 0, v[8:9]
	v_lshl_add_u64 v[142:143], v[136:137], 0, v[8:9]
	global_load_dwordx2 v[2:3], v[2:3], off
	s_nop 0
	global_load_dwordx2 v[166:167], v[142:143], off
.LBB38_12:                              ;   in Loop: Header=BB38_3 Depth=1
	s_or_b64 exec, exec, s[36:37]
	v_lshl_add_u64 v[142:143], v[144:145], 0, 2
	v_cmp_gt_i64_e32 vcc, s[12:13], v[142:143]
	s_and_b64 s[38:39], s[6:7], vcc
	v_mov_b64_e32 v[160:161], 0
	s_and_saveexec_b64 s[36:37], s[38:39]
	s_cbranch_execz .LBB38_14
; %bb.13:                               ;   in Loop: Header=BB38_3 Depth=1
	v_lshl_add_u64 v[4:5], v[130:131], 0, v[8:9]
	v_lshl_add_u64 v[142:143], v[132:133], 0, v[8:9]
	global_load_dwordx2 v[4:5], v[4:5], off
	s_nop 0
	global_load_dwordx2 v[160:161], v[142:143], off
.LBB38_14:                              ;   in Loop: Header=BB38_3 Depth=1
	s_or_b64 exec, exec, s[36:37]
	v_lshl_add_u64 v[142:143], v[144:145], 0, 3
	v_cmp_gt_i64_e32 vcc, s[12:13], v[142:143]
	s_and_b64 s[38:39], s[6:7], vcc
	v_mov_b64_e32 v[248:249], 0
	v_mov_b64_e32 v[142:143], 0
	;; [unrolled: 1-line block ×3, first 2 shown]
	s_and_saveexec_b64 s[36:37], s[38:39]
	s_cbranch_execz .LBB38_16
; %bb.15:                               ;   in Loop: Header=BB38_3 Depth=1
	v_lshl_add_u64 v[142:143], v[126:127], 0, v[8:9]
	v_lshl_add_u64 v[150:151], v[128:129], 0, v[8:9]
	global_load_dwordx2 v[142:143], v[142:143], off
	s_nop 0
	global_load_dwordx2 v[152:153], v[150:151], off
.LBB38_16:                              ;   in Loop: Header=BB38_3 Depth=1
	s_or_b64 exec, exec, s[36:37]
	v_lshl_add_u64 v[150:151], v[144:145], 0, 4
	v_cmp_gt_i64_e32 vcc, s[12:13], v[150:151]
	s_and_b64 s[38:39], s[6:7], vcc
	v_mov_b64_e32 v[254:255], 0
	s_and_saveexec_b64 s[36:37], s[38:39]
	s_cbranch_execz .LBB38_18
; %bb.17:                               ;   in Loop: Header=BB38_3 Depth=1
	v_lshl_add_u64 v[150:151], v[122:123], 0, v[8:9]
	global_load_dwordx2 v[248:249], v[150:151], off
	v_lshl_add_u64 v[150:151], v[124:125], 0, v[8:9]
	global_load_dwordx2 v[254:255], v[150:151], off
.LBB38_18:                              ;   in Loop: Header=BB38_3 Depth=1
	s_or_b64 exec, exec, s[36:37]
	v_lshl_add_u64 v[150:151], v[144:145], 0, 5
	v_cmp_gt_i64_e32 vcc, s[12:13], v[150:151]
	s_and_b64 s[38:39], s[6:7], vcc
	v_mov_b64_e32 v[240:241], 0
	v_mov_b64_e32 v[250:251], 0
	v_mov_b64_e32 v[252:253], 0
	s_and_saveexec_b64 s[36:37], s[38:39]
	s_cbranch_execz .LBB38_20
; %bb.19:                               ;   in Loop: Header=BB38_3 Depth=1
	v_lshl_add_u64 v[150:151], v[118:119], 0, v[8:9]
	global_load_dwordx2 v[250:251], v[150:151], off
	v_lshl_add_u64 v[150:151], v[120:121], 0, v[8:9]
	global_load_dwordx2 v[252:253], v[150:151], off
.LBB38_20:                              ;   in Loop: Header=BB38_3 Depth=1
	s_or_b64 exec, exec, s[36:37]
	v_lshl_add_u64 v[150:151], v[144:145], 0, 6
	v_cmp_gt_i64_e32 vcc, s[12:13], v[150:151]
	s_and_b64 s[38:39], s[6:7], vcc
	v_mov_b64_e32 v[246:247], 0
	s_and_saveexec_b64 s[36:37], s[38:39]
	s_cbranch_execz .LBB38_22
; %bb.21:                               ;   in Loop: Header=BB38_3 Depth=1
	v_lshl_add_u64 v[150:151], v[114:115], 0, v[8:9]
	global_load_dwordx2 v[240:241], v[150:151], off
	v_lshl_add_u64 v[150:151], v[116:117], 0, v[8:9]
	global_load_dwordx2 v[246:247], v[150:151], off
.LBB38_22:                              ;   in Loop: Header=BB38_3 Depth=1
	s_or_b64 exec, exec, s[36:37]
	v_lshl_add_u64 v[150:151], v[144:145], 0, 7
	v_cmp_gt_i64_e32 vcc, s[12:13], v[150:151]
	s_and_b64 s[38:39], s[6:7], vcc
	v_mov_b64_e32 v[232:233], 0
	v_mov_b64_e32 v[242:243], 0
	v_mov_b64_e32 v[244:245], 0
	s_and_saveexec_b64 s[36:37], s[38:39]
	s_cbranch_execz .LBB38_24
; %bb.23:                               ;   in Loop: Header=BB38_3 Depth=1
	v_lshl_add_u64 v[150:151], v[110:111], 0, v[8:9]
	global_load_dwordx2 v[242:243], v[150:151], off
	v_lshl_add_u64 v[150:151], v[112:113], 0, v[8:9]
	global_load_dwordx2 v[244:245], v[150:151], off
.LBB38_24:                              ;   in Loop: Header=BB38_3 Depth=1
	s_or_b64 exec, exec, s[36:37]
	v_lshl_add_u64 v[150:151], v[144:145], 0, 8
	v_cmp_gt_i64_e32 vcc, s[12:13], v[150:151]
	s_and_b64 s[38:39], s[6:7], vcc
	v_mov_b64_e32 v[238:239], 0
	s_and_saveexec_b64 s[36:37], s[38:39]
	s_cbranch_execz .LBB38_26
; %bb.25:                               ;   in Loop: Header=BB38_3 Depth=1
	v_lshl_add_u64 v[150:151], v[106:107], 0, v[8:9]
	global_load_dwordx2 v[232:233], v[150:151], off
	v_lshl_add_u64 v[150:151], v[108:109], 0, v[8:9]
	global_load_dwordx2 v[238:239], v[150:151], off
.LBB38_26:                              ;   in Loop: Header=BB38_3 Depth=1
	s_or_b64 exec, exec, s[36:37]
	v_lshl_add_u64 v[150:151], v[144:145], 0, 9
	v_cmp_gt_i64_e32 vcc, s[12:13], v[150:151]
	s_and_b64 s[38:39], s[6:7], vcc
	v_mov_b64_e32 v[224:225], 0
	v_mov_b64_e32 v[234:235], 0
	v_mov_b64_e32 v[236:237], 0
	s_and_saveexec_b64 s[36:37], s[38:39]
	s_cbranch_execz .LBB38_28
; %bb.27:                               ;   in Loop: Header=BB38_3 Depth=1
	v_lshl_add_u64 v[150:151], v[102:103], 0, v[8:9]
	global_load_dwordx2 v[234:235], v[150:151], off
	v_lshl_add_u64 v[150:151], v[104:105], 0, v[8:9]
	global_load_dwordx2 v[236:237], v[150:151], off
.LBB38_28:                              ;   in Loop: Header=BB38_3 Depth=1
	s_or_b64 exec, exec, s[36:37]
	v_lshl_add_u64 v[150:151], v[144:145], 0, 10
	v_cmp_gt_i64_e32 vcc, s[12:13], v[150:151]
	s_and_b64 s[38:39], s[6:7], vcc
	v_mov_b64_e32 v[230:231], 0
	s_and_saveexec_b64 s[36:37], s[38:39]
	s_cbranch_execz .LBB38_30
; %bb.29:                               ;   in Loop: Header=BB38_3 Depth=1
	v_lshl_add_u64 v[150:151], v[98:99], 0, v[8:9]
	global_load_dwordx2 v[224:225], v[150:151], off
	v_lshl_add_u64 v[150:151], v[100:101], 0, v[8:9]
	global_load_dwordx2 v[230:231], v[150:151], off
.LBB38_30:                              ;   in Loop: Header=BB38_3 Depth=1
	s_or_b64 exec, exec, s[36:37]
	v_lshl_add_u64 v[150:151], v[144:145], 0, 11
	v_cmp_gt_i64_e32 vcc, s[12:13], v[150:151]
	s_and_b64 s[38:39], s[6:7], vcc
	v_mov_b64_e32 v[216:217], 0
	v_mov_b64_e32 v[226:227], 0
	v_mov_b64_e32 v[228:229], 0
	s_and_saveexec_b64 s[36:37], s[38:39]
	s_cbranch_execz .LBB38_32
; %bb.31:                               ;   in Loop: Header=BB38_3 Depth=1
	v_lshl_add_u64 v[150:151], v[94:95], 0, v[8:9]
	global_load_dwordx2 v[226:227], v[150:151], off
	v_lshl_add_u64 v[150:151], v[96:97], 0, v[8:9]
	global_load_dwordx2 v[228:229], v[150:151], off
.LBB38_32:                              ;   in Loop: Header=BB38_3 Depth=1
	s_or_b64 exec, exec, s[36:37]
	v_lshl_add_u64 v[150:151], v[144:145], 0, 12
	v_cmp_gt_i64_e32 vcc, s[12:13], v[150:151]
	s_and_b64 s[38:39], s[6:7], vcc
	v_mov_b64_e32 v[222:223], 0
	s_and_saveexec_b64 s[36:37], s[38:39]
	s_cbranch_execz .LBB38_34
; %bb.33:                               ;   in Loop: Header=BB38_3 Depth=1
	v_lshl_add_u64 v[150:151], v[90:91], 0, v[8:9]
	global_load_dwordx2 v[216:217], v[150:151], off
	v_lshl_add_u64 v[150:151], v[92:93], 0, v[8:9]
	global_load_dwordx2 v[222:223], v[150:151], off
.LBB38_34:                              ;   in Loop: Header=BB38_3 Depth=1
	s_or_b64 exec, exec, s[36:37]
	v_lshl_add_u64 v[150:151], v[144:145], 0, 13
	v_cmp_gt_i64_e32 vcc, s[12:13], v[150:151]
	s_and_b64 s[38:39], s[6:7], vcc
	v_mov_b64_e32 v[208:209], 0
	v_mov_b64_e32 v[218:219], 0
	v_mov_b64_e32 v[220:221], 0
	s_and_saveexec_b64 s[36:37], s[38:39]
	s_cbranch_execz .LBB38_36
; %bb.35:                               ;   in Loop: Header=BB38_3 Depth=1
	v_lshl_add_u64 v[150:151], v[86:87], 0, v[8:9]
	global_load_dwordx2 v[218:219], v[150:151], off
	v_lshl_add_u64 v[150:151], v[88:89], 0, v[8:9]
	global_load_dwordx2 v[220:221], v[150:151], off
.LBB38_36:                              ;   in Loop: Header=BB38_3 Depth=1
	s_or_b64 exec, exec, s[36:37]
	v_lshl_add_u64 v[150:151], v[144:145], 0, 14
	v_cmp_gt_i64_e32 vcc, s[12:13], v[150:151]
	s_and_b64 s[38:39], s[6:7], vcc
	v_mov_b64_e32 v[214:215], 0
	s_and_saveexec_b64 s[36:37], s[38:39]
	s_cbranch_execz .LBB38_38
; %bb.37:                               ;   in Loop: Header=BB38_3 Depth=1
	v_lshl_add_u64 v[150:151], v[82:83], 0, v[8:9]
	global_load_dwordx2 v[208:209], v[150:151], off
	v_lshl_add_u64 v[150:151], v[84:85], 0, v[8:9]
	global_load_dwordx2 v[214:215], v[150:151], off
.LBB38_38:                              ;   in Loop: Header=BB38_3 Depth=1
	s_or_b64 exec, exec, s[36:37]
	v_lshl_add_u64 v[150:151], v[144:145], 0, 15
	v_cmp_gt_i64_e32 vcc, s[12:13], v[150:151]
	s_and_b64 s[38:39], s[6:7], vcc
	v_mov_b64_e32 v[200:201], 0
	v_mov_b64_e32 v[210:211], 0
	v_mov_b64_e32 v[212:213], 0
	s_and_saveexec_b64 s[36:37], s[38:39]
	s_cbranch_execz .LBB38_40
; %bb.39:                               ;   in Loop: Header=BB38_3 Depth=1
	v_lshl_add_u64 v[150:151], v[78:79], 0, v[8:9]
	global_load_dwordx2 v[210:211], v[150:151], off
	v_lshl_add_u64 v[150:151], v[80:81], 0, v[8:9]
	global_load_dwordx2 v[212:213], v[150:151], off
.LBB38_40:                              ;   in Loop: Header=BB38_3 Depth=1
	s_or_b64 exec, exec, s[36:37]
	v_lshl_add_u64 v[150:151], v[144:145], 0, 16
	v_cmp_gt_i64_e32 vcc, s[12:13], v[150:151]
	s_and_b64 s[38:39], s[6:7], vcc
	v_mov_b64_e32 v[206:207], 0
	s_and_saveexec_b64 s[36:37], s[38:39]
	s_cbranch_execz .LBB38_42
; %bb.41:                               ;   in Loop: Header=BB38_3 Depth=1
	v_lshl_add_u64 v[150:151], v[74:75], 0, v[8:9]
	global_load_dwordx2 v[200:201], v[150:151], off
	v_lshl_add_u64 v[150:151], v[76:77], 0, v[8:9]
	global_load_dwordx2 v[206:207], v[150:151], off
.LBB38_42:                              ;   in Loop: Header=BB38_3 Depth=1
	s_or_b64 exec, exec, s[36:37]
	v_lshl_add_u64 v[150:151], v[144:145], 0, 17
	v_cmp_gt_i64_e32 vcc, s[12:13], v[150:151]
	s_and_b64 s[38:39], s[6:7], vcc
	v_mov_b64_e32 v[192:193], 0
	v_mov_b64_e32 v[202:203], 0
	v_mov_b64_e32 v[204:205], 0
	s_and_saveexec_b64 s[36:37], s[38:39]
	s_cbranch_execz .LBB38_44
; %bb.43:                               ;   in Loop: Header=BB38_3 Depth=1
	v_lshl_add_u64 v[150:151], v[70:71], 0, v[8:9]
	global_load_dwordx2 v[202:203], v[150:151], off
	v_lshl_add_u64 v[150:151], v[72:73], 0, v[8:9]
	global_load_dwordx2 v[204:205], v[150:151], off
.LBB38_44:                              ;   in Loop: Header=BB38_3 Depth=1
	s_or_b64 exec, exec, s[36:37]
	v_lshl_add_u64 v[150:151], v[144:145], 0, 18
	v_cmp_gt_i64_e32 vcc, s[12:13], v[150:151]
	s_and_b64 s[38:39], s[6:7], vcc
	v_mov_b64_e32 v[198:199], 0
	s_and_saveexec_b64 s[36:37], s[38:39]
	s_cbranch_execz .LBB38_46
; %bb.45:                               ;   in Loop: Header=BB38_3 Depth=1
	v_lshl_add_u64 v[150:151], v[66:67], 0, v[8:9]
	global_load_dwordx2 v[192:193], v[150:151], off
	v_lshl_add_u64 v[150:151], v[68:69], 0, v[8:9]
	global_load_dwordx2 v[198:199], v[150:151], off
.LBB38_46:                              ;   in Loop: Header=BB38_3 Depth=1
	s_or_b64 exec, exec, s[36:37]
	v_lshl_add_u64 v[150:151], v[144:145], 0, 19
	v_cmp_gt_i64_e32 vcc, s[12:13], v[150:151]
	s_and_b64 s[38:39], s[6:7], vcc
	v_mov_b64_e32 v[184:185], 0
	v_mov_b64_e32 v[194:195], 0
	v_mov_b64_e32 v[196:197], 0
	s_and_saveexec_b64 s[36:37], s[38:39]
	s_cbranch_execz .LBB38_48
; %bb.47:                               ;   in Loop: Header=BB38_3 Depth=1
	v_lshl_add_u64 v[150:151], v[62:63], 0, v[8:9]
	global_load_dwordx2 v[194:195], v[150:151], off
	v_lshl_add_u64 v[150:151], v[64:65], 0, v[8:9]
	global_load_dwordx2 v[196:197], v[150:151], off
.LBB38_48:                              ;   in Loop: Header=BB38_3 Depth=1
	s_or_b64 exec, exec, s[36:37]
	v_lshl_add_u64 v[150:151], v[144:145], 0, 20
	v_cmp_gt_i64_e32 vcc, s[12:13], v[150:151]
	s_and_b64 s[38:39], s[6:7], vcc
	v_mov_b64_e32 v[190:191], 0
	s_and_saveexec_b64 s[36:37], s[38:39]
	s_cbranch_execz .LBB38_50
; %bb.49:                               ;   in Loop: Header=BB38_3 Depth=1
	v_lshl_add_u64 v[150:151], v[58:59], 0, v[8:9]
	global_load_dwordx2 v[184:185], v[150:151], off
	v_lshl_add_u64 v[150:151], v[60:61], 0, v[8:9]
	global_load_dwordx2 v[190:191], v[150:151], off
.LBB38_50:                              ;   in Loop: Header=BB38_3 Depth=1
	s_or_b64 exec, exec, s[36:37]
	v_lshl_add_u64 v[150:151], v[144:145], 0, 21
	v_cmp_gt_i64_e32 vcc, s[12:13], v[150:151]
	s_and_b64 s[38:39], s[6:7], vcc
	v_mov_b64_e32 v[176:177], 0
	v_mov_b64_e32 v[186:187], 0
	v_mov_b64_e32 v[188:189], 0
	s_and_saveexec_b64 s[36:37], s[38:39]
	s_cbranch_execz .LBB38_52
; %bb.51:                               ;   in Loop: Header=BB38_3 Depth=1
	v_lshl_add_u64 v[150:151], v[54:55], 0, v[8:9]
	global_load_dwordx2 v[186:187], v[150:151], off
	v_lshl_add_u64 v[150:151], v[56:57], 0, v[8:9]
	global_load_dwordx2 v[188:189], v[150:151], off
.LBB38_52:                              ;   in Loop: Header=BB38_3 Depth=1
	s_or_b64 exec, exec, s[36:37]
	v_lshl_add_u64 v[150:151], v[144:145], 0, 22
	v_cmp_gt_i64_e32 vcc, s[12:13], v[150:151]
	s_and_b64 s[38:39], s[6:7], vcc
	v_mov_b64_e32 v[182:183], 0
	s_and_saveexec_b64 s[36:37], s[38:39]
	s_cbranch_execz .LBB38_54
; %bb.53:                               ;   in Loop: Header=BB38_3 Depth=1
	v_lshl_add_u64 v[150:151], v[50:51], 0, v[8:9]
	global_load_dwordx2 v[176:177], v[150:151], off
	v_lshl_add_u64 v[150:151], v[52:53], 0, v[8:9]
	global_load_dwordx2 v[182:183], v[150:151], off
.LBB38_54:                              ;   in Loop: Header=BB38_3 Depth=1
	s_or_b64 exec, exec, s[36:37]
	v_lshl_add_u64 v[150:151], v[144:145], 0, 23
	v_cmp_gt_i64_e32 vcc, s[12:13], v[150:151]
	s_and_b64 s[38:39], s[6:7], vcc
	v_mov_b64_e32 v[168:169], 0
	v_mov_b64_e32 v[178:179], 0
	v_mov_b64_e32 v[180:181], 0
	s_and_saveexec_b64 s[36:37], s[38:39]
	s_cbranch_execz .LBB38_56
; %bb.55:                               ;   in Loop: Header=BB38_3 Depth=1
	v_lshl_add_u64 v[150:151], v[46:47], 0, v[8:9]
	global_load_dwordx2 v[178:179], v[150:151], off
	v_lshl_add_u64 v[150:151], v[48:49], 0, v[8:9]
	global_load_dwordx2 v[180:181], v[150:151], off
.LBB38_56:                              ;   in Loop: Header=BB38_3 Depth=1
	s_or_b64 exec, exec, s[36:37]
	v_lshl_add_u64 v[150:151], v[144:145], 0, 24
	v_cmp_gt_i64_e32 vcc, s[12:13], v[150:151]
	v_accvgpr_write_b32 a22, 0
	s_and_b64 s[38:39], s[6:7], vcc
	v_accvgpr_write_b32 a23, 0
	s_and_saveexec_b64 s[36:37], s[38:39]
	s_cbranch_execz .LBB38_58
; %bb.57:                               ;   in Loop: Header=BB38_3 Depth=1
	v_lshl_add_u64 v[150:151], v[42:43], 0, v[8:9]
	global_load_dwordx2 v[168:169], v[150:151], off
	v_lshl_add_u64 v[150:151], v[44:45], 0, v[8:9]
	global_load_dwordx2 a[22:23], v[150:151], off
.LBB38_58:                              ;   in Loop: Header=BB38_3 Depth=1
	s_or_b64 exec, exec, s[36:37]
	v_lshl_add_u64 v[150:151], v[144:145], 0, 25
	v_cmp_gt_i64_e32 vcc, s[12:13], v[150:151]
	v_accvgpr_write_b32 a20, 0
	s_and_b64 s[38:39], s[6:7], vcc
	v_mov_b64_e32 v[162:163], 0
	v_mov_b64_e32 v[170:171], 0
	v_accvgpr_write_b32 a21, 0
	s_and_saveexec_b64 s[36:37], s[38:39]
	s_cbranch_execz .LBB38_60
; %bb.59:                               ;   in Loop: Header=BB38_3 Depth=1
	v_lshl_add_u64 v[150:151], v[38:39], 0, v[8:9]
	global_load_dwordx2 v[170:171], v[150:151], off
	v_lshl_add_u64 v[150:151], v[40:41], 0, v[8:9]
	global_load_dwordx2 a[20:21], v[150:151], off
.LBB38_60:                              ;   in Loop: Header=BB38_3 Depth=1
	s_or_b64 exec, exec, s[36:37]
	v_lshl_add_u64 v[150:151], v[144:145], 0, 26
	v_cmp_gt_i64_e32 vcc, s[12:13], v[150:151]
	v_accvgpr_write_b32 a18, 0
	s_and_b64 s[38:39], s[6:7], vcc
	v_accvgpr_write_b32 a19, 0
	s_and_saveexec_b64 s[36:37], s[38:39]
	s_cbranch_execz .LBB38_62
; %bb.61:                               ;   in Loop: Header=BB38_3 Depth=1
	v_lshl_add_u64 v[150:151], v[34:35], 0, v[8:9]
	global_load_dwordx2 v[162:163], v[150:151], off
	v_lshl_add_u64 v[150:151], v[36:37], 0, v[8:9]
	global_load_dwordx2 a[18:19], v[150:151], off
.LBB38_62:                              ;   in Loop: Header=BB38_3 Depth=1
	s_or_b64 exec, exec, s[36:37]
	v_lshl_add_u64 v[150:151], v[144:145], 0, 27
	v_cmp_gt_i64_e32 vcc, s[12:13], v[150:151]
	v_accvgpr_write_b32 a16, 0
	s_and_b64 s[38:39], s[6:7], vcc
	v_mov_b64_e32 v[154:155], 0
	v_mov_b64_e32 v[164:165], 0
	v_accvgpr_write_b32 a17, 0
	s_and_saveexec_b64 s[36:37], s[38:39]
	s_cbranch_execz .LBB38_64
; %bb.63:                               ;   in Loop: Header=BB38_3 Depth=1
	v_lshl_add_u64 v[150:151], v[30:31], 0, v[8:9]
	global_load_dwordx2 v[164:165], v[150:151], off
	v_lshl_add_u64 v[150:151], v[32:33], 0, v[8:9]
	global_load_dwordx2 a[16:17], v[150:151], off
.LBB38_64:                              ;   in Loop: Header=BB38_3 Depth=1
	s_or_b64 exec, exec, s[36:37]
	v_lshl_add_u64 v[150:151], v[144:145], 0, 28
	v_cmp_gt_i64_e32 vcc, s[12:13], v[150:151]
	v_accvgpr_write_b32 a14, 0
	s_and_b64 s[38:39], s[6:7], vcc
	v_accvgpr_write_b32 a15, 0
	s_and_saveexec_b64 s[36:37], s[38:39]
	s_cbranch_execz .LBB38_66
; %bb.65:                               ;   in Loop: Header=BB38_3 Depth=1
	v_lshl_add_u64 v[150:151], v[26:27], 0, v[8:9]
	global_load_dwordx2 v[154:155], v[150:151], off
	v_lshl_add_u64 v[150:151], v[28:29], 0, v[8:9]
	global_load_dwordx2 a[14:15], v[150:151], off
.LBB38_66:                              ;   in Loop: Header=BB38_3 Depth=1
	s_or_b64 exec, exec, s[36:37]
	v_lshl_add_u64 v[150:151], v[144:145], 0, 29
	v_cmp_gt_i64_e32 vcc, s[12:13], v[150:151]
	v_accvgpr_write_b32 a12, 0
	s_and_b64 s[38:39], s[6:7], vcc
	v_mov_b64_e32 v[150:151], 0
	v_mov_b64_e32 v[156:157], 0
	v_accvgpr_write_b32 a13, 0
	s_and_saveexec_b64 s[36:37], s[38:39]
	s_cbranch_execz .LBB38_68
; %bb.67:                               ;   in Loop: Header=BB38_3 Depth=1
	v_lshl_add_u64 v[156:157], v[22:23], 0, v[8:9]
	v_lshl_add_u64 v[172:173], v[24:25], 0, v[8:9]
	global_load_dwordx2 v[156:157], v[156:157], off
	s_nop 0
	global_load_dwordx2 a[12:13], v[172:173], off
.LBB38_68:                              ;   in Loop: Header=BB38_3 Depth=1
	s_or_b64 exec, exec, s[36:37]
	v_lshl_add_u64 v[172:173], v[144:145], 0, 30
	v_cmp_gt_i64_e32 vcc, s[12:13], v[172:173]
	v_accvgpr_write_b32 a10, 0
	s_and_b64 s[38:39], s[6:7], vcc
	v_accvgpr_write_b32 a11, 0
	s_and_saveexec_b64 s[36:37], s[38:39]
	s_cbranch_execz .LBB38_70
; %bb.69:                               ;   in Loop: Header=BB38_3 Depth=1
	v_lshl_add_u64 v[150:151], v[18:19], 0, v[8:9]
	v_lshl_add_u64 v[172:173], v[20:21], 0, v[8:9]
	global_load_dwordx2 v[150:151], v[150:151], off
	s_nop 0
	global_load_dwordx2 a[10:11], v[172:173], off
.LBB38_70:                              ;   in Loop: Header=BB38_3 Depth=1
	s_or_b64 exec, exec, s[36:37]
	v_lshl_add_u64 v[172:173], v[144:145], 0, 31
	v_cmp_gt_i64_e32 vcc, s[12:13], v[172:173]
	v_accvgpr_write_b32 a6, 0
	v_accvgpr_write_b32 a8, 0
	s_and_b64 s[38:39], s[6:7], vcc
	v_accvgpr_write_b32 a7, 0
	v_accvgpr_write_b32 a9, 0
	s_and_saveexec_b64 s[36:37], s[38:39]
	s_cbranch_execz .LBB38_72
; %bb.71:                               ;   in Loop: Header=BB38_3 Depth=1
	v_lshl_add_u64 v[172:173], v[14:15], 0, v[8:9]
	global_load_dwordx2 a[6:7], v[172:173], off
	v_lshl_add_u64 v[172:173], v[16:17], 0, v[8:9]
	global_load_dwordx2 a[8:9], v[172:173], off
.LBB38_72:                              ;   in Loop: Header=BB38_3 Depth=1
	s_or_b64 exec, exec, s[36:37]
	s_waitcnt vmcnt(1)
	ds_bpermute_b32 v174, v140, v146
	ds_bpermute_b32 v175, v140, v147
	s_waitcnt vmcnt(0)
	ds_bpermute_b32 v172, v140, v148
	ds_bpermute_b32 v173, v140, v149
	s_mov_b64 s[36:37], 0
	s_waitcnt lgkmcnt(2)
	v_add_f64 v[138:139], v[138:139], -v[174:175]
	v_mul_f64 v[138:139], v[158:159], v[138:139]
	s_waitcnt lgkmcnt(0)
	v_fma_f64 v[138:139], v[138:139], v[172:173], v[0:1]
	v_accvgpr_read_b32 v173, a1
	ds_bpermute_b32 v174, v140, v146 offset:4
	ds_bpermute_b32 v175, v140, v147 offset:4
	v_accvgpr_read_b32 v172, a0
	v_add_f64 v[158:159], v[172:173], v[158:159]
	ds_bpermute_b32 v172, v140, v148 offset:4
	ds_bpermute_b32 v173, v140, v149 offset:4
	s_waitcnt lgkmcnt(2)
	v_add_f64 v[166:167], v[166:167], -v[174:175]
	v_mul_f64 v[166:167], v[2:3], v[166:167]
	v_add_f64 v[2:3], v[158:159], v[2:3]
	ds_bpermute_b32 v158, v140, v148 offset:8
	s_waitcnt lgkmcnt(1)
	v_fmac_f64_e32 v[138:139], v[166:167], v[172:173]
	ds_bpermute_b32 v166, v140, v146 offset:8
	ds_bpermute_b32 v167, v140, v147 offset:8
	;; [unrolled: 1-line block ×3, first 2 shown]
	v_add_f64 v[2:3], v[2:3], v[4:5]
	v_add_f64 v[2:3], v[2:3], v[142:143]
	;; [unrolled: 1-line block ×3, first 2 shown]
	s_waitcnt lgkmcnt(1)
	v_add_f64 v[160:161], v[160:161], -v[166:167]
	v_mul_f64 v[160:161], v[4:5], v[160:161]
	s_waitcnt lgkmcnt(0)
	v_fmac_f64_e32 v[138:139], v[160:161], v[158:159]
	ds_bpermute_b32 v158, v140, v146 offset:12
	ds_bpermute_b32 v159, v140, v147 offset:12
	ds_bpermute_b32 v4, v140, v148 offset:12
	ds_bpermute_b32 v5, v140, v149 offset:12
	v_add_f64 v[2:3], v[2:3], v[250:251]
	v_add_f64 v[2:3], v[2:3], v[240:241]
	s_waitcnt lgkmcnt(2)
	v_add_f64 v[152:153], v[152:153], -v[158:159]
	v_mul_f64 v[152:153], v[142:143], v[152:153]
	ds_bpermute_b32 v142, v140, v146 offset:16
	ds_bpermute_b32 v143, v140, v147 offset:16
	s_waitcnt lgkmcnt(2)
	v_fmac_f64_e32 v[138:139], v[152:153], v[4:5]
	ds_bpermute_b32 v4, v140, v148 offset:16
	ds_bpermute_b32 v5, v140, v149 offset:16
	v_accvgpr_read_b32 v153, a23
	s_waitcnt lgkmcnt(2)
	v_add_f64 v[142:143], v[254:255], -v[142:143]
	v_mul_f64 v[142:143], v[248:249], v[142:143]
	v_accvgpr_read_b32 v152, a22
	s_waitcnt lgkmcnt(0)
	v_fmac_f64_e32 v[138:139], v[142:143], v[4:5]
	ds_bpermute_b32 v142, v140, v146 offset:20
	ds_bpermute_b32 v143, v140, v147 offset:20
	ds_bpermute_b32 v4, v140, v148 offset:20
	ds_bpermute_b32 v5, v140, v149 offset:20
	v_add_f64 v[2:3], v[2:3], v[242:243]
	v_add_f64 v[2:3], v[2:3], v[232:233]
	s_waitcnt lgkmcnt(2)
	v_add_f64 v[142:143], v[252:253], -v[142:143]
	v_mul_f64 v[142:143], v[250:251], v[142:143]
	s_waitcnt lgkmcnt(0)
	v_fmac_f64_e32 v[138:139], v[142:143], v[4:5]
	ds_bpermute_b32 v142, v140, v146 offset:24
	ds_bpermute_b32 v143, v140, v147 offset:24
	ds_bpermute_b32 v4, v140, v148 offset:24
	ds_bpermute_b32 v5, v140, v149 offset:24
	v_add_f64 v[2:3], v[2:3], v[234:235]
	v_add_f64 v[2:3], v[2:3], v[224:225]
	s_waitcnt lgkmcnt(2)
	v_add_f64 v[142:143], v[246:247], -v[142:143]
	v_mul_f64 v[142:143], v[240:241], v[142:143]
	;; [unrolled: 11-line block ×12, first 2 shown]
	s_waitcnt lgkmcnt(0)
	v_fmac_f64_e32 v[138:139], v[142:143], v[4:5]
	ds_bpermute_b32 v142, v140, v146 offset:68
	ds_bpermute_b32 v143, v140, v147 offset:68
	ds_bpermute_b32 v4, v140, v148 offset:68
	ds_bpermute_b32 v5, v140, v149 offset:68
	s_waitcnt lgkmcnt(2)
	v_add_f64 v[142:143], v[204:205], -v[142:143]
	v_mul_f64 v[142:143], v[202:203], v[142:143]
	s_waitcnt lgkmcnt(0)
	v_fmac_f64_e32 v[138:139], v[142:143], v[4:5]
	ds_bpermute_b32 v142, v140, v146 offset:72
	ds_bpermute_b32 v143, v140, v147 offset:72
	ds_bpermute_b32 v4, v140, v148 offset:72
	ds_bpermute_b32 v5, v140, v149 offset:72
	s_waitcnt lgkmcnt(2)
	v_add_f64 v[142:143], v[198:199], -v[142:143]
	v_mul_f64 v[142:143], v[192:193], v[142:143]
	;; [unrolled: 9-line block ×8, first 2 shown]
	s_waitcnt lgkmcnt(0)
	v_fmac_f64_e32 v[138:139], v[142:143], v[4:5]
	ds_bpermute_b32 v142, v140, v146 offset:100
	ds_bpermute_b32 v143, v140, v147 offset:100
	ds_bpermute_b32 v4, v140, v148 offset:100
	ds_bpermute_b32 v5, v140, v149 offset:100
	v_accvgpr_read_b32 v153, a21
	v_accvgpr_read_b32 v152, a20
	s_waitcnt lgkmcnt(2)
	v_add_f64 v[142:143], v[152:153], -v[142:143]
	v_mul_f64 v[142:143], v[170:171], v[142:143]
	s_waitcnt lgkmcnt(0)
	v_fmac_f64_e32 v[138:139], v[142:143], v[4:5]
	ds_bpermute_b32 v142, v140, v146 offset:104
	ds_bpermute_b32 v143, v140, v147 offset:104
	ds_bpermute_b32 v4, v140, v148 offset:104
	ds_bpermute_b32 v5, v140, v149 offset:104
	v_accvgpr_read_b32 v153, a19
	v_accvgpr_read_b32 v152, a18
	s_waitcnt lgkmcnt(2)
	v_add_f64 v[142:143], v[152:153], -v[142:143]
	v_mul_f64 v[142:143], v[162:163], v[142:143]
	s_waitcnt lgkmcnt(0)
	v_fmac_f64_e32 v[138:139], v[142:143], v[4:5]
	ds_bpermute_b32 v142, v140, v146 offset:108
	ds_bpermute_b32 v143, v140, v147 offset:108
	ds_bpermute_b32 v4, v140, v148 offset:108
	ds_bpermute_b32 v5, v140, v149 offset:108
	v_accvgpr_read_b32 v153, a17
	v_accvgpr_read_b32 v152, a16
	s_waitcnt lgkmcnt(2)
	v_add_f64 v[142:143], v[152:153], -v[142:143]
	v_mul_f64 v[142:143], v[164:165], v[142:143]
	s_waitcnt lgkmcnt(0)
	v_fmac_f64_e32 v[138:139], v[142:143], v[4:5]
	ds_bpermute_b32 v142, v140, v146 offset:112
	ds_bpermute_b32 v143, v140, v147 offset:112
	ds_bpermute_b32 v4, v140, v148 offset:112
	ds_bpermute_b32 v5, v140, v149 offset:112
	v_accvgpr_read_b32 v153, a15
	v_accvgpr_read_b32 v152, a14
	s_waitcnt lgkmcnt(2)
	v_add_f64 v[142:143], v[152:153], -v[142:143]
	v_mul_f64 v[142:143], v[154:155], v[142:143]
	s_waitcnt lgkmcnt(0)
	v_fmac_f64_e32 v[138:139], v[142:143], v[4:5]
	ds_bpermute_b32 v142, v140, v146 offset:116
	ds_bpermute_b32 v143, v140, v147 offset:116
	ds_bpermute_b32 v4, v140, v148 offset:116
	ds_bpermute_b32 v5, v140, v149 offset:116
	v_accvgpr_read_b32 v153, a13
	v_accvgpr_read_b32 v152, a12
	s_waitcnt lgkmcnt(2)
	v_add_f64 v[142:143], v[152:153], -v[142:143]
	v_mul_f64 v[142:143], v[156:157], v[142:143]
	s_waitcnt lgkmcnt(0)
	v_fmac_f64_e32 v[138:139], v[142:143], v[4:5]
	ds_bpermute_b32 v142, v140, v146 offset:120
	ds_bpermute_b32 v143, v140, v147 offset:120
	ds_bpermute_b32 v4, v140, v148 offset:120
	ds_bpermute_b32 v5, v140, v149 offset:120
	v_accvgpr_read_b32 v153, a11
	v_accvgpr_read_b32 v152, a10
	s_waitcnt lgkmcnt(2)
	v_add_f64 v[142:143], v[152:153], -v[142:143]
	v_mul_f64 v[142:143], v[150:151], v[142:143]
	s_waitcnt lgkmcnt(0)
	v_fmac_f64_e32 v[138:139], v[142:143], v[4:5]
	ds_bpermute_b32 v4, v140, v148 offset:124
	ds_bpermute_b32 v5, v140, v149 offset:124
	;; [unrolled: 1-line block ×4, first 2 shown]
.LBB38_73:                              ;   in Loop: Header=BB38_3 Depth=1
	s_and_b64 vcc, exec, s[36:37]
	s_cbranch_vccz .LBB38_143
; %bb.74:                               ;   in Loop: Header=BB38_3 Depth=1
	s_load_dword s9, s[26:27], 0x0
	s_waitcnt lgkmcnt(0)
	v_accvgpr_read_b32 v5, a5
	v_accvgpr_read_b32 v3, a2
	;; [unrolled: 1-line block ×3, first 2 shown]
	v_mov_b64_e32 v[148:149], 0
	s_cmp_lt_u32 s2, s9
	s_cselect_b32 s9, 12, 18
	s_add_u32 s36, s26, s9
	s_addc_u32 s37, s27, 0
	global_load_ushort v2, v5, s[36:37]
	v_mov_b64_e32 v[146:147], 0
	v_mov_b64_e32 v[138:139], 0
	s_waitcnt vmcnt(0)
	v_mad_u32_u24 v2, v4, v2, v3
	v_and_b32_e32 v4, 63, v2
	v_accvgpr_write_b32 a4, v4
	v_accvgpr_write_b32 a5, v5
	v_cmp_gt_u32_e32 vcc, 32, v4
	s_and_saveexec_b64 s[36:37], vcc
	s_cbranch_execz .LBB38_78
; %bb.75:                               ;   in Loop: Header=BB38_3 Depth=1
	v_accvgpr_read_b32 v2, a4
	v_accvgpr_read_b32 v3, a5
	v_lshl_add_u64 v[2:3], v[144:145], 0, v[2:3]
	v_cmp_gt_i64_e32 vcc, s[12:13], v[2:3]
	v_mov_b64_e32 v[138:139], 0
	v_mov_b64_e32 v[146:147], 0
	s_and_saveexec_b64 s[38:39], vcc
	s_cbranch_execz .LBB38_77
; %bb.76:                               ;   in Loop: Header=BB38_3 Depth=1
	v_lshlrev_b64 v[2:3], 3, v[2:3]
	v_lshl_add_u64 v[4:5], s[22:23], 0, v[2:3]
	v_lshl_add_u64 v[2:3], s[20:21], 0, v[2:3]
	global_load_dwordx2 v[138:139], v[2:3], off
	global_load_dwordx2 v[146:147], v[4:5], off
.LBB38_77:                              ;   in Loop: Header=BB38_3 Depth=1
	s_or_b64 exec, exec, s[38:39]
.LBB38_78:                              ;   in Loop: Header=BB38_3 Depth=1
	s_or_b64 exec, exec, s[36:37]
	v_mov_b64_e32 v[160:161], 0
	s_and_saveexec_b64 s[36:37], s[6:7]
	s_cbranch_execz .LBB38_80
; %bb.79:                               ;   in Loop: Header=BB38_3 Depth=1
	v_lshl_add_u64 v[2:3], v[10:11], 0, v[8:9]
	global_load_dwordx2 v[148:149], v[2:3], off
	v_lshl_add_u64 v[2:3], v[12:13], 0, v[8:9]
	global_load_dwordx2 v[160:161], v[2:3], off
.LBB38_80:                              ;   in Loop: Header=BB38_3 Depth=1
	s_or_b64 exec, exec, s[36:37]
	v_mov_b64_e32 v[248:249], 0
	v_mov_b64_e32 v[154:155], 0
	v_mov_b64_e32 v[156:157], 0
	s_and_saveexec_b64 s[36:37], s[6:7]
	s_cbranch_execz .LBB38_82
; %bb.81:                               ;   in Loop: Header=BB38_3 Depth=1
	v_lshl_add_u64 v[2:3], v[134:135], 0, v[8:9]
	global_load_dwordx2 v[154:155], v[2:3], off
	v_lshl_add_u64 v[2:3], v[136:137], 0, v[8:9]
	global_load_dwordx2 v[156:157], v[2:3], off
.LBB38_82:                              ;   in Loop: Header=BB38_3 Depth=1
	s_or_b64 exec, exec, s[36:37]
	v_mov_b64_e32 v[254:255], 0
	s_and_saveexec_b64 s[36:37], s[6:7]
	s_cbranch_execz .LBB38_84
; %bb.83:                               ;   in Loop: Header=BB38_3 Depth=1
	v_lshl_add_u64 v[2:3], v[130:131], 0, v[8:9]
	global_load_dwordx2 v[248:249], v[2:3], off
	v_lshl_add_u64 v[2:3], v[132:133], 0, v[8:9]
	global_load_dwordx2 v[254:255], v[2:3], off
.LBB38_84:                              ;   in Loop: Header=BB38_3 Depth=1
	s_or_b64 exec, exec, s[36:37]
	v_mov_b64_e32 v[240:241], 0
	v_mov_b64_e32 v[250:251], 0
	v_mov_b64_e32 v[252:253], 0
	s_and_saveexec_b64 s[36:37], s[6:7]
	s_cbranch_execz .LBB38_86
; %bb.85:                               ;   in Loop: Header=BB38_3 Depth=1
	v_lshl_add_u64 v[2:3], v[126:127], 0, v[8:9]
	global_load_dwordx2 v[250:251], v[2:3], off
	v_lshl_add_u64 v[2:3], v[128:129], 0, v[8:9]
	global_load_dwordx2 v[252:253], v[2:3], off
.LBB38_86:                              ;   in Loop: Header=BB38_3 Depth=1
	;; [unrolled: 22-line block ×5, first 2 shown]
	s_or_b64 exec, exec, s[36:37]
	v_mov_b64_e32 v[226:227], 0
	s_and_saveexec_b64 s[36:37], s[6:7]
	s_cbranch_execz .LBB38_100
; %bb.99:                               ;   in Loop: Header=BB38_3 Depth=1
	v_lshl_add_u64 v[2:3], v[98:99], 0, v[8:9]
	global_load_dwordx2 v[220:221], v[2:3], off
	v_lshl_add_u64 v[2:3], v[100:101], 0, v[8:9]
	global_load_dwordx2 v[226:227], v[2:3], off
.LBB38_100:                             ;   in Loop: Header=BB38_3 Depth=1
	s_or_b64 exec, exec, s[36:37]
	v_mov_b64_e32 v[212:213], 0
	v_mov_b64_e32 v[222:223], 0
	v_mov_b64_e32 v[224:225], 0
	s_and_saveexec_b64 s[36:37], s[6:7]
	s_cbranch_execz .LBB38_102
; %bb.101:                              ;   in Loop: Header=BB38_3 Depth=1
	v_lshl_add_u64 v[2:3], v[94:95], 0, v[8:9]
	global_load_dwordx2 v[222:223], v[2:3], off
	v_lshl_add_u64 v[2:3], v[96:97], 0, v[8:9]
	global_load_dwordx2 v[224:225], v[2:3], off
.LBB38_102:                             ;   in Loop: Header=BB38_3 Depth=1
	s_or_b64 exec, exec, s[36:37]
	v_mov_b64_e32 v[218:219], 0
	s_and_saveexec_b64 s[36:37], s[6:7]
	s_cbranch_execz .LBB38_104
; %bb.103:                              ;   in Loop: Header=BB38_3 Depth=1
	v_lshl_add_u64 v[2:3], v[90:91], 0, v[8:9]
	global_load_dwordx2 v[212:213], v[2:3], off
	v_lshl_add_u64 v[2:3], v[92:93], 0, v[8:9]
	global_load_dwordx2 v[218:219], v[2:3], off
.LBB38_104:                             ;   in Loop: Header=BB38_3 Depth=1
	s_or_b64 exec, exec, s[36:37]
	v_mov_b64_e32 v[204:205], 0
	v_mov_b64_e32 v[214:215], 0
	v_mov_b64_e32 v[216:217], 0
	s_and_saveexec_b64 s[36:37], s[6:7]
	s_cbranch_execz .LBB38_106
; %bb.105:                              ;   in Loop: Header=BB38_3 Depth=1
	v_lshl_add_u64 v[2:3], v[86:87], 0, v[8:9]
	global_load_dwordx2 v[214:215], v[2:3], off
	v_lshl_add_u64 v[2:3], v[88:89], 0, v[8:9]
	global_load_dwordx2 v[216:217], v[2:3], off
.LBB38_106:                             ;   in Loop: Header=BB38_3 Depth=1
	s_or_b64 exec, exec, s[36:37]
	v_mov_b64_e32 v[210:211], 0
	s_and_saveexec_b64 s[36:37], s[6:7]
	s_cbranch_execz .LBB38_108
; %bb.107:                              ;   in Loop: Header=BB38_3 Depth=1
	v_lshl_add_u64 v[2:3], v[82:83], 0, v[8:9]
	global_load_dwordx2 v[204:205], v[2:3], off
	v_lshl_add_u64 v[2:3], v[84:85], 0, v[8:9]
	global_load_dwordx2 v[210:211], v[2:3], off
.LBB38_108:                             ;   in Loop: Header=BB38_3 Depth=1
	;; [unrolled: 22-line block ×7, first 2 shown]
	s_or_b64 exec, exec, s[36:37]
	v_accvgpr_write_b32 a20, 0
	v_mov_b64_e32 v[2:3], 0
	v_mov_b64_e32 v[166:167], 0
	v_accvgpr_write_b32 a21, 0
	s_and_saveexec_b64 s[36:37], s[6:7]
	s_cbranch_execz .LBB38_130
; %bb.129:                              ;   in Loop: Header=BB38_3 Depth=1
	v_lshl_add_u64 v[144:145], v[38:39], 0, v[8:9]
	global_load_dwordx2 v[166:167], v[144:145], off
	v_lshl_add_u64 v[144:145], v[40:41], 0, v[8:9]
	global_load_dwordx2 a[20:21], v[144:145], off
.LBB38_130:                             ;   in Loop: Header=BB38_3 Depth=1
	s_or_b64 exec, exec, s[36:37]
	v_accvgpr_write_b32 a18, 0
	v_accvgpr_write_b32 a19, 0
	s_and_saveexec_b64 s[36:37], s[6:7]
	s_cbranch_execz .LBB38_132
; %bb.131:                              ;   in Loop: Header=BB38_3 Depth=1
	v_lshl_add_u64 v[2:3], v[34:35], 0, v[8:9]
	v_lshl_add_u64 v[144:145], v[36:37], 0, v[8:9]
	global_load_dwordx2 v[2:3], v[2:3], off
	s_nop 0
	global_load_dwordx2 a[18:19], v[144:145], off
.LBB38_132:                             ;   in Loop: Header=BB38_3 Depth=1
	s_or_b64 exec, exec, s[36:37]
	v_accvgpr_write_b32 a16, 0
	v_mov_b64_e32 v[150:151], 0
	v_mov_b64_e32 v[158:159], 0
	v_accvgpr_write_b32 a17, 0
	s_and_saveexec_b64 s[36:37], s[6:7]
	s_cbranch_execz .LBB38_134
; %bb.133:                              ;   in Loop: Header=BB38_3 Depth=1
	v_lshl_add_u64 v[144:145], v[30:31], 0, v[8:9]
	global_load_dwordx2 v[158:159], v[144:145], off
	v_lshl_add_u64 v[144:145], v[32:33], 0, v[8:9]
	global_load_dwordx2 a[16:17], v[144:145], off
.LBB38_134:                             ;   in Loop: Header=BB38_3 Depth=1
	s_or_b64 exec, exec, s[36:37]
	v_accvgpr_write_b32 a14, 0
	v_accvgpr_write_b32 a15, 0
	s_and_saveexec_b64 s[36:37], s[6:7]
	s_cbranch_execz .LBB38_136
; %bb.135:                              ;   in Loop: Header=BB38_3 Depth=1
	v_lshl_add_u64 v[144:145], v[26:27], 0, v[8:9]
	global_load_dwordx2 v[150:151], v[144:145], off
	v_lshl_add_u64 v[144:145], v[28:29], 0, v[8:9]
	global_load_dwordx2 a[14:15], v[144:145], off
.LBB38_136:                             ;   in Loop: Header=BB38_3 Depth=1
	s_or_b64 exec, exec, s[36:37]
	v_accvgpr_write_b32 a12, 0
	v_mov_b64_e32 v[144:145], 0
	v_mov_b64_e32 v[152:153], 0
	v_accvgpr_write_b32 a13, 0
	s_and_saveexec_b64 s[36:37], s[6:7]
	s_cbranch_execz .LBB38_138
; %bb.137:                              ;   in Loop: Header=BB38_3 Depth=1
	v_lshl_add_u64 v[152:153], v[22:23], 0, v[8:9]
	v_lshl_add_u64 v[162:163], v[24:25], 0, v[8:9]
	global_load_dwordx2 v[152:153], v[152:153], off
	s_nop 0
	global_load_dwordx2 a[12:13], v[162:163], off
.LBB38_138:                             ;   in Loop: Header=BB38_3 Depth=1
	s_or_b64 exec, exec, s[36:37]
	v_accvgpr_write_b32 a10, 0
	v_accvgpr_write_b32 a11, 0
	s_and_saveexec_b64 s[36:37], s[6:7]
	s_cbranch_execz .LBB38_140
; %bb.139:                              ;   in Loop: Header=BB38_3 Depth=1
	v_lshl_add_u64 v[144:145], v[18:19], 0, v[8:9]
	v_lshl_add_u64 v[162:163], v[20:21], 0, v[8:9]
	global_load_dwordx2 v[144:145], v[144:145], off
	s_nop 0
	global_load_dwordx2 a[10:11], v[162:163], off
.LBB38_140:                             ;   in Loop: Header=BB38_3 Depth=1
	s_or_b64 exec, exec, s[36:37]
	v_accvgpr_write_b32 a6, 0
	v_accvgpr_write_b32 a8, 0
	;; [unrolled: 1-line block ×4, first 2 shown]
	s_and_saveexec_b64 s[36:37], s[6:7]
	s_cbranch_execz .LBB38_142
; %bb.141:                              ;   in Loop: Header=BB38_3 Depth=1
	v_lshl_add_u64 v[162:163], v[14:15], 0, v[8:9]
	global_load_dwordx2 a[6:7], v[162:163], off
	v_lshl_add_u64 v[162:163], v[16:17], 0, v[8:9]
	global_load_dwordx2 a[8:9], v[162:163], off
.LBB38_142:                             ;   in Loop: Header=BB38_3 Depth=1
	s_or_b64 exec, exec, s[36:37]
	s_waitcnt vmcnt(1)
	ds_bpermute_b32 v168, v140, v138
	ds_bpermute_b32 v169, v140, v139
	s_waitcnt vmcnt(0)
	ds_bpermute_b32 v162, v140, v146
	ds_bpermute_b32 v163, v140, v147
	s_waitcnt lgkmcnt(2)
	v_add_f64 v[160:161], v[160:161], -v[168:169]
	v_mul_f64 v[160:161], v[148:149], v[160:161]
	s_waitcnt lgkmcnt(0)
	v_fmac_f64_e32 v[0:1], v[160:161], v[162:163]
	v_accvgpr_read_b32 v161, a1
	ds_bpermute_b32 v162, v140, v138 offset:4
	ds_bpermute_b32 v163, v140, v139 offset:4
	v_accvgpr_read_b32 v160, a0
	v_add_f64 v[148:149], v[160:161], v[148:149]
	ds_bpermute_b32 v160, v140, v146 offset:4
	ds_bpermute_b32 v161, v140, v147 offset:4
	s_waitcnt lgkmcnt(2)
	v_add_f64 v[156:157], v[156:157], -v[162:163]
	v_mul_f64 v[156:157], v[154:155], v[156:157]
	v_add_f64 v[148:149], v[148:149], v[154:155]
	ds_bpermute_b32 v154, v140, v146 offset:8
	s_waitcnt lgkmcnt(1)
	v_fmac_f64_e32 v[0:1], v[156:157], v[160:161]
	ds_bpermute_b32 v156, v140, v138 offset:8
	ds_bpermute_b32 v157, v140, v139 offset:8
	;; [unrolled: 1-line block ×3, first 2 shown]
	v_add_f64 v[148:149], v[148:149], v[248:249]
	v_add_f64 v[148:149], v[148:149], v[250:251]
	v_add_f64 v[148:149], v[148:149], v[240:241]
	s_waitcnt lgkmcnt(1)
	v_add_f64 v[156:157], v[254:255], -v[156:157]
	v_mul_f64 v[156:157], v[248:249], v[156:157]
	s_waitcnt lgkmcnt(0)
	v_fmac_f64_e32 v[0:1], v[156:157], v[154:155]
	ds_bpermute_b32 v156, v140, v138 offset:12
	ds_bpermute_b32 v157, v140, v139 offset:12
	;; [unrolled: 1-line block ×4, first 2 shown]
	v_add_f64 v[148:149], v[148:149], v[242:243]
	s_waitcnt lgkmcnt(2)
	v_add_f64 v[156:157], v[252:253], -v[156:157]
	v_mul_f64 v[156:157], v[250:251], v[156:157]
	s_waitcnt lgkmcnt(0)
	v_fmac_f64_e32 v[0:1], v[156:157], v[154:155]
	ds_bpermute_b32 v156, v140, v138 offset:16
	ds_bpermute_b32 v157, v140, v139 offset:16
	ds_bpermute_b32 v154, v140, v146 offset:16
	ds_bpermute_b32 v155, v140, v147 offset:16
	s_waitcnt lgkmcnt(2)
	v_add_f64 v[156:157], v[246:247], -v[156:157]
	v_mul_f64 v[156:157], v[240:241], v[156:157]
	s_waitcnt lgkmcnt(0)
	v_fmac_f64_e32 v[0:1], v[156:157], v[154:155]
	ds_bpermute_b32 v156, v140, v138 offset:20
	ds_bpermute_b32 v157, v140, v139 offset:20
	ds_bpermute_b32 v154, v140, v146 offset:20
	ds_bpermute_b32 v155, v140, v147 offset:20
	;; [unrolled: 9-line block ×3, first 2 shown]
	s_waitcnt lgkmcnt(2)
	v_add_f64 v[156:157], v[238:239], -v[156:157]
	v_mul_f64 v[156:157], v[142:143], v[156:157]
	s_waitcnt lgkmcnt(0)
	v_fmac_f64_e32 v[0:1], v[156:157], v[154:155]
	ds_bpermute_b32 v154, v140, v138 offset:28
	ds_bpermute_b32 v155, v140, v139 offset:28
	v_add_f64 v[142:143], v[148:149], v[142:143]
	ds_bpermute_b32 v148, v140, v146 offset:28
	ds_bpermute_b32 v149, v140, v147 offset:28
	v_add_f64 v[142:143], v[142:143], v[234:235]
	s_waitcnt lgkmcnt(2)
	v_add_f64 v[154:155], v[236:237], -v[154:155]
	v_mul_f64 v[154:155], v[234:235], v[154:155]
	s_waitcnt lgkmcnt(0)
	v_fmac_f64_e32 v[0:1], v[154:155], v[148:149]
	ds_bpermute_b32 v154, v140, v138 offset:32
	ds_bpermute_b32 v155, v140, v139 offset:32
	;; [unrolled: 1-line block ×4, first 2 shown]
	s_waitcnt lgkmcnt(2)
	v_add_f64 v[4:5], v[4:5], -v[154:155]
	v_mul_f64 v[4:5], v[228:229], v[4:5]
	s_waitcnt lgkmcnt(0)
	v_fmac_f64_e32 v[0:1], v[4:5], v[148:149]
	ds_bpermute_b32 v148, v140, v138 offset:36
	ds_bpermute_b32 v149, v140, v139 offset:36
	v_add_f64 v[4:5], v[142:143], v[228:229]
	ds_bpermute_b32 v142, v140, v146 offset:36
	ds_bpermute_b32 v143, v140, v147 offset:36
	v_add_f64 v[4:5], v[4:5], v[230:231]
	s_waitcnt lgkmcnt(2)
	v_add_f64 v[148:149], v[232:233], -v[148:149]
	v_mul_f64 v[148:149], v[230:231], v[148:149]
	v_add_f64 v[4:5], v[4:5], v[220:221]
	s_waitcnt lgkmcnt(0)
	v_fmac_f64_e32 v[0:1], v[148:149], v[142:143]
	ds_bpermute_b32 v148, v140, v138 offset:40
	ds_bpermute_b32 v149, v140, v139 offset:40
	;; [unrolled: 1-line block ×4, first 2 shown]
	v_add_f64 v[4:5], v[4:5], v[222:223]
	v_add_f64 v[4:5], v[4:5], v[212:213]
	s_waitcnt lgkmcnt(2)
	v_add_f64 v[148:149], v[226:227], -v[148:149]
	v_mul_f64 v[148:149], v[220:221], v[148:149]
	s_waitcnt lgkmcnt(0)
	v_fmac_f64_e32 v[0:1], v[148:149], v[142:143]
	ds_bpermute_b32 v148, v140, v138 offset:44
	ds_bpermute_b32 v149, v140, v139 offset:44
	;; [unrolled: 1-line block ×4, first 2 shown]
	v_add_f64 v[4:5], v[4:5], v[214:215]
	v_accvgpr_read_b32 v155, a21
	s_waitcnt lgkmcnt(2)
	v_add_f64 v[148:149], v[224:225], -v[148:149]
	v_mul_f64 v[148:149], v[222:223], v[148:149]
	s_waitcnt lgkmcnt(0)
	v_fmac_f64_e32 v[0:1], v[148:149], v[142:143]
	ds_bpermute_b32 v148, v140, v138 offset:48
	ds_bpermute_b32 v149, v140, v139 offset:48
	;; [unrolled: 1-line block ×4, first 2 shown]
	v_add_f64 v[4:5], v[4:5], v[204:205]
	v_accvgpr_read_b32 v154, a20
	s_waitcnt lgkmcnt(2)
	v_add_f64 v[148:149], v[218:219], -v[148:149]
	v_mul_f64 v[148:149], v[212:213], v[148:149]
	s_waitcnt lgkmcnt(0)
	v_fmac_f64_e32 v[0:1], v[148:149], v[142:143]
	ds_bpermute_b32 v148, v140, v138 offset:52
	ds_bpermute_b32 v149, v140, v139 offset:52
	ds_bpermute_b32 v142, v140, v146 offset:52
	ds_bpermute_b32 v143, v140, v147 offset:52
	v_add_f64 v[4:5], v[4:5], v[206:207]
	v_add_f64 v[4:5], v[4:5], v[196:197]
	s_waitcnt lgkmcnt(2)
	v_add_f64 v[148:149], v[216:217], -v[148:149]
	v_mul_f64 v[148:149], v[214:215], v[148:149]
	s_waitcnt lgkmcnt(0)
	v_fmac_f64_e32 v[0:1], v[148:149], v[142:143]
	ds_bpermute_b32 v148, v140, v138 offset:56
	ds_bpermute_b32 v149, v140, v139 offset:56
	ds_bpermute_b32 v142, v140, v146 offset:56
	ds_bpermute_b32 v143, v140, v147 offset:56
	v_add_f64 v[4:5], v[4:5], v[198:199]
	v_add_f64 v[4:5], v[4:5], v[188:189]
	;; [unrolled: 11-line block ×5, first 2 shown]
	s_waitcnt lgkmcnt(2)
	v_add_f64 v[148:149], v[200:201], -v[148:149]
	v_mul_f64 v[148:149], v[198:199], v[148:149]
	s_waitcnt lgkmcnt(0)
	v_fmac_f64_e32 v[0:1], v[148:149], v[142:143]
	ds_bpermute_b32 v148, v140, v138 offset:72
	ds_bpermute_b32 v149, v140, v139 offset:72
	;; [unrolled: 1-line block ×4, first 2 shown]
	v_add_f64 v[4:5], v[4:5], v[166:167]
	s_waitcnt lgkmcnt(2)
	v_add_f64 v[148:149], v[194:195], -v[148:149]
	v_mul_f64 v[148:149], v[188:189], v[148:149]
	s_waitcnt lgkmcnt(0)
	v_fmac_f64_e32 v[0:1], v[148:149], v[142:143]
	ds_bpermute_b32 v148, v140, v138 offset:76
	ds_bpermute_b32 v149, v140, v139 offset:76
	ds_bpermute_b32 v142, v140, v146 offset:76
	ds_bpermute_b32 v143, v140, v147 offset:76
	s_waitcnt lgkmcnt(2)
	v_add_f64 v[148:149], v[192:193], -v[148:149]
	v_mul_f64 v[148:149], v[190:191], v[148:149]
	s_waitcnt lgkmcnt(0)
	v_fmac_f64_e32 v[0:1], v[148:149], v[142:143]
	ds_bpermute_b32 v148, v140, v138 offset:80
	ds_bpermute_b32 v149, v140, v139 offset:80
	ds_bpermute_b32 v142, v140, v146 offset:80
	ds_bpermute_b32 v143, v140, v147 offset:80
	;; [unrolled: 9-line block ×8, first 2 shown]
	v_accvgpr_read_b32 v155, a19
	v_accvgpr_read_b32 v154, a18
	s_waitcnt lgkmcnt(2)
	v_add_f64 v[148:149], v[154:155], -v[148:149]
	v_mul_f64 v[148:149], v[2:3], v[148:149]
	s_waitcnt lgkmcnt(0)
	v_fmac_f64_e32 v[0:1], v[148:149], v[142:143]
	ds_bpermute_b32 v142, v140, v138 offset:108
	ds_bpermute_b32 v143, v140, v139 offset:108
	v_add_f64 v[2:3], v[4:5], v[2:3]
	ds_bpermute_b32 v4, v140, v146 offset:108
	ds_bpermute_b32 v5, v140, v147 offset:108
	v_accvgpr_read_b32 v149, a17
	v_accvgpr_read_b32 v148, a16
	s_waitcnt lgkmcnt(2)
	v_add_f64 v[142:143], v[148:149], -v[142:143]
	v_mul_f64 v[142:143], v[158:159], v[142:143]
	s_waitcnt lgkmcnt(0)
	v_fmac_f64_e32 v[0:1], v[142:143], v[4:5]
	ds_bpermute_b32 v142, v140, v138 offset:112
	ds_bpermute_b32 v143, v140, v139 offset:112
	ds_bpermute_b32 v4, v140, v146 offset:112
	ds_bpermute_b32 v5, v140, v147 offset:112
	v_accvgpr_read_b32 v149, a15
	v_accvgpr_read_b32 v148, a14
	s_waitcnt lgkmcnt(2)
	v_add_f64 v[142:143], v[148:149], -v[142:143]
	v_mul_f64 v[142:143], v[150:151], v[142:143]
	s_waitcnt lgkmcnt(0)
	v_fmac_f64_e32 v[0:1], v[142:143], v[4:5]
	ds_bpermute_b32 v142, v140, v138 offset:116
	ds_bpermute_b32 v143, v140, v139 offset:116
	;; [unrolled: 11-line block ×4, first 2 shown]
	ds_bpermute_b32 v142, v140, v138 offset:124
	ds_bpermute_b32 v143, v140, v139 offset:124
	v_add_f64 v[2:3], v[2:3], v[158:159]
	v_add_f64 v[2:3], v[2:3], v[150:151]
	;; [unrolled: 1-line block ×4, first 2 shown]
	v_mov_b64_e32 v[138:139], v[0:1]
.LBB38_143:                             ;   in Loop: Header=BB38_3 Depth=1
	v_accvgpr_read_b32 v0, a8
	v_accvgpr_read_b32 v1, a9
	s_waitcnt lgkmcnt(0)
	v_add_f64 v[0:1], v[0:1], -v[142:143]
	v_accvgpr_read_b32 v143, a7
	v_accvgpr_read_b32 v142, a6
	v_mul_f64 v[0:1], v[142:143], v[0:1]
	s_add_u32 s34, s34, s24
	v_fmac_f64_e32 v[138:139], v[0:1], v[4:5]
	s_addc_u32 s35, s35, 0
	v_mov_b64_e32 v[0:1], s[12:13]
	s_add_u32 s30, s30, s24
	v_cmp_lt_i64_e32 vcc, s[34:35], v[0:1]
	v_add_f64 v[142:143], v[2:3], v[142:143]
	v_lshl_add_u64 v[10:11], v[10:11], 0, s[28:29]
	v_lshl_add_u64 v[12:13], v[12:13], 0, s[28:29]
	v_lshl_add_u64 v[14:15], v[14:15], 0, s[28:29]
	v_lshl_add_u64 v[16:17], v[16:17], 0, s[28:29]
	v_lshl_add_u64 v[18:19], v[18:19], 0, s[28:29]
	v_lshl_add_u64 v[20:21], v[20:21], 0, s[28:29]
	v_lshl_add_u64 v[22:23], v[22:23], 0, s[28:29]
	v_lshl_add_u64 v[24:25], v[24:25], 0, s[28:29]
	v_lshl_add_u64 v[26:27], v[26:27], 0, s[28:29]
	v_lshl_add_u64 v[28:29], v[28:29], 0, s[28:29]
	v_lshl_add_u64 v[30:31], v[30:31], 0, s[28:29]
	v_lshl_add_u64 v[32:33], v[32:33], 0, s[28:29]
	v_lshl_add_u64 v[34:35], v[34:35], 0, s[28:29]
	v_lshl_add_u64 v[36:37], v[36:37], 0, s[28:29]
	v_lshl_add_u64 v[38:39], v[38:39], 0, s[28:29]
	v_lshl_add_u64 v[40:41], v[40:41], 0, s[28:29]
	v_lshl_add_u64 v[42:43], v[42:43], 0, s[28:29]
	v_lshl_add_u64 v[44:45], v[44:45], 0, s[28:29]
	v_lshl_add_u64 v[46:47], v[46:47], 0, s[28:29]
	v_lshl_add_u64 v[48:49], v[48:49], 0, s[28:29]
	v_lshl_add_u64 v[50:51], v[50:51], 0, s[28:29]
	v_lshl_add_u64 v[52:53], v[52:53], 0, s[28:29]
	v_lshl_add_u64 v[54:55], v[54:55], 0, s[28:29]
	v_lshl_add_u64 v[56:57], v[56:57], 0, s[28:29]
	v_lshl_add_u64 v[58:59], v[58:59], 0, s[28:29]
	v_lshl_add_u64 v[60:61], v[60:61], 0, s[28:29]
	v_lshl_add_u64 v[62:63], v[62:63], 0, s[28:29]
	v_lshl_add_u64 v[64:65], v[64:65], 0, s[28:29]
	v_lshl_add_u64 v[66:67], v[66:67], 0, s[28:29]
	v_lshl_add_u64 v[68:69], v[68:69], 0, s[28:29]
	v_lshl_add_u64 v[70:71], v[70:71], 0, s[28:29]
	v_lshl_add_u64 v[72:73], v[72:73], 0, s[28:29]
	v_lshl_add_u64 v[74:75], v[74:75], 0, s[28:29]
	v_lshl_add_u64 v[76:77], v[76:77], 0, s[28:29]
	v_lshl_add_u64 v[78:79], v[78:79], 0, s[28:29]
	v_lshl_add_u64 v[80:81], v[80:81], 0, s[28:29]
	v_lshl_add_u64 v[82:83], v[82:83], 0, s[28:29]
	v_lshl_add_u64 v[84:85], v[84:85], 0, s[28:29]
	v_lshl_add_u64 v[86:87], v[86:87], 0, s[28:29]
	v_lshl_add_u64 v[88:89], v[88:89], 0, s[28:29]
	v_lshl_add_u64 v[90:91], v[90:91], 0, s[28:29]
	v_lshl_add_u64 v[92:93], v[92:93], 0, s[28:29]
	v_lshl_add_u64 v[94:95], v[94:95], 0, s[28:29]
	v_lshl_add_u64 v[96:97], v[96:97], 0, s[28:29]
	v_lshl_add_u64 v[98:99], v[98:99], 0, s[28:29]
	v_lshl_add_u64 v[100:101], v[100:101], 0, s[28:29]
	v_lshl_add_u64 v[102:103], v[102:103], 0, s[28:29]
	v_lshl_add_u64 v[104:105], v[104:105], 0, s[28:29]
	v_lshl_add_u64 v[106:107], v[106:107], 0, s[28:29]
	v_lshl_add_u64 v[108:109], v[108:109], 0, s[28:29]
	v_lshl_add_u64 v[110:111], v[110:111], 0, s[28:29]
	v_lshl_add_u64 v[112:113], v[112:113], 0, s[28:29]
	v_lshl_add_u64 v[114:115], v[114:115], 0, s[28:29]
	v_lshl_add_u64 v[116:117], v[116:117], 0, s[28:29]
	v_lshl_add_u64 v[118:119], v[118:119], 0, s[28:29]
	v_lshl_add_u64 v[120:121], v[120:121], 0, s[28:29]
	v_lshl_add_u64 v[122:123], v[122:123], 0, s[28:29]
	v_lshl_add_u64 v[124:125], v[124:125], 0, s[28:29]
	v_lshl_add_u64 v[126:127], v[126:127], 0, s[28:29]
	v_lshl_add_u64 v[128:129], v[128:129], 0, s[28:29]
	v_lshl_add_u64 v[130:131], v[130:131], 0, s[28:29]
	v_lshl_add_u64 v[132:133], v[132:133], 0, s[28:29]
	v_lshl_add_u64 v[134:135], v[134:135], 0, s[28:29]
	v_lshl_add_u64 v[136:137], v[136:137], 0, s[28:29]
	v_lshl_add_u64 v[6:7], v[6:7], 0, s[24:25]
	s_addc_u32 s31, 0, s31
	s_cbranch_vccz .LBB38_146
; %bb.144:                              ;   in Loop: Header=BB38_3 Depth=1
	v_accvgpr_write_b32 a0, v142
	v_accvgpr_write_b32 a1, v143
	v_mov_b64_e32 v[0:1], v[138:139]
	s_branch .LBB38_3
.LBB38_145:
                                        ; implicit-def: $vgpr142_vgpr143
                                        ; implicit-def: $vgpr138_vgpr139
	s_branch .LBB38_148
.LBB38_146:
	v_mov_b32_e32 v0, v141
.LBB38_147:
	s_cbranch_execnz .LBB38_228
.LBB38_148:
	v_mov_b64_e32 v[142:143], 0
	s_and_b64 vcc, exec, s[4:5]
	v_mov_b64_e32 v[138:139], 0
	s_cbranch_vccnz .LBB38_228
; %bb.149:
	v_mov_b32_e32 v5, 0
	v_bfe_u32 v101, v0, 10, 10
	v_lshlrev_b32_e32 v104, 5, v101
	v_mov_b32_e32 v105, v5
	v_lshl_add_u64 v[102:103], v[104:105], 0, s[10:11]
	v_and_b32_e32 v111, 0x3ff, v0
	v_mul_lo_u32 v68, s15, v102
	v_mul_lo_u32 v69, s14, v103
	v_mad_u64_u32 v[2:3], s[24:25], s14, v102, 0
	v_add_u32_e32 v4, s3, v111
	v_add3_u32 v3, v3, v69, v68
	v_lshlrev_b64 v[8:9], 3, v[4:5]
	v_lshlrev_b64 v[2:3], 3, v[2:3]
	v_lshlrev_b32_e32 v4, 8, v101
	v_lshl_add_u64 v[106:107], s[16:17], 0, v[2:3]
	v_lshl_add_u64 v[108:109], s[18:19], 0, v[2:3]
	;; [unrolled: 1-line block ×4, first 2 shown]
	v_mov_b64_e32 v[66:67], s[16:17]
	v_lshl_add_u64 v[46:47], v[2:3], 0, 16
	v_lshl_add_u64 v[48:49], v[2:3], 0, 24
	;; [unrolled: 1-line block ×7, first 2 shown]
	v_mad_u64_u32 v[140:141], s[26:27], s14, v42, v[66:67]
	v_mad_u64_u32 v[144:145], s[26:27], s14, v46, v[66:67]
	;; [unrolled: 1-line block ×8, first 2 shown]
	s_mov_b64 s[26:27], 0x48
	s_nop 0
	v_lshl_add_u64 v[64:65], v[2:3], 0, s[26:27]
	v_mad_u64_u32 v[128:129], s[26:27], s14, v64, v[66:67]
	s_mov_b64 s[26:27], 0x50
	s_nop 0
	v_lshl_add_u64 v[58:59], v[2:3], 0, s[26:27]
	v_mad_u64_u32 v[132:133], s[26:27], s14, v58, v[66:67]
	;; [unrolled: 4-line block ×21, first 2 shown]
	s_mov_b64 s[26:27], 0xf0
	v_accvgpr_write_b32 a3, v5
	v_lshl_add_u64 v[4:5], v[2:3], 0, s[26:27]
	v_mad_u64_u32 v[134:135], s[26:27], s14, v4, v[66:67]
	s_mov_b64 s[26:27], 0xf8
	s_nop 0
	v_lshl_add_u64 v[2:3], v[2:3], 0, s[26:27]
	v_mad_u64_u32 v[174:175], s[26:27], s14, v2, v[66:67]
	v_mov_b64_e32 v[66:67], s[18:19]
	v_mul_lo_u32 v43, s14, v43
	v_mul_lo_u32 v70, s15, v42
	v_mad_u64_u32 v[176:177], s[26:27], s14, v42, v[66:67]
	v_add3_u32 v141, v70, v141, v43
	v_mul_lo_u32 v47, s14, v47
	v_mul_lo_u32 v71, s15, v46
	v_add3_u32 v177, v70, v177, v43
	v_mad_u64_u32 v[42:43], s[26:27], s14, v46, v[66:67]
	v_add3_u32 v145, v71, v145, v47
	v_mul_lo_u32 v49, s14, v49
	v_mul_lo_u32 v72, s15, v48
	v_add3_u32 v43, v71, v43, v47
	v_mad_u64_u32 v[46:47], s[26:27], s14, v48, v[66:67]
	v_add3_u32 v47, v72, v47, v49
	v_accvgpr_write_b32 a42, v46
	v_mul_lo_u32 v51, s14, v51
	v_mul_lo_u32 v73, s15, v50
	v_accvgpr_write_b32 a43, v47
	v_mad_u64_u32 v[46:47], s[26:27], s14, v50, v[66:67]
	v_add3_u32 v47, v73, v47, v51
	v_accvgpr_write_b32 a44, v46
	v_mul_lo_u32 v53, s14, v53
	v_mul_lo_u32 v74, s15, v52
	v_accvgpr_write_b32 a45, v47
	;; [unrolled: 6-line block ×9, first 2 shown]
	v_mad_u64_u32 v[46:47], s[26:27], s14, v44, v[66:67]
	v_add3_u32 v153, v81, v153, v45
	v_mul_lo_u32 v41, s14, v41
	v_mul_lo_u32 v82, s15, v40
	v_add3_u32 v47, v81, v47, v45
	v_mad_u64_u32 v[44:45], s[26:27], s14, v40, v[66:67]
	v_add3_u32 v139, v82, v139, v41
	v_mul_lo_u32 v39, s14, v39
	v_mul_lo_u32 v83, s15, v38
	v_add3_u32 v45, v82, v45, v41
	;; [unrolled: 5-line block ×10, first 2 shown]
	v_mad_u64_u32 v[24:25], s[26:27], s14, v22, v[66:67]
	v_add3_u32 v119, v91, v119, v23
	v_mul_lo_u32 v21, s14, v21
	v_mul_lo_u32 v92, s15, v20
	v_mul_lo_u32 v15, s14, v15
	v_mul_lo_u32 v95, s15, v14
	v_add3_u32 v25, v91, v25, v23
	v_mad_u64_u32 v[22:23], s[26:27], s14, v20, v[66:67]
	v_add3_u32 v117, v75, v117, v57
	v_add3_u32 v123, v92, v123, v21
	v_mul_lo_u32 v19, s14, v19
	v_mul_lo_u32 v93, s15, v18
	v_add3_u32 v127, v95, v127, v15
	v_mul_lo_u32 v11, s14, v11
	v_mul_lo_u32 v97, s15, v10
	v_add3_u32 v23, v92, v23, v21
	v_mad_u64_u32 v[20:21], s[26:27], s14, v18, v[66:67]
	v_add3_u32 v121, v76, v121, v61
	v_add3_u32 v129, v78, v129, v65
	;; [unrolled: 1-line block ×3, first 2 shown]
	v_mul_lo_u32 v17, s14, v17
	v_mul_lo_u32 v94, s15, v16
	v_add3_u32 v131, v97, v131, v11
	v_mul_lo_u32 v5, s14, v5
	v_mul_lo_u32 v99, s15, v4
	v_mov_b64_e32 v[88:89], v[116:117]
	v_mov_b64_e32 v[116:117], v[126:127]
	v_add3_u32 v21, v93, v21, v19
	v_mad_u64_u32 v[18:19], s[26:27], s14, v16, v[66:67]
	v_mad_u64_u32 v[126:127], s[26:27], s14, v14, v[66:67]
	v_add3_u32 v113, v74, v113, v53
	v_add3_u32 v133, v79, v133, v59
	;; [unrolled: 1-line block ×3, first 2 shown]
	v_mul_lo_u32 v13, s14, v13
	v_mul_lo_u32 v96, s15, v12
	v_add3_u32 v135, v99, v135, v5
	v_mov_b64_e32 v[90:91], v[120:121]
	v_mov_b64_e32 v[120:121], v[130:131]
	v_add3_u32 v19, v94, v19, v17
	v_add3_u32 v127, v95, v127, v15
	v_mov_b64_e32 v[94:95], v[128:129]
	v_mad_u64_u32 v[128:129], s[26:27], s14, v12, v[66:67]
	v_mad_u64_u32 v[130:131], s[26:27], s14, v10, v[66:67]
	v_add3_u32 v137, v80, v137, v55
	v_add3_u32 v171, v96, v171, v13
	v_mul_lo_u32 v7, s14, v7
	v_mul_lo_u32 v98, s15, v6
	v_mov_b64_e32 v[86:87], v[112:113]
	v_mov_b64_e32 v[112:113], v[122:123]
	;; [unrolled: 1-line block ×3, first 2 shown]
	v_add3_u32 v129, v96, v129, v13
	v_add3_u32 v131, v97, v131, v11
	v_mov_b64_e32 v[96:97], v[132:133]
	v_mad_u64_u32 v[132:133], s[26:27], s14, v6, v[66:67]
	v_mad_u64_u32 v[134:135], s[26:27], s14, v4, v[66:67]
	v_add3_u32 v173, v98, v173, v7
	v_mul_lo_u32 v3, s14, v3
	v_mul_lo_u32 v100, s15, v2
	v_add3_u32 v133, v98, v133, v7
	v_add3_u32 v135, v99, v135, v5
	v_mov_b64_e32 v[98:99], v[136:137]
	v_mad_u64_u32 v[136:137], s[26:27], s14, v2, v[66:67]
	v_add3_u32 v175, v100, v175, v3
	v_add3_u32 v137, v100, v137, v3
	v_lshl_add_u64 v[2:3], v[102:103], 0, 31
	v_mul_lo_u32 v4, s15, v2
	v_mul_lo_u32 v5, s14, v3
	v_mad_u64_u32 v[2:3], s[28:29], s14, v2, 0
	v_add3_u32 v3, v3, v5, v4
	v_lshlrev_b64 v[2:3], 3, v[2:3]
	v_lshl_add_u64 v[4:5], s[16:17], 0, v[2:3]
	v_lshl_add_u64 v[2:3], s[18:19], 0, v[2:3]
	v_accvgpr_write_b32 a91, v3
	v_accvgpr_write_b32 a89, v5
	v_accvgpr_write_b32 a90, v2
	v_lshl_add_u64 v[2:3], v[102:103], 0, 30
	v_accvgpr_write_b32 a88, v4
	v_mul_lo_u32 v4, s15, v2
	v_mul_lo_u32 v5, s14, v3
	v_mad_u64_u32 v[2:3], s[28:29], s14, v2, 0
	v_add3_u32 v3, v3, v5, v4
	v_lshlrev_b64 v[2:3], 3, v[2:3]
	v_lshl_add_u64 v[4:5], s[16:17], 0, v[2:3]
	v_lshl_add_u64 v[2:3], s[18:19], 0, v[2:3]
	v_accvgpr_write_b32 a95, v3
	v_accvgpr_write_b32 a93, v5
	v_accvgpr_write_b32 a94, v2
	v_lshl_add_u64 v[2:3], v[102:103], 0, 29
	v_accvgpr_write_b32 a92, v4
	;; [unrolled: 12-line block ×10, first 2 shown]
	v_mul_lo_u32 v4, s15, v2
	v_mul_lo_u32 v5, s14, v3
	v_mad_u64_u32 v[2:3], s[28:29], s14, v2, 0
	v_add3_u32 v3, v3, v5, v4
	v_lshlrev_b64 v[2:3], 3, v[2:3]
	v_lshl_add_u64 v[178:179], s[16:17], 0, v[2:3]
	v_lshl_add_u64 v[180:181], s[18:19], 0, v[2:3]
	v_lshl_add_u64 v[2:3], v[102:103], 0, 20
	v_mul_lo_u32 v4, s15, v2
	v_mul_lo_u32 v5, s14, v3
	v_mad_u64_u32 v[2:3], s[28:29], s14, v2, 0
	v_add3_u32 v3, v3, v5, v4
	v_lshlrev_b64 v[2:3], 3, v[2:3]
	v_lshl_add_u64 v[182:183], s[16:17], 0, v[2:3]
	v_lshl_add_u64 v[184:185], s[18:19], 0, v[2:3]
	v_lshl_add_u64 v[2:3], v[102:103], 0, 19
	;; [unrolled: 8-line block ×14, first 2 shown]
	v_mul_lo_u32 v4, s15, v2
	v_mul_lo_u32 v5, s14, v3
	v_mad_u64_u32 v[2:3], s[28:29], s14, v2, 0
	v_add3_u32 v3, v3, v5, v4
	v_lshl_add_u64 v[4:5], v[102:103], 0, 6
	v_mul_lo_u32 v6, s15, v4
	v_mul_lo_u32 v7, s14, v5
	v_mad_u64_u32 v[4:5], s[28:29], s14, v4, 0
	v_add3_u32 v5, v5, v7, v6
	v_lshl_add_u64 v[6:7], v[102:103], 0, 5
	;; [unrolled: 5-line block ×4, first 2 shown]
	v_lshlrev_b64 v[2:3], 3, v[2:3]
	v_mul_lo_u32 v14, s15, v12
	v_mul_lo_u32 v15, s14, v13
	v_mad_u64_u32 v[12:13], s[28:29], s14, v12, 0
	v_add3_u32 v13, v13, v15, v14
	v_lshl_add_u64 v[14:15], v[102:103], 0, 2
	v_lshl_add_u64 v[234:235], s[16:17], 0, v[2:3]
	;; [unrolled: 1-line block ×3, first 2 shown]
	v_lshlrev_b64 v[2:3], 3, v[4:5]
	s_load_dword s3, s[0:1], 0x44
	v_mul_lo_u32 v1, s15, v14
	v_mul_lo_u32 v16, s14, v15
	v_mad_u64_u32 v[14:15], s[28:29], s14, v14, 0
	v_lshl_add_u64 v[238:239], s[16:17], 0, v[2:3]
	v_lshl_add_u64 v[240:241], s[18:19], 0, v[2:3]
	v_lshlrev_b64 v[2:3], 3, v[6:7]
	v_add3_u32 v15, v15, v16, v1
	v_mov_b64_e32 v[16:17], s[14:15]
	v_lshl_add_u64 v[242:243], s[16:17], 0, v[2:3]
	v_lshl_add_u64 v[244:245], s[18:19], 0, v[2:3]
	v_lshlrev_b64 v[2:3], 3, v[10:11]
	v_mad_u64_u32 v[16:17], s[28:29], s14, v102, v[16:17]
	v_lshl_add_u64 v[246:247], s[16:17], 0, v[2:3]
	v_lshl_add_u64 v[248:249], s[18:19], 0, v[2:3]
	v_lshlrev_b64 v[2:3], 3, v[12:13]
	v_add3_u32 v17, v68, v17, v69
	v_lshl_add_u64 v[250:251], s[16:17], 0, v[2:3]
	v_lshl_add_u64 v[252:253], s[18:19], 0, v[2:3]
	v_lshlrev_b64 v[2:3], 3, v[14:15]
	s_add_u32 s6, s0, 64
	v_lshl_add_u64 v[254:255], s[16:17], 0, v[2:3]
	v_lshl_add_u64 v[4:5], s[18:19], 0, v[2:3]
	v_lshlrev_b64 v[2:3], 3, v[16:17]
	s_addc_u32 s7, s1, 0
	s_waitcnt lgkmcnt(0)
	s_lshl_b32 s4, s3, 5
	v_lshl_add_u64 v[150:151], s[16:17], 0, v[2:3]
	v_lshl_add_u64 v[14:15], s[18:19], 0, v[2:3]
	v_mbcnt_lo_u32_b32 v2, -1, 0
	s_mul_i32 s3, s15, s4
	s_mul_hi_u32 s9, s14, s4
	v_mbcnt_hi_u32_b32 v2, -1, v2
	s_add_i32 s25, s9, s3
	s_mul_i32 s24, s14, s4
	v_add3_u32 v125, v77, v125, v63
	v_accvgpr_write_b32 a61, v47
	v_accvgpr_write_b32 a63, v45
	;; [unrolled: 1-line block ×14, first 2 shown]
	v_lshlrev_b32_e32 v2, 2, v2
	s_mov_b32 s5, 0
	s_lshl_b64 s[24:25], s[24:25], 3
	v_add3_u32 v147, v72, v147, v49
	v_add3_u32 v149, v73, v149, v51
	v_accvgpr_write_b32 a60, v46
	v_accvgpr_write_b32 a62, v44
	;; [unrolled: 1-line block ×13, first 2 shown]
	v_mov_b64_e32 v[92:93], v[124:125]
	v_mov_b64_e32 v[124:125], v[42:43]
	v_accvgpr_write_b32 a86, v18
	s_mov_b64 s[26:27], 31
	v_mov_b32_e32 v1, v101
	v_mov_b64_e32 v[100:101], v[138:139]
	v_mov_b64_e32 v[102:103], v[142:143]
	v_and_b32_e32 v110, 0x100, v2
	s_mov_b64 s[16:17], s[10:11]
	v_mov_b64_e32 v[18:19], 0
	v_mov_b64_e32 v[142:143], 0
.LBB38_150:                             ; =>This Inner Loop Header: Depth=1
	s_add_u32 s18, s10, s26
	s_addc_u32 s19, 0, s27
	v_mov_b64_e32 v[2:3], s[12:13]
	v_cmp_ge_i64_e32 vcc, s[18:19], v[2:3]
	v_accvgpr_write_b32 a4, v104
	v_accvgpr_write_b32 a5, v105
	v_lshl_add_u64 v[20:21], s[10:11], 0, v[104:105]
	s_mov_b64 s[18:19], -1
	s_and_b64 vcc, exec, vcc
                                        ; implicit-def: $vgpr6_vgpr7
                                        ; implicit-def: $vgpr26_vgpr27
                                        ; implicit-def: $vgpr104_vgpr105
                                        ; implicit-def: $vgpr10
                                        ; implicit-def: $vgpr2_vgpr3
                                        ; implicit-def: $vgpr138_vgpr139
	s_cbranch_vccz .LBB38_220
; %bb.151:                              ;   in Loop: Header=BB38_150 Depth=1
	s_load_dword s3, s[6:7], 0xc
	v_accvgpr_read_b32 v3, a3
	v_mov_b64_e32 v[78:79], 0
	v_mov_b64_e32 v[24:25], 0
	;; [unrolled: 1-line block ×3, first 2 shown]
	s_waitcnt lgkmcnt(0)
	s_and_b32 s3, s3, 0xffff
	v_mad_u32_u24 v2, v1, s3, v111
	v_and_b32_e32 v2, 63, v2
	v_accvgpr_write_b32 a2, v2
	v_accvgpr_write_b32 a3, v3
	v_cmp_gt_u32_e32 vcc, 32, v2
	s_and_saveexec_b64 s[18:19], vcc
	s_cbranch_execz .LBB38_155
; %bb.152:                              ;   in Loop: Header=BB38_150 Depth=1
	v_accvgpr_read_b32 v2, a2
	v_accvgpr_read_b32 v3, a3
	v_lshl_add_u64 v[2:3], v[20:21], 0, v[2:3]
	v_cmp_gt_i64_e32 vcc, s[12:13], v[2:3]
	v_mov_b64_e32 v[22:23], 0
	v_mov_b64_e32 v[24:25], 0
	s_and_saveexec_b64 s[28:29], vcc
	s_cbranch_execz .LBB38_154
; %bb.153:                              ;   in Loop: Header=BB38_150 Depth=1
	v_lshlrev_b64 v[2:3], 3, v[2:3]
	v_lshl_add_u64 v[6:7], s[22:23], 0, v[2:3]
	v_lshl_add_u64 v[2:3], s[20:21], 0, v[2:3]
	global_load_dwordx2 v[22:23], v[2:3], off
	global_load_dwordx2 v[24:25], v[6:7], off
.LBB38_154:                             ;   in Loop: Header=BB38_150 Depth=1
	s_or_b64 exec, exec, s[28:29]
.LBB38_155:                             ;   in Loop: Header=BB38_150 Depth=1
	s_or_b64 exec, exec, s[18:19]
	v_cmp_gt_i64_e32 vcc, s[12:13], v[20:21]
	v_mov_b64_e32 v[138:139], 0
	s_and_saveexec_b64 s[18:19], vcc
	s_cbranch_execz .LBB38_157
; %bb.156:                              ;   in Loop: Header=BB38_150 Depth=1
	v_lshl_add_u64 v[2:3], v[106:107], 0, v[8:9]
	global_load_dwordx2 v[78:79], v[2:3], off
	v_lshl_add_u64 v[2:3], v[108:109], 0, v[8:9]
	global_load_dwordx2 v[138:139], v[2:3], off
.LBB38_157:                             ;   in Loop: Header=BB38_150 Depth=1
	s_or_b64 exec, exec, s[18:19]
	v_lshl_add_u64 v[2:3], v[20:21], 0, 1
	v_cmp_gt_i64_e32 vcc, s[12:13], v[2:3]
	v_mov_b64_e32 v[6:7], 0
	v_mov_b64_e32 v[80:81], 0
	;; [unrolled: 1-line block ×3, first 2 shown]
	s_and_saveexec_b64 s[18:19], vcc
	s_cbranch_execz .LBB38_159
; %bb.158:                              ;   in Loop: Header=BB38_150 Depth=1
	v_lshl_add_u64 v[2:3], v[150:151], 0, v[8:9]
	global_load_dwordx2 v[80:81], v[2:3], off
	v_lshl_add_u64 v[2:3], v[14:15], 0, v[8:9]
	global_load_dwordx2 v[82:83], v[2:3], off
.LBB38_159:                             ;   in Loop: Header=BB38_150 Depth=1
	s_or_b64 exec, exec, s[18:19]
	v_lshl_add_u64 v[2:3], v[20:21], 0, 2
	v_cmp_gt_i64_e32 vcc, s[12:13], v[2:3]
	v_mov_b64_e32 v[76:77], 0
	s_and_saveexec_b64 s[18:19], vcc
	s_cbranch_execz .LBB38_161
; %bb.160:                              ;   in Loop: Header=BB38_150 Depth=1
	v_lshl_add_u64 v[2:3], v[254:255], 0, v[8:9]
	global_load_dwordx2 v[6:7], v[2:3], off
	v_lshl_add_u64 v[2:3], v[4:5], 0, v[8:9]
	global_load_dwordx2 v[76:77], v[2:3], off
.LBB38_161:                             ;   in Loop: Header=BB38_150 Depth=1
	s_or_b64 exec, exec, s[18:19]
	v_lshl_add_u64 v[2:3], v[20:21], 0, 3
	v_cmp_gt_i64_e32 vcc, s[12:13], v[2:3]
	v_mov_b64_e32 v[30:31], 0
	v_mov_b64_e32 v[2:3], 0
	;; [unrolled: 1-line block ×3, first 2 shown]
	s_and_saveexec_b64 s[18:19], vcc
	s_cbranch_execz .LBB38_163
; %bb.162:                              ;   in Loop: Header=BB38_150 Depth=1
	v_lshl_add_u64 v[2:3], v[250:251], 0, v[8:9]
	v_lshl_add_u64 v[10:11], v[252:253], 0, v[8:9]
	global_load_dwordx2 v[2:3], v[2:3], off
	s_nop 0
	global_load_dwordx2 v[74:75], v[10:11], off
.LBB38_163:                             ;   in Loop: Header=BB38_150 Depth=1
	s_or_b64 exec, exec, s[18:19]
	v_lshl_add_u64 v[10:11], v[20:21], 0, 4
	v_cmp_gt_i64_e32 vcc, s[12:13], v[10:11]
	v_mov_b64_e32 v[34:35], 0
	s_and_saveexec_b64 s[18:19], vcc
	s_cbranch_execz .LBB38_165
; %bb.164:                              ;   in Loop: Header=BB38_150 Depth=1
	v_lshl_add_u64 v[10:11], v[246:247], 0, v[8:9]
	global_load_dwordx2 v[30:31], v[10:11], off
	v_lshl_add_u64 v[10:11], v[248:249], 0, v[8:9]
	global_load_dwordx2 v[34:35], v[10:11], off
.LBB38_165:                             ;   in Loop: Header=BB38_150 Depth=1
	s_or_b64 exec, exec, s[18:19]
	v_lshl_add_u64 v[10:11], v[20:21], 0, 5
	v_cmp_gt_i64_e32 vcc, s[12:13], v[10:11]
	v_mov_b64_e32 v[70:71], 0
	v_mov_b64_e32 v[32:33], 0
	;; [unrolled: 1-line block ×3, first 2 shown]
	s_and_saveexec_b64 s[18:19], vcc
	s_cbranch_execz .LBB38_167
; %bb.166:                              ;   in Loop: Header=BB38_150 Depth=1
	v_lshl_add_u64 v[10:11], v[242:243], 0, v[8:9]
	global_load_dwordx2 v[32:33], v[10:11], off
	v_lshl_add_u64 v[10:11], v[244:245], 0, v[8:9]
	global_load_dwordx2 v[68:69], v[10:11], off
.LBB38_167:                             ;   in Loop: Header=BB38_150 Depth=1
	s_or_b64 exec, exec, s[18:19]
	v_lshl_add_u64 v[10:11], v[20:21], 0, 6
	v_cmp_gt_i64_e32 vcc, s[12:13], v[10:11]
	v_mov_b64_e32 v[66:67], 0
	s_and_saveexec_b64 s[18:19], vcc
	s_cbranch_execz .LBB38_169
; %bb.168:                              ;   in Loop: Header=BB38_150 Depth=1
	v_lshl_add_u64 v[10:11], v[238:239], 0, v[8:9]
	global_load_dwordx2 v[70:71], v[10:11], off
	v_lshl_add_u64 v[10:11], v[240:241], 0, v[8:9]
	global_load_dwordx2 v[66:67], v[10:11], off
.LBB38_169:                             ;   in Loop: Header=BB38_150 Depth=1
	s_or_b64 exec, exec, s[18:19]
	v_lshl_add_u64 v[10:11], v[20:21], 0, 7
	v_accvgpr_write_b32 a146, 0
	v_cmp_gt_i64_e32 vcc, s[12:13], v[10:11]
	v_mov_b64_e32 v[62:63], 0
	v_mov_b64_e32 v[72:73], 0
	v_accvgpr_write_b32 a147, 0
	s_and_saveexec_b64 s[18:19], vcc
	s_cbranch_execz .LBB38_171
; %bb.170:                              ;   in Loop: Header=BB38_150 Depth=1
	v_lshl_add_u64 v[10:11], v[234:235], 0, v[8:9]
	global_load_dwordx2 v[72:73], v[10:11], off
	v_lshl_add_u64 v[10:11], v[236:237], 0, v[8:9]
	global_load_dwordx2 a[146:147], v[10:11], off
.LBB38_171:                             ;   in Loop: Header=BB38_150 Depth=1
	s_or_b64 exec, exec, s[18:19]
	v_lshl_add_u64 v[10:11], v[20:21], 0, 8
	v_cmp_gt_i64_e32 vcc, s[12:13], v[10:11]
	v_mov_b64_e32 v[84:85], 0
	s_and_saveexec_b64 s[18:19], vcc
	s_cbranch_execz .LBB38_173
; %bb.172:                              ;   in Loop: Header=BB38_150 Depth=1
	v_lshl_add_u64 v[10:11], v[230:231], 0, v[8:9]
	global_load_dwordx2 v[62:63], v[10:11], off
	v_lshl_add_u64 v[10:11], v[232:233], 0, v[8:9]
	global_load_dwordx2 v[84:85], v[10:11], off
.LBB38_173:                             ;   in Loop: Header=BB38_150 Depth=1
	s_or_b64 exec, exec, s[18:19]
	v_lshl_add_u64 v[10:11], v[20:21], 0, 9
	v_cmp_gt_i64_e32 vcc, s[12:13], v[10:11]
	v_mov_b64_e32 v[58:59], 0
	v_mov_b64_e32 v[64:65], 0
	;; [unrolled: 1-line block ×3, first 2 shown]
	s_and_saveexec_b64 s[18:19], vcc
	s_cbranch_execz .LBB38_175
; %bb.174:                              ;   in Loop: Header=BB38_150 Depth=1
	v_lshl_add_u64 v[10:11], v[226:227], 0, v[8:9]
	global_load_dwordx2 v[64:65], v[10:11], off
	v_lshl_add_u64 v[10:11], v[228:229], 0, v[8:9]
	global_load_dwordx2 v[26:27], v[10:11], off
.LBB38_175:                             ;   in Loop: Header=BB38_150 Depth=1
	s_or_b64 exec, exec, s[18:19]
	v_lshl_add_u64 v[10:11], v[20:21], 0, 10
	v_accvgpr_write_b32 a140, 0
	v_cmp_gt_i64_e32 vcc, s[12:13], v[10:11]
	v_accvgpr_write_b32 a141, 0
	s_and_saveexec_b64 s[18:19], vcc
	s_cbranch_execz .LBB38_177
; %bb.176:                              ;   in Loop: Header=BB38_150 Depth=1
	v_lshl_add_u64 v[10:11], v[222:223], 0, v[8:9]
	global_load_dwordx2 v[58:59], v[10:11], off
	v_lshl_add_u64 v[10:11], v[224:225], 0, v[8:9]
	global_load_dwordx2 a[140:141], v[10:11], off
.LBB38_177:                             ;   in Loop: Header=BB38_150 Depth=1
	s_or_b64 exec, exec, s[18:19]
	v_lshl_add_u64 v[10:11], v[20:21], 0, 11
	v_accvgpr_write_b32 a138, 0
	v_cmp_gt_i64_e32 vcc, s[12:13], v[10:11]
	v_mov_b64_e32 v[54:55], 0
	v_mov_b64_e32 v[60:61], 0
	v_accvgpr_write_b32 a139, 0
	s_and_saveexec_b64 s[18:19], vcc
	s_cbranch_execz .LBB38_179
; %bb.178:                              ;   in Loop: Header=BB38_150 Depth=1
	v_lshl_add_u64 v[10:11], v[218:219], 0, v[8:9]
	global_load_dwordx2 v[60:61], v[10:11], off
	v_lshl_add_u64 v[10:11], v[220:221], 0, v[8:9]
	global_load_dwordx2 a[138:139], v[10:11], off
.LBB38_179:                             ;   in Loop: Header=BB38_150 Depth=1
	s_or_b64 exec, exec, s[18:19]
	v_lshl_add_u64 v[10:11], v[20:21], 0, 12
	v_accvgpr_write_b32 a136, 0
	v_cmp_gt_i64_e32 vcc, s[12:13], v[10:11]
	v_accvgpr_write_b32 a137, 0
	s_and_saveexec_b64 s[18:19], vcc
	s_cbranch_execz .LBB38_181
; %bb.180:                              ;   in Loop: Header=BB38_150 Depth=1
	v_lshl_add_u64 v[10:11], v[214:215], 0, v[8:9]
	global_load_dwordx2 v[54:55], v[10:11], off
	v_lshl_add_u64 v[10:11], v[216:217], 0, v[8:9]
	global_load_dwordx2 a[136:137], v[10:11], off
.LBB38_181:                             ;   in Loop: Header=BB38_150 Depth=1
	s_or_b64 exec, exec, s[18:19]
	v_lshl_add_u64 v[10:11], v[20:21], 0, 13
	v_accvgpr_write_b32 a134, 0
	v_cmp_gt_i64_e32 vcc, s[12:13], v[10:11]
	v_mov_b64_e32 v[50:51], 0
	v_mov_b64_e32 v[56:57], 0
	v_accvgpr_write_b32 a135, 0
	;; [unrolled: 28-line block ×6, first 2 shown]
	s_and_saveexec_b64 s[18:19], vcc
	s_cbranch_execz .LBB38_199
; %bb.198:                              ;   in Loop: Header=BB38_150 Depth=1
	v_lshl_add_u64 v[10:11], v[178:179], 0, v[8:9]
	v_lshl_add_u64 v[16:17], v[180:181], 0, v[8:9]
	global_load_dwordx2 v[10:11], v[10:11], off
	s_nop 0
	global_load_dwordx2 a[32:33], v[16:17], off
.LBB38_199:                             ;   in Loop: Header=BB38_150 Depth=1
	s_or_b64 exec, exec, s[18:19]
	v_lshl_add_u64 v[16:17], v[20:21], 0, 22
	v_accvgpr_write_b32 a30, 0
	v_cmp_gt_i64_e32 vcc, s[12:13], v[16:17]
	v_accvgpr_write_b32 a31, 0
	s_and_saveexec_b64 s[18:19], vcc
	s_cbranch_execz .LBB38_201
; %bb.200:                              ;   in Loop: Header=BB38_150 Depth=1
	v_accvgpr_read_b32 v16, a124
	v_accvgpr_read_b32 v17, a125
	v_lshl_add_u64 v[16:17], v[16:17], 0, v[8:9]
	global_load_dwordx2 v[40:41], v[16:17], off
	v_accvgpr_read_b32 v16, a126
	v_accvgpr_read_b32 v17, a127
	v_lshl_add_u64 v[16:17], v[16:17], 0, v[8:9]
	global_load_dwordx2 a[30:31], v[16:17], off
.LBB38_201:                             ;   in Loop: Header=BB38_150 Depth=1
	s_or_b64 exec, exec, s[18:19]
	v_lshl_add_u64 v[16:17], v[20:21], 0, 23
	v_accvgpr_write_b32 a28, 0
	v_cmp_gt_i64_e32 vcc, s[12:13], v[16:17]
	v_mov_b64_e32 v[36:37], 0
	v_mov_b64_e32 v[28:29], 0
	v_accvgpr_write_b32 a29, 0
	s_and_saveexec_b64 s[18:19], vcc
	s_cbranch_execz .LBB38_203
; %bb.202:                              ;   in Loop: Header=BB38_150 Depth=1
	v_accvgpr_read_b32 v16, a120
	v_accvgpr_read_b32 v17, a121
	v_lshl_add_u64 v[16:17], v[16:17], 0, v[8:9]
	global_load_dwordx2 v[28:29], v[16:17], off
	v_accvgpr_read_b32 v16, a122
	v_accvgpr_read_b32 v17, a123
	v_lshl_add_u64 v[16:17], v[16:17], 0, v[8:9]
	global_load_dwordx2 a[28:29], v[16:17], off
.LBB38_203:                             ;   in Loop: Header=BB38_150 Depth=1
	s_or_b64 exec, exec, s[18:19]
	v_lshl_add_u64 v[16:17], v[20:21], 0, 24
	v_accvgpr_write_b32 a26, 0
	v_cmp_gt_i64_e32 vcc, s[12:13], v[16:17]
	v_accvgpr_write_b32 a27, 0
	s_and_saveexec_b64 s[18:19], vcc
	s_cbranch_execz .LBB38_205
; %bb.204:                              ;   in Loop: Header=BB38_150 Depth=1
	v_accvgpr_read_b32 v16, a116
	v_accvgpr_read_b32 v17, a117
	v_lshl_add_u64 v[16:17], v[16:17], 0, v[8:9]
	global_load_dwordx2 v[36:37], v[16:17], off
	v_accvgpr_read_b32 v16, a118
	v_accvgpr_read_b32 v17, a119
	v_lshl_add_u64 v[16:17], v[16:17], 0, v[8:9]
	global_load_dwordx2 a[26:27], v[16:17], off
.LBB38_205:                             ;   in Loop: Header=BB38_150 Depth=1
	s_or_b64 exec, exec, s[18:19]
	v_lshl_add_u64 v[16:17], v[20:21], 0, 25
	v_accvgpr_write_b32 a16, 0
	v_accvgpr_write_b32 a24, 0
	v_cmp_gt_i64_e32 vcc, s[12:13], v[16:17]
	v_accvgpr_write_b32 a17, 0
	v_mov_b64_e32 v[38:39], 0
	v_accvgpr_write_b32 a25, 0
	s_and_saveexec_b64 s[18:19], vcc
	s_cbranch_execz .LBB38_207
; %bb.206:                              ;   in Loop: Header=BB38_150 Depth=1
	v_accvgpr_read_b32 v16, a112
	v_accvgpr_read_b32 v17, a113
	v_lshl_add_u64 v[16:17], v[16:17], 0, v[8:9]
	global_load_dwordx2 v[38:39], v[16:17], off
	v_accvgpr_read_b32 v16, a114
	v_accvgpr_read_b32 v17, a115
	v_lshl_add_u64 v[16:17], v[16:17], 0, v[8:9]
	global_load_dwordx2 a[24:25], v[16:17], off
.LBB38_207:                             ;   in Loop: Header=BB38_150 Depth=1
	s_or_b64 exec, exec, s[18:19]
	v_lshl_add_u64 v[16:17], v[20:21], 0, 26
	v_accvgpr_write_b32 a22, 0
	v_cmp_gt_i64_e32 vcc, s[12:13], v[16:17]
	v_accvgpr_write_b32 a23, 0
	s_and_saveexec_b64 s[18:19], vcc
	s_cbranch_execz .LBB38_209
; %bb.208:                              ;   in Loop: Header=BB38_150 Depth=1
	v_accvgpr_read_b32 v16, a108
	v_accvgpr_read_b32 v17, a109
	v_lshl_add_u64 v[16:17], v[16:17], 0, v[8:9]
	global_load_dwordx2 a[16:17], v[16:17], off
	v_accvgpr_read_b32 v16, a110
	v_accvgpr_read_b32 v17, a111
	v_lshl_add_u64 v[16:17], v[16:17], 0, v[8:9]
	global_load_dwordx2 a[22:23], v[16:17], off
.LBB38_209:                             ;   in Loop: Header=BB38_150 Depth=1
	s_or_b64 exec, exec, s[18:19]
	v_lshl_add_u64 v[16:17], v[20:21], 0, 27
	v_accvgpr_write_b32 a8, 0
	v_accvgpr_write_b32 a18, 0
	;; [unrolled: 1-line block ×3, first 2 shown]
	v_cmp_gt_i64_e32 vcc, s[12:13], v[16:17]
	v_accvgpr_write_b32 a9, 0
	v_accvgpr_write_b32 a19, 0
	;; [unrolled: 1-line block ×3, first 2 shown]
	s_and_saveexec_b64 s[18:19], vcc
	s_cbranch_execz .LBB38_211
; %bb.210:                              ;   in Loop: Header=BB38_150 Depth=1
	v_accvgpr_read_b32 v16, a104
	v_accvgpr_read_b32 v17, a105
	v_lshl_add_u64 v[16:17], v[16:17], 0, v[8:9]
	global_load_dwordx2 a[18:19], v[16:17], off
	v_accvgpr_read_b32 v16, a106
	v_accvgpr_read_b32 v17, a107
	v_lshl_add_u64 v[16:17], v[16:17], 0, v[8:9]
	global_load_dwordx2 a[20:21], v[16:17], off
.LBB38_211:                             ;   in Loop: Header=BB38_150 Depth=1
	s_or_b64 exec, exec, s[18:19]
	v_lshl_add_u64 v[16:17], v[20:21], 0, 28
	v_accvgpr_write_b32 a14, 0
	v_cmp_gt_i64_e32 vcc, s[12:13], v[16:17]
	v_accvgpr_write_b32 a15, 0
	s_and_saveexec_b64 s[18:19], vcc
	s_cbranch_execz .LBB38_213
; %bb.212:                              ;   in Loop: Header=BB38_150 Depth=1
	v_accvgpr_read_b32 v16, a100
	v_accvgpr_read_b32 v17, a101
	v_lshl_add_u64 v[16:17], v[16:17], 0, v[8:9]
	global_load_dwordx2 a[8:9], v[16:17], off
	v_accvgpr_read_b32 v16, a102
	v_accvgpr_read_b32 v17, a103
	v_lshl_add_u64 v[16:17], v[16:17], 0, v[8:9]
	global_load_dwordx2 a[14:15], v[16:17], off
.LBB38_213:                             ;   in Loop: Header=BB38_150 Depth=1
	s_or_b64 exec, exec, s[18:19]
	v_lshl_add_u64 v[16:17], v[20:21], 0, 29
	v_accvgpr_write_b32 a0, 0
	v_accvgpr_write_b32 a10, 0
	;; [unrolled: 1-line block ×3, first 2 shown]
	v_cmp_gt_i64_e32 vcc, s[12:13], v[16:17]
	v_accvgpr_write_b32 a1, 0
	v_accvgpr_write_b32 a11, 0
	;; [unrolled: 1-line block ×3, first 2 shown]
	s_and_saveexec_b64 s[18:19], vcc
	s_cbranch_execz .LBB38_215
; %bb.214:                              ;   in Loop: Header=BB38_150 Depth=1
	v_accvgpr_read_b32 v16, a96
	v_accvgpr_read_b32 v17, a97
	v_lshl_add_u64 v[16:17], v[16:17], 0, v[8:9]
	global_load_dwordx2 a[10:11], v[16:17], off
	v_accvgpr_read_b32 v16, a98
	v_accvgpr_read_b32 v17, a99
	v_lshl_add_u64 v[16:17], v[16:17], 0, v[8:9]
	global_load_dwordx2 a[12:13], v[16:17], off
.LBB38_215:                             ;   in Loop: Header=BB38_150 Depth=1
	s_or_b64 exec, exec, s[18:19]
	v_lshl_add_u64 v[16:17], v[20:21], 0, 30
	v_accvgpr_write_b32 a6, 0
	v_cmp_gt_i64_e32 vcc, s[12:13], v[16:17]
	v_accvgpr_write_b32 a7, 0
	s_and_saveexec_b64 s[18:19], vcc
	s_cbranch_execz .LBB38_217
; %bb.216:                              ;   in Loop: Header=BB38_150 Depth=1
	v_accvgpr_read_b32 v16, a92
	v_accvgpr_read_b32 v17, a93
	v_lshl_add_u64 v[16:17], v[16:17], 0, v[8:9]
	global_load_dwordx2 a[0:1], v[16:17], off
	v_accvgpr_read_b32 v16, a94
	v_accvgpr_read_b32 v17, a95
	v_lshl_add_u64 v[16:17], v[16:17], 0, v[8:9]
	global_load_dwordx2 a[6:7], v[16:17], off
.LBB38_217:                             ;   in Loop: Header=BB38_150 Depth=1
	s_or_b64 exec, exec, s[18:19]
	s_waitcnt vmcnt(0)
	v_accvgpr_write_b32 a145, v85
	v_accvgpr_write_b32 a143, v27
	v_lshl_add_u64 v[16:17], v[20:21], 0, 31
	v_accvgpr_write_b32 a144, v84
	v_accvgpr_write_b32 a142, v26
	v_cmp_gt_i64_e32 vcc, s[12:13], v[16:17]
	v_mov_b64_e32 v[26:27], 0
	v_mov_b64_e32 v[104:105], 0
	s_and_saveexec_b64 s[18:19], vcc
	s_cbranch_execz .LBB38_219
; %bb.218:                              ;   in Loop: Header=BB38_150 Depth=1
	v_accvgpr_read_b32 v16, a88
	v_accvgpr_read_b32 v17, a89
	v_lshl_add_u64 v[16:17], v[16:17], 0, v[8:9]
	global_load_dwordx2 v[26:27], v[16:17], off
	v_accvgpr_read_b32 v16, a90
	v_accvgpr_read_b32 v17, a91
	v_lshl_add_u64 v[16:17], v[16:17], 0, v[8:9]
	global_load_dwordx2 v[104:105], v[16:17], off
.LBB38_219:                             ;   in Loop: Header=BB38_150 Depth=1
	s_or_b64 exec, exec, s[18:19]
	ds_bpermute_b32 v84, v110, v22
	ds_bpermute_b32 v85, v110, v23
	;; [unrolled: 1-line block ×4, first 2 shown]
	s_mov_b64 s[18:19], 0
	s_waitcnt lgkmcnt(2)
	v_add_f64 v[84:85], v[138:139], -v[84:85]
	v_mul_f64 v[84:85], v[78:79], v[84:85]
	s_waitcnt lgkmcnt(0)
	v_fma_f64 v[138:139], v[84:85], v[16:17], v[18:19]
	ds_bpermute_b32 v84, v110, v22 offset:4
	ds_bpermute_b32 v85, v110, v23 offset:4
	v_add_f64 v[16:17], v[142:143], v[78:79]
	ds_bpermute_b32 v78, v110, v24 offset:4
	ds_bpermute_b32 v79, v110, v25 offset:4
	v_add_f64 v[16:17], v[16:17], v[80:81]
	s_waitcnt lgkmcnt(2)
	v_add_f64 v[82:83], v[82:83], -v[84:85]
	v_mul_f64 v[82:83], v[80:81], v[82:83]
	ds_bpermute_b32 v80, v110, v22 offset:8
	ds_bpermute_b32 v81, v110, v23 offset:8
	s_waitcnt lgkmcnt(2)
	v_fmac_f64_e32 v[138:139], v[82:83], v[78:79]
	ds_bpermute_b32 v78, v110, v24 offset:8
	ds_bpermute_b32 v79, v110, v25 offset:8
	s_waitcnt lgkmcnt(2)
	v_add_f64 v[76:77], v[76:77], -v[80:81]
	v_mul_f64 v[76:77], v[6:7], v[76:77]
	v_add_f64 v[6:7], v[16:17], v[6:7]
	s_waitcnt lgkmcnt(0)
	v_fmac_f64_e32 v[138:139], v[76:77], v[78:79]
	ds_bpermute_b32 v76, v110, v22 offset:12
	ds_bpermute_b32 v77, v110, v23 offset:12
	;; [unrolled: 1-line block ×4, first 2 shown]
	s_waitcnt lgkmcnt(2)
	v_add_f64 v[74:75], v[74:75], -v[76:77]
	v_mul_f64 v[74:75], v[2:3], v[74:75]
	s_waitcnt lgkmcnt(0)
	v_fmac_f64_e32 v[138:139], v[74:75], v[16:17]
	ds_bpermute_b32 v16, v110, v22 offset:16
	ds_bpermute_b32 v17, v110, v23 offset:16
	v_add_f64 v[2:3], v[6:7], v[2:3]
	ds_bpermute_b32 v6, v110, v24 offset:16
	ds_bpermute_b32 v7, v110, v25 offset:16
	v_add_f64 v[2:3], v[2:3], v[30:31]
	s_waitcnt lgkmcnt(2)
	v_add_f64 v[16:17], v[34:35], -v[16:17]
	v_mul_f64 v[16:17], v[30:31], v[16:17]
	v_accvgpr_read_b32 v30, a146
	s_waitcnt lgkmcnt(0)
	v_fmac_f64_e32 v[138:139], v[16:17], v[6:7]
	ds_bpermute_b32 v16, v110, v22 offset:20
	ds_bpermute_b32 v17, v110, v23 offset:20
	;; [unrolled: 1-line block ×4, first 2 shown]
	v_accvgpr_read_b32 v31, a147
	v_add_f64 v[2:3], v[2:3], v[32:33]
	s_waitcnt lgkmcnt(2)
	v_add_f64 v[16:17], v[68:69], -v[16:17]
	v_mul_f64 v[16:17], v[32:33], v[16:17]
	s_waitcnt lgkmcnt(0)
	v_fmac_f64_e32 v[138:139], v[16:17], v[6:7]
	ds_bpermute_b32 v16, v110, v22 offset:24
	ds_bpermute_b32 v17, v110, v23 offset:24
	;; [unrolled: 1-line block ×4, first 2 shown]
	v_add_f64 v[2:3], v[2:3], v[70:71]
	v_add_f64 v[2:3], v[2:3], v[72:73]
	s_waitcnt lgkmcnt(2)
	v_add_f64 v[16:17], v[66:67], -v[16:17]
	v_mul_f64 v[16:17], v[70:71], v[16:17]
	s_waitcnt lgkmcnt(0)
	v_fmac_f64_e32 v[138:139], v[16:17], v[6:7]
	ds_bpermute_b32 v16, v110, v22 offset:28
	ds_bpermute_b32 v17, v110, v23 offset:28
	;; [unrolled: 1-line block ×4, first 2 shown]
	v_add_f64 v[2:3], v[2:3], v[62:63]
	v_add_f64 v[2:3], v[2:3], v[64:65]
	s_waitcnt lgkmcnt(2)
	v_add_f64 v[16:17], v[30:31], -v[16:17]
	v_mul_f64 v[16:17], v[72:73], v[16:17]
	s_waitcnt lgkmcnt(0)
	v_fmac_f64_e32 v[138:139], v[16:17], v[6:7]
	ds_bpermute_b32 v16, v110, v22 offset:32
	ds_bpermute_b32 v17, v110, v23 offset:32
	ds_bpermute_b32 v6, v110, v24 offset:32
	ds_bpermute_b32 v7, v110, v25 offset:32
	v_accvgpr_read_b32 v30, a144
	v_accvgpr_read_b32 v31, a145
	s_waitcnt lgkmcnt(2)
	v_add_f64 v[16:17], v[30:31], -v[16:17]
	v_mul_f64 v[16:17], v[62:63], v[16:17]
	s_waitcnt lgkmcnt(0)
	v_fmac_f64_e32 v[138:139], v[16:17], v[6:7]
	ds_bpermute_b32 v16, v110, v22 offset:36
	ds_bpermute_b32 v17, v110, v23 offset:36
	ds_bpermute_b32 v6, v110, v24 offset:36
	ds_bpermute_b32 v7, v110, v25 offset:36
	v_accvgpr_read_b32 v30, a142
	v_accvgpr_read_b32 v31, a143
	;; [unrolled: 11-line block ×10, first 2 shown]
	s_waitcnt lgkmcnt(2)
	v_add_f64 v[16:17], v[30:31], -v[16:17]
	v_mul_f64 v[16:17], v[48:49], v[16:17]
	s_waitcnt lgkmcnt(0)
	v_fmac_f64_e32 v[138:139], v[16:17], v[6:7]
	ds_bpermute_b32 v16, v110, v22 offset:72
	ds_bpermute_b32 v17, v110, v23 offset:72
	;; [unrolled: 1-line block ×4, first 2 shown]
	v_accvgpr_read_b32 v30, a38
	v_add_f64 v[2:3], v[2:3], v[58:59]
	v_accvgpr_read_b32 v31, a39
	v_add_f64 v[2:3], v[2:3], v[60:61]
	s_waitcnt lgkmcnt(2)
	v_add_f64 v[16:17], v[30:31], -v[16:17]
	v_add_f64 v[2:3], v[2:3], v[54:55]
	v_mul_f64 v[16:17], v[44:45], v[16:17]
	v_add_f64 v[2:3], v[2:3], v[56:57]
	s_waitcnt lgkmcnt(0)
	v_fmac_f64_e32 v[138:139], v[16:17], v[6:7]
	ds_bpermute_b32 v16, v110, v22 offset:76
	ds_bpermute_b32 v17, v110, v23 offset:76
	v_add_f64 v[2:3], v[2:3], v[50:51]
	v_add_f64 v[2:3], v[2:3], v[52:53]
	;; [unrolled: 1-line block ×3, first 2 shown]
	ds_bpermute_b32 v6, v110, v24 offset:76
	ds_bpermute_b32 v7, v110, v25 offset:76
	v_accvgpr_read_b32 v30, a36
	v_add_f64 v[2:3], v[2:3], v[48:49]
	v_accvgpr_read_b32 v31, a37
	v_add_f64 v[2:3], v[2:3], v[44:45]
	s_waitcnt lgkmcnt(2)
	v_add_f64 v[16:17], v[30:31], -v[16:17]
	v_mul_f64 v[16:17], v[12:13], v[16:17]
	v_add_f64 v[2:3], v[2:3], v[12:13]
	ds_bpermute_b32 v12, v110, v22 offset:80
	ds_bpermute_b32 v13, v110, v23 offset:80
	s_waitcnt lgkmcnt(2)
	v_fmac_f64_e32 v[138:139], v[16:17], v[6:7]
	ds_bpermute_b32 v6, v110, v24 offset:80
	ds_bpermute_b32 v7, v110, v25 offset:80
	v_accvgpr_read_b32 v16, a34
	v_accvgpr_read_b32 v17, a35
	s_waitcnt lgkmcnt(2)
	v_add_f64 v[12:13], v[16:17], -v[12:13]
	v_mul_f64 v[12:13], v[42:43], v[12:13]
	s_waitcnt lgkmcnt(0)
	v_fmac_f64_e32 v[138:139], v[12:13], v[6:7]
	ds_bpermute_b32 v12, v110, v22 offset:84
	ds_bpermute_b32 v13, v110, v23 offset:84
	;; [unrolled: 1-line block ×4, first 2 shown]
	v_accvgpr_read_b32 v16, a32
	v_accvgpr_read_b32 v17, a33
	v_add_f64 v[2:3], v[2:3], v[42:43]
	s_waitcnt lgkmcnt(2)
	v_add_f64 v[12:13], v[16:17], -v[12:13]
	v_mul_f64 v[12:13], v[10:11], v[12:13]
	v_add_f64 v[2:3], v[2:3], v[10:11]
	ds_bpermute_b32 v10, v110, v22 offset:88
	ds_bpermute_b32 v11, v110, v23 offset:88
	s_waitcnt lgkmcnt(2)
	v_fmac_f64_e32 v[138:139], v[12:13], v[6:7]
	ds_bpermute_b32 v6, v110, v24 offset:88
	ds_bpermute_b32 v7, v110, v25 offset:88
	v_accvgpr_read_b32 v12, a30
	v_accvgpr_read_b32 v13, a31
	s_waitcnt lgkmcnt(2)
	v_add_f64 v[10:11], v[12:13], -v[10:11]
	v_mul_f64 v[10:11], v[40:41], v[10:11]
	s_waitcnt lgkmcnt(0)
	v_fmac_f64_e32 v[138:139], v[10:11], v[6:7]
	ds_bpermute_b32 v10, v110, v22 offset:92
	ds_bpermute_b32 v11, v110, v23 offset:92
	ds_bpermute_b32 v6, v110, v24 offset:92
	ds_bpermute_b32 v7, v110, v25 offset:92
	v_accvgpr_read_b32 v12, a28
	v_accvgpr_read_b32 v13, a29
	s_waitcnt lgkmcnt(2)
	v_add_f64 v[10:11], v[12:13], -v[10:11]
	v_mul_f64 v[10:11], v[28:29], v[10:11]
	s_waitcnt lgkmcnt(0)
	v_fmac_f64_e32 v[138:139], v[10:11], v[6:7]
	ds_bpermute_b32 v10, v110, v22 offset:96
	ds_bpermute_b32 v11, v110, v23 offset:96
	;; [unrolled: 11-line block ×4, first 2 shown]
	ds_bpermute_b32 v6, v110, v24 offset:104
	ds_bpermute_b32 v7, v110, v25 offset:104
	v_accvgpr_read_b32 v12, a22
	v_accvgpr_read_b32 v13, a23
	s_waitcnt lgkmcnt(2)
	v_add_f64 v[10:11], v[12:13], -v[10:11]
	v_accvgpr_read_b32 v12, a16
	v_accvgpr_read_b32 v13, a17
	v_add_f64 v[2:3], v[2:3], v[40:41]
	v_mul_f64 v[10:11], v[12:13], v[10:11]
	v_add_f64 v[2:3], v[2:3], v[28:29]
	s_waitcnt lgkmcnt(0)
	v_fmac_f64_e32 v[138:139], v[10:11], v[6:7]
	ds_bpermute_b32 v10, v110, v22 offset:108
	ds_bpermute_b32 v11, v110, v23 offset:108
	v_add_f64 v[2:3], v[2:3], v[36:37]
	v_add_f64 v[2:3], v[2:3], v[38:39]
	;; [unrolled: 1-line block ×3, first 2 shown]
	ds_bpermute_b32 v6, v110, v24 offset:108
	ds_bpermute_b32 v7, v110, v25 offset:108
	v_accvgpr_read_b32 v12, a20
	v_accvgpr_read_b32 v13, a21
	s_waitcnt lgkmcnt(2)
	v_add_f64 v[10:11], v[12:13], -v[10:11]
	v_accvgpr_read_b32 v12, a18
	v_accvgpr_read_b32 v13, a19
	v_mul_f64 v[10:11], v[12:13], v[10:11]
	s_waitcnt lgkmcnt(0)
	v_fmac_f64_e32 v[138:139], v[10:11], v[6:7]
	ds_bpermute_b32 v10, v110, v22 offset:112
	ds_bpermute_b32 v11, v110, v23 offset:112
	v_add_f64 v[2:3], v[2:3], v[12:13]
	ds_bpermute_b32 v6, v110, v24 offset:112
	ds_bpermute_b32 v7, v110, v25 offset:112
	v_accvgpr_read_b32 v12, a14
	v_accvgpr_read_b32 v13, a15
	s_waitcnt lgkmcnt(2)
	v_add_f64 v[10:11], v[12:13], -v[10:11]
	v_accvgpr_read_b32 v13, a9
	v_accvgpr_read_b32 v12, a8
	v_mul_f64 v[10:11], v[12:13], v[10:11]
	s_waitcnt lgkmcnt(0)
	v_fmac_f64_e32 v[138:139], v[10:11], v[6:7]
	ds_bpermute_b32 v10, v110, v22 offset:116
	ds_bpermute_b32 v11, v110, v23 offset:116
	v_add_f64 v[2:3], v[2:3], v[12:13]
	;; [unrolled: 14-line block ×3, first 2 shown]
	ds_bpermute_b32 v6, v110, v24 offset:120
	ds_bpermute_b32 v7, v110, v25 offset:120
	v_accvgpr_read_b32 v13, a7
	v_accvgpr_read_b32 v12, a6
	s_waitcnt lgkmcnt(2)
	v_add_f64 v[10:11], v[12:13], -v[10:11]
	v_accvgpr_read_b32 v13, a1
	v_accvgpr_read_b32 v12, a0
	v_mul_f64 v[10:11], v[12:13], v[10:11]
	s_waitcnt lgkmcnt(0)
	v_fmac_f64_e32 v[138:139], v[10:11], v[6:7]
	ds_bpermute_b32 v6, v110, v24 offset:124
	ds_bpermute_b32 v7, v110, v25 offset:124
	;; [unrolled: 1-line block ×4, first 2 shown]
	v_add_f64 v[2:3], v[2:3], v[12:13]
.LBB38_220:                             ;   in Loop: Header=BB38_150 Depth=1
	s_and_b64 vcc, exec, s[18:19]
	s_cbranch_vccz .LBB38_226
; %bb.221:                              ;   in Loop: Header=BB38_150 Depth=1
	s_load_dword s3, s[6:7], 0x0
	v_accvgpr_read_b32 v3, a3
	v_accvgpr_write_b32 a0, v142
	v_mov_b64_e32 v[78:79], v[116:117]
	v_mov_b64_e32 v[24:25], v[162:163]
	s_waitcnt lgkmcnt(0)
	s_cmp_lt_u32 s2, s3
	s_cselect_b32 s3, 12, 18
	s_add_u32 s18, s6, s3
	s_addc_u32 s19, s7, 0
	global_load_ushort v2, v3, s[18:19]
	v_mov_b64_e32 v[162:163], v[102:103]
	v_mov_b64_e32 v[116:117], v[100:101]
	;; [unrolled: 1-line block ×4, first 2 shown]
	v_accvgpr_write_b32 a1, v143
	v_mov_b64_e32 v[6:7], 0
	s_waitcnt vmcnt(0)
	v_mad_u32_u24 v2, v1, v2, v111
	v_and_b32_e32 v2, 63, v2
	v_accvgpr_write_b32 a2, v2
	v_accvgpr_write_b32 a3, v3
	v_cmp_gt_u32_e32 vcc, 32, v2
	v_mov_b64_e32 v[2:3], 0
	s_and_saveexec_b64 s[18:19], vcc
	s_cbranch_execz .LBB38_225
; %bb.222:                              ;   in Loop: Header=BB38_150 Depth=1
	v_accvgpr_read_b32 v2, a2
	v_accvgpr_read_b32 v3, a3
	v_lshl_add_u64 v[10:11], v[20:21], 0, v[2:3]
	v_cmp_gt_i64_e32 vcc, s[12:13], v[10:11]
	v_mov_b64_e32 v[2:3], 0
	v_mov_b64_e32 v[6:7], 0
	s_and_saveexec_b64 s[28:29], vcc
	s_cbranch_execz .LBB38_224
; %bb.223:                              ;   in Loop: Header=BB38_150 Depth=1
	v_lshlrev_b64 v[2:3], 3, v[10:11]
	v_lshl_add_u64 v[6:7], s[22:23], 0, v[2:3]
	v_lshl_add_u64 v[2:3], s[20:21], 0, v[2:3]
	global_load_dwordx2 v[2:3], v[2:3], off
	s_nop 0
	global_load_dwordx2 v[6:7], v[6:7], off
.LBB38_224:                             ;   in Loop: Header=BB38_150 Depth=1
	s_or_b64 exec, exec, s[28:29]
.LBB38_225:                             ;   in Loop: Header=BB38_150 Depth=1
	s_or_b64 exec, exec, s[18:19]
	v_lshl_add_u64 v[10:11], v[106:107], 0, v[8:9]
	global_load_dwordx2 v[26:27], v[10:11], off
	v_lshl_add_u64 v[10:11], v[108:109], 0, v[8:9]
	global_load_dwordx2 v[34:35], v[10:11], off
	;; [unrolled: 2-line block ×6, first 2 shown]
	v_lshl_add_u64 v[10:11], v[146:147], 0, v[8:9]
	v_accvgpr_write_b32 a12, v144
	v_accvgpr_write_b32 a13, v145
	global_load_dwordx2 v[144:145], v[10:11], off
	v_accvgpr_read_b32 v10, a42
	v_accvgpr_read_b32 v11, a43
	v_lshl_add_u64 v[10:11], v[10:11], 0, v[8:9]
	global_load_dwordx2 v[54:55], v[10:11], off
	v_lshl_add_u64 v[10:11], v[148:149], 0, v[8:9]
	v_accvgpr_write_b32 a6, v106
	v_accvgpr_write_b32 a7, v107
	global_load_dwordx2 v[106:107], v[10:11], off
	v_accvgpr_read_b32 v10, a44
	v_accvgpr_read_b32 v11, a45
	v_lshl_add_u64 v[10:11], v[10:11], 0, v[8:9]
	global_load_dwordx2 v[60:61], v[10:11], off
	;; [unrolled: 8-line block ×4, first 2 shown]
	v_lshl_add_u64 v[10:11], v[90:91], 0, v[8:9]
	v_accvgpr_write_b32 a10, v140
	v_accvgpr_write_b32 a11, v141
	global_load_dwordx2 v[140:141], v[10:11], off
	v_accvgpr_read_b32 v10, a50
	v_accvgpr_read_b32 v11, a51
	v_lshl_add_u64 v[10:11], v[10:11], 0, v[8:9]
	v_accvgpr_write_b32 a8, v108
	v_accvgpr_write_b32 a9, v109
	global_load_dwordx2 v[108:109], v[10:11], off
	v_lshl_add_u64 v[10:11], v[92:93], 0, v[8:9]
	global_load_dwordx2 v[102:103], v[10:11], off
	v_accvgpr_read_b32 v10, a52
	v_accvgpr_read_b32 v11, a53
	v_lshl_add_u64 v[10:11], v[10:11], 0, v[8:9]
	global_load_dwordx2 v[104:105], v[10:11], off
	v_lshl_add_u64 v[10:11], v[94:95], 0, v[8:9]
	global_load_dwordx2 v[98:99], v[10:11], off
	v_accvgpr_read_b32 v10, a54
	v_accvgpr_read_b32 v11, a55
	v_lshl_add_u64 v[10:11], v[10:11], 0, v[8:9]
	global_load_dwordx2 v[16:17], v[10:11], off
	v_lshl_add_u64 v[10:11], v[96:97], 0, v[8:9]
	v_accvgpr_write_b32 a26, v94
	v_accvgpr_write_b32 a27, v95
	global_load_dwordx2 v[94:95], v[10:11], off
	v_accvgpr_read_b32 v10, a56
	v_accvgpr_read_b32 v11, a57
	v_accvgpr_write_b32 a38, v176
	v_lshl_add_u64 v[10:11], v[10:11], 0, v[8:9]
	v_accvgpr_write_b32 a39, v177
	v_mov_b64_e32 v[176:177], v[152:153]
	global_load_dwordx2 v[100:101], v[10:11], off
	v_lshl_add_u64 v[10:11], v[176:177], 0, v[8:9]
	v_accvgpr_write_b32 a22, v90
	v_accvgpr_write_b32 a23, v91
	global_load_dwordx2 v[90:91], v[10:11], off
	v_accvgpr_read_b32 v10, a58
	v_accvgpr_read_b32 v11, a59
	v_lshl_add_u64 v[10:11], v[10:11], 0, v[8:9]
	v_accvgpr_write_b32 a28, v96
	v_mov_b64_e32 v[152:153], v[12:13]
	v_accvgpr_write_b32 a29, v97
	global_load_dwordx2 v[96:97], v[10:11], off
	v_lshl_add_u64 v[10:11], v[152:153], 0, v[8:9]
	v_accvgpr_write_b32 a18, v86
	v_accvgpr_write_b32 a19, v87
	global_load_dwordx2 v[86:87], v[10:11], off
	v_accvgpr_read_b32 v10, a60
	v_accvgpr_read_b32 v11, a61
	v_lshl_add_u64 v[10:11], v[10:11], 0, v[8:9]
	v_accvgpr_write_b32 a24, v92
	v_accvgpr_write_b32 a25, v93
	global_load_dwordx2 v[92:93], v[10:11], off
	v_lshl_add_u64 v[10:11], v[116:117], 0, v[8:9]
	global_load_dwordx2 v[138:139], v[10:11], off
	v_accvgpr_read_b32 v10, a62
	v_accvgpr_read_b32 v11, a63
	v_lshl_add_u64 v[10:11], v[10:11], 0, v[8:9]
	v_accvgpr_write_b32 a20, v88
	s_waitcnt vmcnt(28)
	ds_bpermute_b32 v40, v110, v2
	ds_bpermute_b32 v41, v110, v3
	v_accvgpr_write_b32 a21, v89
	global_load_dwordx2 v[88:89], v[10:11], off
	v_lshl_add_u64 v[10:11], v[154:155], 0, v[8:9]
	global_load_dwordx2 v[80:81], v[10:11], off
	v_accvgpr_read_b32 v10, a64
	s_waitcnt vmcnt(29)
	ds_bpermute_b32 v70, v110, v6
	ds_bpermute_b32 v71, v110, v7
	v_accvgpr_read_b32 v11, a65
	v_lshl_add_u64 v[10:11], v[10:11], 0, v[8:9]
	global_load_dwordx2 v[84:85], v[10:11], off
	v_lshl_add_u64 v[10:11], v[156:157], 0, v[8:9]
	s_waitcnt vmcnt(28) lgkmcnt(2)
	v_add_f64 v[34:35], v[34:35], -v[40:41]
	global_load_dwordx2 v[72:73], v[10:11], off
	v_accvgpr_read_b32 v10, a66
	v_mul_f64 v[34:35], v[26:27], v[34:35]
	v_accvgpr_read_b32 v11, a67
	s_waitcnt lgkmcnt(0)
	v_fmac_f64_e32 v[18:19], v[34:35], v[70:71]
	ds_bpermute_b32 v34, v110, v2 offset:4
	ds_bpermute_b32 v35, v110, v3 offset:4
	v_lshl_add_u64 v[10:11], v[10:11], 0, v[8:9]
	global_load_dwordx2 v[82:83], v[10:11], off
	v_lshl_add_u64 v[10:11], v[114:115], 0, v[8:9]
	ds_bpermute_b32 v70, v110, v6 offset:4
	ds_bpermute_b32 v71, v110, v7 offset:4
	global_load_dwordx2 v[62:63], v[10:11], off
	v_accvgpr_read_b32 v10, a68
	v_accvgpr_read_b32 v11, a69
	v_lshl_add_u64 v[10:11], v[10:11], 0, v[8:9]
	s_waitcnt vmcnt(29) lgkmcnt(2)
	v_add_f64 v[34:35], v[46:47], -v[34:35]
	ds_bpermute_b32 v46, v110, v2 offset:8
	ds_bpermute_b32 v47, v110, v3 offset:8
	global_load_dwordx2 v[74:75], v[10:11], off
	v_lshl_add_u64 v[10:11], v[158:159], 0, v[8:9]
	v_mul_f64 v[34:35], v[68:69], v[34:35]
	global_load_dwordx2 v[56:57], v[10:11], off
	v_accvgpr_read_b32 v10, a70
	s_waitcnt lgkmcnt(2)
	v_fmac_f64_e32 v[18:19], v[34:35], v[70:71]
	ds_bpermute_b32 v70, v110, v6 offset:8
	ds_bpermute_b32 v71, v110, v7 offset:8
	v_accvgpr_read_b32 v11, a71
	v_lshl_add_u64 v[10:11], v[10:11], 0, v[8:9]
	global_load_dwordx2 v[66:67], v[10:11], off
	v_lshl_add_u64 v[10:11], v[160:161], 0, v[8:9]
	s_waitcnt vmcnt(30) lgkmcnt(2)
	v_add_f64 v[46:47], v[48:49], -v[46:47]
	global_load_dwordx2 v[50:51], v[10:11], off
	v_accvgpr_read_b32 v10, a72
	v_mul_f64 v[46:47], v[142:143], v[46:47]
	v_accvgpr_read_b32 v11, a73
	v_accvgpr_write_b32 a40, v124
	s_waitcnt lgkmcnt(0)
	v_fmac_f64_e32 v[18:19], v[46:47], v[70:71]
	ds_bpermute_b32 v46, v110, v2 offset:12
	ds_bpermute_b32 v47, v110, v3 offset:12
	v_lshl_add_u64 v[10:11], v[10:11], 0, v[8:9]
	v_accvgpr_write_b32 a41, v125
	v_mov_b64_e32 v[124:125], v[162:163]
	global_load_dwordx2 v[58:59], v[10:11], off
	v_lshl_add_u64 v[10:11], v[124:125], 0, v[8:9]
	ds_bpermute_b32 v70, v110, v6 offset:12
	ds_bpermute_b32 v71, v110, v7 offset:12
	global_load_dwordx2 v[42:43], v[10:11], off
	v_accvgpr_read_b32 v10, a74
	v_accvgpr_read_b32 v11, a75
	v_lshl_add_u64 v[10:11], v[10:11], 0, v[8:9]
	v_mov_b64_e32 v[162:163], v[24:25]
	s_waitcnt vmcnt(31) lgkmcnt(2)
	v_add_f64 v[46:47], v[54:55], -v[46:47]
	ds_bpermute_b32 v54, v110, v2 offset:16
	ds_bpermute_b32 v55, v110, v3 offset:16
	global_load_dwordx2 v[52:53], v[10:11], off
	v_lshl_add_u64 v[10:11], v[162:163], 0, v[8:9]
	v_mul_f64 v[46:47], v[144:145], v[46:47]
	global_load_dwordx2 v[36:37], v[10:11], off
	v_accvgpr_read_b32 v10, a76
	s_waitcnt lgkmcnt(2)
	v_fmac_f64_e32 v[18:19], v[46:47], v[70:71]
	ds_bpermute_b32 v70, v110, v6 offset:16
	ds_bpermute_b32 v71, v110, v7 offset:16
	v_accvgpr_read_b32 v11, a77
	v_lshl_add_u64 v[10:11], v[10:11], 0, v[8:9]
	global_load_dwordx2 v[44:45], v[10:11], off
	v_lshl_add_u64 v[10:11], v[164:165], 0, v[8:9]
	s_waitcnt vmcnt(32) lgkmcnt(2)
	v_add_f64 v[54:55], v[60:61], -v[54:55]
	global_load_dwordx2 v[30:31], v[10:11], off
	v_accvgpr_read_b32 v10, a78
	v_mul_f64 v[54:55], v[106:107], v[54:55]
	v_accvgpr_read_b32 v11, a79
	s_waitcnt lgkmcnt(0)
	v_fmac_f64_e32 v[18:19], v[54:55], v[70:71]
	ds_bpermute_b32 v54, v110, v2 offset:20
	ds_bpermute_b32 v55, v110, v3 offset:20
	v_lshl_add_u64 v[10:11], v[10:11], 0, v[8:9]
	v_lshl_add_u64 v[60:61], v[128:129], 0, v[8:9]
	global_load_dwordx2 v[38:39], v[10:11], off
	v_lshl_add_u64 v[10:11], v[118:119], 0, v[8:9]
	global_load_dwordx2 v[70:71], v[60:61], off
	ds_bpermute_b32 v60, v110, v6 offset:20
	ds_bpermute_b32 v61, v110, v7 offset:20
	global_load_dwordx2 v[24:25], v[10:11], off
	v_accvgpr_read_b32 v10, a80
	v_accvgpr_read_b32 v11, a81
	v_lshl_add_u64 v[10:11], v[10:11], 0, v[8:9]
	s_waitcnt vmcnt(34) lgkmcnt(2)
	v_add_f64 v[54:55], v[64:65], -v[54:55]
	global_load_dwordx2 v[32:33], v[10:11], off
	v_lshl_add_u64 v[10:11], v[112:113], 0, v[8:9]
	v_mul_f64 v[54:55], v[146:147], v[54:55]
	ds_bpermute_b32 v64, v110, v2 offset:24
	ds_bpermute_b32 v65, v110, v3 offset:24
	global_load_dwordx2 v[12:13], v[10:11], off
	v_accvgpr_read_b32 v10, a82
	s_waitcnt lgkmcnt(2)
	v_fmac_f64_e32 v[18:19], v[54:55], v[60:61]
	v_lshl_add_u64 v[54:55], v[120:121], 0, v[8:9]
	v_accvgpr_read_b32 v11, a83
	global_load_dwordx2 v[60:61], v[54:55], off
	ds_bpermute_b32 v54, v110, v6 offset:24
	ds_bpermute_b32 v55, v110, v7 offset:24
	v_lshl_add_u64 v[10:11], v[10:11], 0, v[8:9]
	global_load_dwordx2 v[28:29], v[10:11], off
	v_accvgpr_read_b32 v20, a84
	v_accvgpr_read_b32 v21, a85
	s_waitcnt vmcnt(36) lgkmcnt(2)
	v_add_f64 v[64:65], v[76:77], -v[64:65]
	v_lshl_add_u64 v[20:21], v[20:21], 0, v[8:9]
	v_mul_f64 v[64:65], v[148:149], v[64:65]
	v_lshl_add_u64 v[10:11], v[166:167], 0, v[8:9]
	global_load_dwordx2 v[20:21], v[20:21], off
	s_waitcnt lgkmcnt(0)
	v_fmac_f64_e32 v[18:19], v[64:65], v[54:55]
	v_lshl_add_u64 v[54:55], v[172:173], 0, v[8:9]
	global_load_dwordx2 v[10:11], v[10:11], off
	v_accvgpr_read_b32 v40, a86
	v_lshl_add_u64 v[76:77], v[130:131], 0, v[8:9]
	v_accvgpr_write_b32 a30, v170
	global_load_dwordx2 v[64:65], v[54:55], off
	v_lshl_add_u64 v[54:55], v[132:133], 0, v[8:9]
	v_accvgpr_read_b32 v41, a87
	v_lshl_add_u64 v[46:47], v[170:171], 0, v[8:9]
	v_accvgpr_write_b32 a31, v171
	global_load_dwordx2 v[170:171], v[76:77], off
	v_lshl_add_u64 v[40:41], v[40:41], 0, v[8:9]
	global_load_dwordx2 v[76:77], v[54:55], off
	v_accvgpr_read_b32 v55, a1
	v_accvgpr_read_b32 v54, a0
	v_lshl_add_u64 v[22:23], v[168:169], 0, v[8:9]
	global_load_dwordx2 v[40:41], v[40:41], off
	v_add_f64 v[26:27], v[54:55], v[26:27]
	global_load_dwordx2 v[22:23], v[22:23], off
	v_add_f64 v[26:27], v[26:27], v[68:69]
	v_add_f64 v[142:143], v[26:27], v[142:143]
	;; [unrolled: 1-line block ×3, first 2 shown]
	v_lshl_add_u64 v[48:49], v[126:127], 0, v[8:9]
	v_add_f64 v[106:107], v[142:143], v[106:107]
	ds_bpermute_b32 v142, v110, v2 offset:28
	ds_bpermute_b32 v143, v110, v3 offset:28
	v_lshl_add_u64 v[34:35], v[78:79], 0, v[8:9]
	global_load_dwordx2 v[48:49], v[48:49], off
	v_lshl_add_u64 v[144:145], v[136:137], 0, v[8:9]
	global_load_dwordx2 v[34:35], v[34:35], off
	s_waitcnt vmcnt(43) lgkmcnt(0)
	v_add_f64 v[108:109], v[108:109], -v[142:143]
	global_load_dwordx2 a[0:1], v[144:145], off
	ds_bpermute_b32 v144, v110, v6 offset:28
	ds_bpermute_b32 v145, v110, v7 offset:28
	ds_bpermute_b32 v142, v110, v2 offset:32
	ds_bpermute_b32 v143, v110, v3 offset:32
	v_mul_f64 v[108:109], v[140:141], v[108:109]
	global_load_dwordx2 v[46:47], v[46:47], off
	s_waitcnt lgkmcnt(2)
	v_fmac_f64_e32 v[18:19], v[108:109], v[144:145]
	ds_bpermute_b32 v108, v110, v6 offset:32
	ds_bpermute_b32 v109, v110, v7 offset:32
	v_add_f64 v[106:107], v[106:107], v[146:147]
	v_add_f64 v[106:107], v[106:107], v[148:149]
	v_add_f64 v[106:107], v[106:107], v[140:141]
	s_waitcnt vmcnt(43) lgkmcnt(2)
	v_add_f64 v[104:105], v[104:105], -v[142:143]
	ds_bpermute_b32 v140, v110, v2 offset:36
	ds_bpermute_b32 v141, v110, v3 offset:36
	v_mul_f64 v[104:105], v[102:103], v[104:105]
	s_waitcnt lgkmcnt(2)
	v_fmac_f64_e32 v[18:19], v[104:105], v[108:109]
	ds_bpermute_b32 v104, v110, v6 offset:36
	ds_bpermute_b32 v105, v110, v7 offset:36
	v_add_f64 v[102:103], v[106:107], v[102:103]
	s_waitcnt vmcnt(41) lgkmcnt(2)
	v_add_f64 v[16:17], v[16:17], -v[140:141]
	ds_bpermute_b32 v106, v110, v2 offset:40
	ds_bpermute_b32 v107, v110, v3 offset:40
	v_mul_f64 v[16:17], v[98:99], v[16:17]
	s_waitcnt lgkmcnt(2)
	v_fmac_f64_e32 v[18:19], v[16:17], v[104:105]
	v_add_f64 v[16:17], v[102:103], v[98:99]
	ds_bpermute_b32 v98, v110, v6 offset:40
	ds_bpermute_b32 v99, v110, v7 offset:40
	;; [unrolled: 1-line block ×4, first 2 shown]
	v_lshl_add_u64 v[68:69], v[134:135], 0, v[8:9]
	s_waitcnt vmcnt(39) lgkmcnt(4)
	v_add_f64 v[100:101], v[100:101], -v[106:107]
	v_lshl_add_u64 v[54:55], v[122:123], 0, v[8:9]
	global_load_dwordx2 v[68:69], v[68:69], off
	v_mul_f64 v[100:101], v[94:95], v[100:101]
	v_add_f64 v[16:17], v[16:17], v[94:95]
	ds_bpermute_b32 v94, v110, v6 offset:44
	ds_bpermute_b32 v95, v110, v7 offset:44
	global_load_dwordx2 v[54:55], v[54:55], off
	s_waitcnt lgkmcnt(4)
	v_fmac_f64_e32 v[18:19], v[100:101], v[98:99]
	ds_bpermute_b32 v98, v110, v2 offset:48
	ds_bpermute_b32 v99, v110, v3 offset:48
	v_lshl_add_u64 v[26:27], v[174:175], 0, v[8:9]
	s_waitcnt vmcnt(39) lgkmcnt(4)
	v_add_f64 v[96:97], v[96:97], -v[102:103]
	global_load_dwordx2 v[26:27], v[26:27], off
	v_mul_f64 v[96:97], v[90:91], v[96:97]
	s_waitcnt lgkmcnt(2)
	v_fmac_f64_e32 v[18:19], v[96:97], v[94:95]
	v_add_f64 v[16:17], v[16:17], v[90:91]
	ds_bpermute_b32 v90, v110, v6 offset:48
	ds_bpermute_b32 v91, v110, v7 offset:48
	;; [unrolled: 1-line block ×4, first 2 shown]
	s_waitcnt vmcnt(38) lgkmcnt(4)
	v_add_f64 v[92:93], v[92:93], -v[98:99]
	v_mul_f64 v[92:93], v[86:87], v[92:93]
	v_add_f64 v[16:17], v[16:17], v[86:87]
	ds_bpermute_b32 v86, v110, v6 offset:52
	ds_bpermute_b32 v87, v110, v7 offset:52
	s_waitcnt lgkmcnt(4)
	v_fmac_f64_e32 v[18:19], v[92:93], v[90:91]
	s_waitcnt vmcnt(36) lgkmcnt(2)
	v_add_f64 v[88:89], v[88:89], -v[94:95]
	ds_bpermute_b32 v90, v110, v2 offset:56
	ds_bpermute_b32 v91, v110, v3 offset:56
	v_mul_f64 v[88:89], v[138:139], v[88:89]
	s_waitcnt lgkmcnt(2)
	v_fmac_f64_e32 v[18:19], v[88:89], v[86:87]
	ds_bpermute_b32 v86, v110, v6 offset:56
	ds_bpermute_b32 v87, v110, v7 offset:56
	ds_bpermute_b32 v88, v110, v2 offset:60
	ds_bpermute_b32 v89, v110, v3 offset:60
	v_add_f64 v[16:17], v[16:17], v[138:139]
	s_waitcnt vmcnt(34) lgkmcnt(4)
	v_add_f64 v[84:85], v[84:85], -v[90:91]
	v_mul_f64 v[84:85], v[80:81], v[84:85]
	v_add_f64 v[16:17], v[16:17], v[80:81]
	ds_bpermute_b32 v80, v110, v6 offset:60
	ds_bpermute_b32 v81, v110, v7 offset:60
	s_waitcnt lgkmcnt(4)
	v_fmac_f64_e32 v[18:19], v[84:85], v[86:87]
	ds_bpermute_b32 v84, v110, v2 offset:64
	ds_bpermute_b32 v85, v110, v3 offset:64
	s_waitcnt vmcnt(32) lgkmcnt(4)
	v_add_f64 v[82:83], v[82:83], -v[88:89]
	v_mul_f64 v[82:83], v[72:73], v[82:83]
	v_add_f64 v[16:17], v[16:17], v[72:73]
	ds_bpermute_b32 v72, v110, v6 offset:64
	ds_bpermute_b32 v73, v110, v7 offset:64
	s_waitcnt lgkmcnt(4)
	v_fmac_f64_e32 v[18:19], v[82:83], v[80:81]
	ds_bpermute_b32 v80, v110, v2 offset:68
	ds_bpermute_b32 v81, v110, v3 offset:68
	;; [unrolled: 10-line block ×9, first 2 shown]
	s_waitcnt vmcnt(14) lgkmcnt(4)
	v_add_f64 v[28:29], v[28:29], -v[36:37]
	v_mul_f64 v[28:29], v[12:13], v[28:29]
	s_waitcnt lgkmcnt(2)
	v_fmac_f64_e32 v[18:19], v[28:29], v[24:25]
	v_add_f64 v[12:13], v[16:17], v[12:13]
	ds_bpermute_b32 v16, v110, v6 offset:96
	ds_bpermute_b32 v17, v110, v7 offset:96
	;; [unrolled: 1-line block ×4, first 2 shown]
	s_waitcnt vmcnt(13) lgkmcnt(4)
	v_add_f64 v[20:21], v[20:21], -v[30:31]
	s_waitcnt vmcnt(12)
	v_mul_f64 v[20:21], v[10:11], v[20:21]
	v_add_f64 v[10:11], v[12:13], v[10:11]
	ds_bpermute_b32 v12, v110, v6 offset:100
	ds_bpermute_b32 v13, v110, v7 offset:100
	s_waitcnt lgkmcnt(4)
	v_fmac_f64_e32 v[18:19], v[20:21], v[16:17]
	s_waitcnt vmcnt(8) lgkmcnt(2)
	v_add_f64 v[16:17], v[40:41], -v[24:25]
	ds_bpermute_b32 v20, v110, v2 offset:104
	ds_bpermute_b32 v21, v110, v3 offset:104
	s_waitcnt vmcnt(7)
	v_mul_f64 v[16:17], v[22:23], v[16:17]
	s_waitcnt lgkmcnt(2)
	v_fmac_f64_e32 v[18:19], v[16:17], v[12:13]
	ds_bpermute_b32 v12, v110, v6 offset:104
	ds_bpermute_b32 v13, v110, v7 offset:104
	s_waitcnt vmcnt(6) lgkmcnt(2)
	v_add_f64 v[16:17], v[48:49], -v[20:21]
	ds_bpermute_b32 v20, v110, v2 offset:108
	ds_bpermute_b32 v21, v110, v3 offset:108
	s_waitcnt vmcnt(5)
	v_mul_f64 v[16:17], v[34:35], v[16:17]
	s_waitcnt lgkmcnt(2)
	v_fmac_f64_e32 v[18:19], v[16:17], v[12:13]
	ds_bpermute_b32 v12, v110, v6 offset:108
	ds_bpermute_b32 v13, v110, v7 offset:108
	s_waitcnt lgkmcnt(2)
	v_add_f64 v[16:17], v[70:71], -v[20:21]
	ds_bpermute_b32 v20, v110, v2 offset:112
	ds_bpermute_b32 v21, v110, v3 offset:112
	s_waitcnt vmcnt(3)
	v_mul_f64 v[16:17], v[46:47], v[16:17]
	s_waitcnt lgkmcnt(2)
	v_fmac_f64_e32 v[18:19], v[16:17], v[12:13]
	ds_bpermute_b32 v12, v110, v6 offset:112
	ds_bpermute_b32 v13, v110, v7 offset:112
	s_waitcnt lgkmcnt(2)
	v_add_f64 v[16:17], v[170:171], -v[20:21]
	ds_bpermute_b32 v20, v110, v2 offset:116
	ds_bpermute_b32 v21, v110, v3 offset:116
	v_mul_f64 v[16:17], v[60:61], v[16:17]
	s_waitcnt lgkmcnt(2)
	v_fmac_f64_e32 v[18:19], v[16:17], v[12:13]
	ds_bpermute_b32 v12, v110, v6 offset:116
	ds_bpermute_b32 v13, v110, v7 offset:116
	v_add_f64 v[10:11], v[10:11], v[22:23]
	s_waitcnt lgkmcnt(2)
	v_add_f64 v[16:17], v[76:77], -v[20:21]
	ds_bpermute_b32 v20, v110, v2 offset:120
	ds_bpermute_b32 v21, v110, v3 offset:120
	v_add_f64 v[10:11], v[10:11], v[34:35]
	v_mul_f64 v[16:17], v[64:65], v[16:17]
	v_add_f64 v[10:11], v[10:11], v[46:47]
	s_waitcnt lgkmcnt(2)
	v_fmac_f64_e32 v[18:19], v[16:17], v[12:13]
	ds_bpermute_b32 v16, v110, v6 offset:120
	ds_bpermute_b32 v17, v110, v7 offset:120
	v_add_f64 v[10:11], v[10:11], v[60:61]
	v_add_f64 v[12:13], v[10:11], v[64:65]
	ds_bpermute_b32 v6, v110, v6 offset:124
	ds_bpermute_b32 v7, v110, v7 offset:124
	;; [unrolled: 1-line block ×4, first 2 shown]
	s_waitcnt vmcnt(2) lgkmcnt(6)
	v_add_f64 v[20:21], v[68:69], -v[20:21]
	s_waitcnt vmcnt(1)
	v_mul_f64 v[2:3], v[54:55], v[20:21]
	v_accvgpr_read_b32 v147, a15
	v_accvgpr_read_b32 v149, a17
	;; [unrolled: 1-line block ×7, first 2 shown]
	v_mov_b64_e32 v[102:103], v[124:125]
	v_accvgpr_read_b32 v125, a41
	v_accvgpr_read_b32 v97, a29
	v_mov_b64_e32 v[98:99], v[176:177]
	v_accvgpr_read_b32 v177, a39
	v_accvgpr_read_b32 v93, a25
	;; [unrolled: 1-line block ×7, first 2 shown]
	s_waitcnt lgkmcnt(4)
	v_fmac_f64_e32 v[18:19], v[2:3], v[16:17]
	v_accvgpr_read_b32 v146, a14
	v_accvgpr_read_b32 v148, a16
	;; [unrolled: 1-line block ×7, first 2 shown]
	v_mov_b64_e32 v[100:101], v[116:117]
	v_mov_b64_e32 v[116:117], v[78:79]
	v_accvgpr_read_b32 v124, a40
	v_accvgpr_read_b32 v96, a28
	;; [unrolled: 1-line block ×9, first 2 shown]
	v_add_f64 v[2:3], v[12:13], v[54:55]
	v_mov_b64_e32 v[138:139], v[18:19]
.LBB38_226:                             ;   in Loop: Header=BB38_150 Depth=1
	s_add_u32 s16, s16, s4
	s_waitcnt vmcnt(0)
	v_add_f64 v[142:143], v[2:3], v[26:27]
	s_addc_u32 s17, s17, 0
	v_mov_b64_e32 v[2:3], s[12:13]
	v_cmp_ge_i64_e32 vcc, s[16:17], v[2:3]
	v_accvgpr_read_b32 v2, a42
	v_accvgpr_read_b32 v3, a43
	v_lshl_add_u64 v[2:3], v[2:3], 0, s[24:25]
	v_accvgpr_write_b32 a43, v3
	v_accvgpr_write_b32 a42, v2
	v_accvgpr_read_b32 v2, a44
	v_accvgpr_read_b32 v3, a45
	v_lshl_add_u64 v[2:3], v[2:3], 0, s[24:25]
	v_accvgpr_write_b32 a45, v3
	v_accvgpr_write_b32 a44, v2
	v_accvgpr_read_b32 v2, a46
	v_accvgpr_read_b32 v3, a47
	v_lshl_add_u64 v[2:3], v[2:3], 0, s[24:25]
	v_accvgpr_write_b32 a47, v3
	v_accvgpr_write_b32 a46, v2
	v_accvgpr_read_b32 v2, a48
	v_accvgpr_read_b32 v3, a49
	v_lshl_add_u64 v[2:3], v[2:3], 0, s[24:25]
	v_accvgpr_write_b32 a49, v3
	v_accvgpr_write_b32 a48, v2
	v_accvgpr_read_b32 v2, a50
	v_accvgpr_read_b32 v3, a51
	v_lshl_add_u64 v[2:3], v[2:3], 0, s[24:25]
	v_accvgpr_write_b32 a51, v3
	v_accvgpr_write_b32 a50, v2
	v_accvgpr_read_b32 v2, a52
	v_accvgpr_read_b32 v3, a53
	v_lshl_add_u64 v[2:3], v[2:3], 0, s[24:25]
	v_accvgpr_write_b32 a53, v3
	v_accvgpr_write_b32 a52, v2
	v_accvgpr_read_b32 v2, a54
	v_accvgpr_read_b32 v3, a55
	v_lshl_add_u64 v[2:3], v[2:3], 0, s[24:25]
	v_accvgpr_write_b32 a55, v3
	v_accvgpr_write_b32 a54, v2
	v_accvgpr_read_b32 v2, a56
	v_accvgpr_read_b32 v3, a57
	v_lshl_add_u64 v[2:3], v[2:3], 0, s[24:25]
	v_accvgpr_write_b32 a57, v3
	v_accvgpr_write_b32 a56, v2
	v_accvgpr_read_b32 v2, a58
	v_accvgpr_read_b32 v3, a59
	v_lshl_add_u64 v[2:3], v[2:3], 0, s[24:25]
	v_accvgpr_write_b32 a59, v3
	v_accvgpr_write_b32 a58, v2
	v_accvgpr_read_b32 v2, a60
	v_accvgpr_read_b32 v3, a61
	v_lshl_add_u64 v[2:3], v[2:3], 0, s[24:25]
	v_accvgpr_write_b32 a61, v3
	v_accvgpr_write_b32 a60, v2
	v_accvgpr_read_b32 v2, a62
	v_accvgpr_read_b32 v3, a63
	v_lshl_add_u64 v[2:3], v[2:3], 0, s[24:25]
	v_accvgpr_write_b32 a63, v3
	v_accvgpr_write_b32 a62, v2
	v_accvgpr_read_b32 v2, a64
	v_accvgpr_read_b32 v3, a65
	v_lshl_add_u64 v[2:3], v[2:3], 0, s[24:25]
	v_accvgpr_write_b32 a65, v3
	v_accvgpr_write_b32 a64, v2
	v_accvgpr_read_b32 v2, a66
	v_accvgpr_read_b32 v3, a67
	v_lshl_add_u64 v[2:3], v[2:3], 0, s[24:25]
	v_accvgpr_write_b32 a67, v3
	v_accvgpr_write_b32 a66, v2
	v_accvgpr_read_b32 v2, a68
	v_accvgpr_read_b32 v3, a69
	v_lshl_add_u64 v[2:3], v[2:3], 0, s[24:25]
	v_accvgpr_write_b32 a69, v3
	v_accvgpr_write_b32 a68, v2
	v_accvgpr_read_b32 v2, a70
	v_accvgpr_read_b32 v3, a71
	v_lshl_add_u64 v[2:3], v[2:3], 0, s[24:25]
	v_accvgpr_write_b32 a71, v3
	v_accvgpr_write_b32 a70, v2
	v_accvgpr_read_b32 v2, a72
	v_accvgpr_read_b32 v3, a73
	v_lshl_add_u64 v[2:3], v[2:3], 0, s[24:25]
	v_accvgpr_write_b32 a73, v3
	v_accvgpr_write_b32 a72, v2
	v_accvgpr_read_b32 v2, a74
	v_accvgpr_read_b32 v3, a75
	v_lshl_add_u64 v[2:3], v[2:3], 0, s[24:25]
	v_accvgpr_write_b32 a75, v3
	v_accvgpr_write_b32 a74, v2
	v_accvgpr_read_b32 v2, a76
	v_accvgpr_read_b32 v3, a77
	v_lshl_add_u64 v[2:3], v[2:3], 0, s[24:25]
	v_accvgpr_write_b32 a77, v3
	v_accvgpr_write_b32 a76, v2
	v_accvgpr_read_b32 v2, a78
	v_accvgpr_read_b32 v3, a79
	v_lshl_add_u64 v[2:3], v[2:3], 0, s[24:25]
	v_accvgpr_write_b32 a79, v3
	v_accvgpr_write_b32 a78, v2
	v_accvgpr_read_b32 v2, a80
	v_accvgpr_read_b32 v3, a81
	v_lshl_add_u64 v[2:3], v[2:3], 0, s[24:25]
	v_accvgpr_write_b32 a81, v3
	v_accvgpr_write_b32 a80, v2
	v_accvgpr_read_b32 v2, a82
	v_accvgpr_read_b32 v3, a83
	v_lshl_add_u64 v[2:3], v[2:3], 0, s[24:25]
	v_accvgpr_write_b32 a83, v3
	v_accvgpr_write_b32 a82, v2
	v_accvgpr_read_b32 v2, a84
	v_accvgpr_read_b32 v3, a85
	v_lshl_add_u64 v[2:3], v[2:3], 0, s[24:25]
	v_accvgpr_write_b32 a85, v3
	v_accvgpr_write_b32 a84, v2
	v_accvgpr_read_b32 v2, a86
	v_accvgpr_read_b32 v3, a87
	v_lshl_add_u64 v[2:3], v[2:3], 0, s[24:25]
	v_accvgpr_write_b32 a87, v3
	v_accvgpr_write_b32 a86, v2
	v_accvgpr_read_b32 v2, a88
	v_accvgpr_read_b32 v3, a89
	v_lshl_add_u64 v[2:3], v[2:3], 0, s[24:25]
	v_accvgpr_write_b32 a89, v3
	v_accvgpr_write_b32 a88, v2
	v_accvgpr_read_b32 v2, a90
	v_accvgpr_read_b32 v3, a91
	v_lshl_add_u64 v[2:3], v[2:3], 0, s[24:25]
	v_accvgpr_write_b32 a91, v3
	v_accvgpr_write_b32 a90, v2
	v_accvgpr_read_b32 v2, a92
	v_accvgpr_read_b32 v3, a93
	v_lshl_add_u64 v[2:3], v[2:3], 0, s[24:25]
	v_accvgpr_write_b32 a93, v3
	v_accvgpr_write_b32 a92, v2
	v_accvgpr_read_b32 v2, a94
	v_accvgpr_read_b32 v3, a95
	v_lshl_add_u64 v[2:3], v[2:3], 0, s[24:25]
	v_accvgpr_write_b32 a95, v3
	v_accvgpr_write_b32 a94, v2
	v_accvgpr_read_b32 v2, a96
	v_accvgpr_read_b32 v3, a97
	v_lshl_add_u64 v[2:3], v[2:3], 0, s[24:25]
	v_accvgpr_write_b32 a97, v3
	v_accvgpr_write_b32 a96, v2
	v_accvgpr_read_b32 v2, a98
	v_accvgpr_read_b32 v3, a99
	v_lshl_add_u64 v[2:3], v[2:3], 0, s[24:25]
	v_accvgpr_write_b32 a99, v3
	v_accvgpr_write_b32 a98, v2
	v_accvgpr_read_b32 v2, a100
	v_accvgpr_read_b32 v3, a101
	v_lshl_add_u64 v[2:3], v[2:3], 0, s[24:25]
	v_accvgpr_write_b32 a101, v3
	v_accvgpr_write_b32 a100, v2
	v_accvgpr_read_b32 v2, a102
	v_accvgpr_read_b32 v3, a103
	v_lshl_add_u64 v[2:3], v[2:3], 0, s[24:25]
	v_accvgpr_write_b32 a103, v3
	v_accvgpr_write_b32 a102, v2
	v_accvgpr_read_b32 v2, a104
	v_accvgpr_read_b32 v3, a105
	v_lshl_add_u64 v[2:3], v[2:3], 0, s[24:25]
	v_accvgpr_write_b32 a105, v3
	v_accvgpr_write_b32 a104, v2
	v_accvgpr_read_b32 v2, a106
	v_accvgpr_read_b32 v3, a107
	v_lshl_add_u64 v[2:3], v[2:3], 0, s[24:25]
	v_accvgpr_write_b32 a107, v3
	v_accvgpr_write_b32 a106, v2
	v_accvgpr_read_b32 v2, a108
	v_accvgpr_read_b32 v3, a109
	v_lshl_add_u64 v[2:3], v[2:3], 0, s[24:25]
	v_accvgpr_write_b32 a109, v3
	v_accvgpr_write_b32 a108, v2
	v_accvgpr_read_b32 v2, a110
	v_accvgpr_read_b32 v3, a111
	v_lshl_add_u64 v[2:3], v[2:3], 0, s[24:25]
	v_accvgpr_write_b32 a111, v3
	v_accvgpr_write_b32 a110, v2
	v_accvgpr_read_b32 v2, a112
	v_accvgpr_read_b32 v3, a113
	v_lshl_add_u64 v[2:3], v[2:3], 0, s[24:25]
	v_accvgpr_write_b32 a113, v3
	v_accvgpr_write_b32 a112, v2
	v_accvgpr_read_b32 v2, a114
	v_accvgpr_read_b32 v3, a115
	v_lshl_add_u64 v[2:3], v[2:3], 0, s[24:25]
	v_accvgpr_write_b32 a115, v3
	v_accvgpr_write_b32 a114, v2
	v_accvgpr_read_b32 v2, a116
	v_accvgpr_read_b32 v3, a117
	v_lshl_add_u64 v[2:3], v[2:3], 0, s[24:25]
	v_accvgpr_write_b32 a117, v3
	v_accvgpr_write_b32 a116, v2
	v_accvgpr_read_b32 v2, a118
	v_accvgpr_read_b32 v3, a119
	v_lshl_add_u64 v[2:3], v[2:3], 0, s[24:25]
	v_accvgpr_write_b32 a119, v3
	v_accvgpr_write_b32 a118, v2
	v_accvgpr_read_b32 v2, a120
	v_accvgpr_read_b32 v3, a121
	v_lshl_add_u64 v[2:3], v[2:3], 0, s[24:25]
	v_accvgpr_write_b32 a121, v3
	v_accvgpr_write_b32 a120, v2
	v_accvgpr_read_b32 v2, a122
	v_accvgpr_read_b32 v3, a123
	v_lshl_add_u64 v[2:3], v[2:3], 0, s[24:25]
	v_accvgpr_write_b32 a123, v3
	v_accvgpr_write_b32 a122, v2
	v_accvgpr_read_b32 v2, a124
	v_accvgpr_read_b32 v3, a125
	v_lshl_add_u64 v[2:3], v[2:3], 0, s[24:25]
	v_accvgpr_write_b32 a125, v3
	s_waitcnt lgkmcnt(0)
	v_add_f64 v[10:11], v[104:105], -v[10:11]
	v_accvgpr_read_b32 v105, a5
	v_accvgpr_write_b32 a124, v2
	v_accvgpr_read_b32 v2, a126
	v_mul_f64 v[10:11], v[26:27], v[10:11]
	v_accvgpr_read_b32 v104, a4
	v_accvgpr_read_b32 v3, a127
	s_add_u32 s26, s26, s4
	v_fmac_f64_e32 v[138:139], v[10:11], v[6:7]
	v_lshl_add_u64 v[106:107], v[106:107], 0, s[24:25]
	v_lshl_add_u64 v[108:109], v[108:109], 0, s[24:25]
	;; [unrolled: 1-line block ×85, first 2 shown]
	s_addc_u32 s27, 0, s27
	s_cbranch_vccnz .LBB38_228
; %bb.227:                              ;   in Loop: Header=BB38_150 Depth=1
	v_accvgpr_write_b32 a127, v3
	v_accvgpr_write_b32 a126, v2
	v_mov_b64_e32 v[18:19], v[138:139]
	s_branch .LBB38_150
.LBB38_228:
	s_mov_b32 s3, 0
	s_lshl_b64 s[2:3], s[2:3], 5
	v_and_b32_e32 v1, 0x3ff, v0
	v_or_b32_e32 v8, s2, v1
	v_mov_b32_e32 v9, s3
	v_cmp_gt_i64_e32 vcc, s[14:15], v[8:9]
	s_and_saveexec_b64 s[2:3], vcc
	s_cbranch_execz .LBB38_233
; %bb.229:
	s_load_dword s2, s[0:1], 0x4c
	s_load_dwordx4 s[4:7], s[0:1], 0x30
	v_bfe_u32 v2, v0, 10, 10
	v_mov_b32_e32 v3, 0
	v_mov_b32_e32 v4, s8
	s_waitcnt lgkmcnt(0)
	s_lshr_b32 s0, s2, 16
	v_mad_u64_u32 v[2:3], s[0:1], s0, v4, v[2:3]
	s_cmp_eq_u64 s[4:5], 0
	v_mul_lo_u32 v3, v3, s14
	v_mul_lo_u32 v4, v2, s15
	s_cbranch_scc1 .LBB38_231
; %bb.230:
	v_mad_u64_u32 v[6:7], s[0:1], v2, s14, 0
	v_add3_u32 v7, v7, v4, v3
	v_lshl_add_u64 v[6:7], v[6:7], 3, s[4:5]
	v_lshl_add_u64 v[6:7], v[8:9], 3, v[6:7]
	global_store_dwordx2 v[6:7], v[138:139], off
.LBB38_231:
	s_cmp_eq_u64 s[6:7], 0
	s_cbranch_scc1 .LBB38_233
; %bb.232:
	v_mad_u64_u32 v[6:7], s[0:1], v2, s14, 0
	v_add3_u32 v7, v7, v4, v3
	v_lshl_add_u64 v[2:3], v[6:7], 3, s[6:7]
	v_lshl_add_u64 v[0:1], v[8:9], 3, v[2:3]
	global_store_dwordx2 v[0:1], v[142:143], off
.LBB38_233:
	s_endpgm
	.section	.rodata,"a",@progbits
	.p2align	6, 0x0
	.amdhsa_kernel _ZN2at6native12_GLOBAL__N_135GammaBetaBackwardCUDAKernelTemplateIddLj32ELj1ELj32ELb1ELb0ELb0EEEvllPKT_S5_PKT0_S8_PS3_S9_
		.amdhsa_group_segment_fixed_size 0
		.amdhsa_private_segment_fixed_size 0
		.amdhsa_kernarg_size 320
		.amdhsa_user_sgpr_count 2
		.amdhsa_user_sgpr_dispatch_ptr 0
		.amdhsa_user_sgpr_queue_ptr 0
		.amdhsa_user_sgpr_kernarg_segment_ptr 1
		.amdhsa_user_sgpr_dispatch_id 0
		.amdhsa_user_sgpr_kernarg_preload_length 0
		.amdhsa_user_sgpr_kernarg_preload_offset 0
		.amdhsa_user_sgpr_private_segment_size 0
		.amdhsa_uses_dynamic_stack 0
		.amdhsa_enable_private_segment 0
		.amdhsa_system_sgpr_workgroup_id_x 1
		.amdhsa_system_sgpr_workgroup_id_y 1
		.amdhsa_system_sgpr_workgroup_id_z 0
		.amdhsa_system_sgpr_workgroup_info 0
		.amdhsa_system_vgpr_workitem_id 1
		.amdhsa_next_free_vgpr 404
		.amdhsa_next_free_sgpr 40
		.amdhsa_accum_offset 256
		.amdhsa_reserve_vcc 1
		.amdhsa_float_round_mode_32 0
		.amdhsa_float_round_mode_16_64 0
		.amdhsa_float_denorm_mode_32 3
		.amdhsa_float_denorm_mode_16_64 3
		.amdhsa_dx10_clamp 1
		.amdhsa_ieee_mode 1
		.amdhsa_fp16_overflow 0
		.amdhsa_tg_split 0
		.amdhsa_exception_fp_ieee_invalid_op 0
		.amdhsa_exception_fp_denorm_src 0
		.amdhsa_exception_fp_ieee_div_zero 0
		.amdhsa_exception_fp_ieee_overflow 0
		.amdhsa_exception_fp_ieee_underflow 0
		.amdhsa_exception_fp_ieee_inexact 0
		.amdhsa_exception_int_div_zero 0
	.end_amdhsa_kernel
	.section	.text._ZN2at6native12_GLOBAL__N_135GammaBetaBackwardCUDAKernelTemplateIddLj32ELj1ELj32ELb1ELb0ELb0EEEvllPKT_S5_PKT0_S8_PS3_S9_,"axG",@progbits,_ZN2at6native12_GLOBAL__N_135GammaBetaBackwardCUDAKernelTemplateIddLj32ELj1ELj32ELb1ELb0ELb0EEEvllPKT_S5_PKT0_S8_PS3_S9_,comdat
.Lfunc_end38:
	.size	_ZN2at6native12_GLOBAL__N_135GammaBetaBackwardCUDAKernelTemplateIddLj32ELj1ELj32ELb1ELb0ELb0EEEvllPKT_S5_PKT0_S8_PS3_S9_, .Lfunc_end38-_ZN2at6native12_GLOBAL__N_135GammaBetaBackwardCUDAKernelTemplateIddLj32ELj1ELj32ELb1ELb0ELb0EEEvllPKT_S5_PKT0_S8_PS3_S9_
                                        ; -- End function
	.set _ZN2at6native12_GLOBAL__N_135GammaBetaBackwardCUDAKernelTemplateIddLj32ELj1ELj32ELb1ELb0ELb0EEEvllPKT_S5_PKT0_S8_PS3_S9_.num_vgpr, 256
	.set _ZN2at6native12_GLOBAL__N_135GammaBetaBackwardCUDAKernelTemplateIddLj32ELj1ELj32ELb1ELb0ELb0EEEvllPKT_S5_PKT0_S8_PS3_S9_.num_agpr, 148
	.set _ZN2at6native12_GLOBAL__N_135GammaBetaBackwardCUDAKernelTemplateIddLj32ELj1ELj32ELb1ELb0ELb0EEEvllPKT_S5_PKT0_S8_PS3_S9_.numbered_sgpr, 40
	.set _ZN2at6native12_GLOBAL__N_135GammaBetaBackwardCUDAKernelTemplateIddLj32ELj1ELj32ELb1ELb0ELb0EEEvllPKT_S5_PKT0_S8_PS3_S9_.num_named_barrier, 0
	.set _ZN2at6native12_GLOBAL__N_135GammaBetaBackwardCUDAKernelTemplateIddLj32ELj1ELj32ELb1ELb0ELb0EEEvllPKT_S5_PKT0_S8_PS3_S9_.private_seg_size, 0
	.set _ZN2at6native12_GLOBAL__N_135GammaBetaBackwardCUDAKernelTemplateIddLj32ELj1ELj32ELb1ELb0ELb0EEEvllPKT_S5_PKT0_S8_PS3_S9_.uses_vcc, 1
	.set _ZN2at6native12_GLOBAL__N_135GammaBetaBackwardCUDAKernelTemplateIddLj32ELj1ELj32ELb1ELb0ELb0EEEvllPKT_S5_PKT0_S8_PS3_S9_.uses_flat_scratch, 0
	.set _ZN2at6native12_GLOBAL__N_135GammaBetaBackwardCUDAKernelTemplateIddLj32ELj1ELj32ELb1ELb0ELb0EEEvllPKT_S5_PKT0_S8_PS3_S9_.has_dyn_sized_stack, 0
	.set _ZN2at6native12_GLOBAL__N_135GammaBetaBackwardCUDAKernelTemplateIddLj32ELj1ELj32ELb1ELb0ELb0EEEvllPKT_S5_PKT0_S8_PS3_S9_.has_recursion, 0
	.set _ZN2at6native12_GLOBAL__N_135GammaBetaBackwardCUDAKernelTemplateIddLj32ELj1ELj32ELb1ELb0ELb0EEEvllPKT_S5_PKT0_S8_PS3_S9_.has_indirect_call, 0
	.section	.AMDGPU.csdata,"",@progbits
; Kernel info:
; codeLenInByte = 29556
; TotalNumSgprs: 46
; NumVgprs: 256
; NumAgprs: 148
; TotalNumVgprs: 404
; ScratchSize: 0
; MemoryBound: 0
; FloatMode: 240
; IeeeMode: 1
; LDSByteSize: 0 bytes/workgroup (compile time only)
; SGPRBlocks: 5
; VGPRBlocks: 50
; NumSGPRsForWavesPerEU: 46
; NumVGPRsForWavesPerEU: 404
; AccumOffset: 256
; Occupancy: 1
; WaveLimiterHint : 0
; COMPUTE_PGM_RSRC2:SCRATCH_EN: 0
; COMPUTE_PGM_RSRC2:USER_SGPR: 2
; COMPUTE_PGM_RSRC2:TRAP_HANDLER: 0
; COMPUTE_PGM_RSRC2:TGID_X_EN: 1
; COMPUTE_PGM_RSRC2:TGID_Y_EN: 1
; COMPUTE_PGM_RSRC2:TGID_Z_EN: 0
; COMPUTE_PGM_RSRC2:TIDIG_COMP_CNT: 1
; COMPUTE_PGM_RSRC3_GFX90A:ACCUM_OFFSET: 63
; COMPUTE_PGM_RSRC3_GFX90A:TG_SPLIT: 0
	.section	.text._ZN2at6native12_GLOBAL__N_135GammaBetaBackwardCUDAKernelTemplateIddLj32ELj1ELj8ELb1ELb1ELb0EEEvllPKT_S5_PKT0_S8_PS3_S9_,"axG",@progbits,_ZN2at6native12_GLOBAL__N_135GammaBetaBackwardCUDAKernelTemplateIddLj32ELj1ELj8ELb1ELb1ELb0EEEvllPKT_S5_PKT0_S8_PS3_S9_,comdat
	.globl	_ZN2at6native12_GLOBAL__N_135GammaBetaBackwardCUDAKernelTemplateIddLj32ELj1ELj8ELb1ELb1ELb0EEEvllPKT_S5_PKT0_S8_PS3_S9_ ; -- Begin function _ZN2at6native12_GLOBAL__N_135GammaBetaBackwardCUDAKernelTemplateIddLj32ELj1ELj8ELb1ELb1ELb0EEEvllPKT_S5_PKT0_S8_PS3_S9_
	.p2align	8
	.type	_ZN2at6native12_GLOBAL__N_135GammaBetaBackwardCUDAKernelTemplateIddLj32ELj1ELj8ELb1ELb1ELb0EEEvllPKT_S5_PKT0_S8_PS3_S9_,@function
_ZN2at6native12_GLOBAL__N_135GammaBetaBackwardCUDAKernelTemplateIddLj32ELj1ELj8ELb1ELb1ELb0EEEvllPKT_S5_PKT0_S8_PS3_S9_: ; @_ZN2at6native12_GLOBAL__N_135GammaBetaBackwardCUDAKernelTemplateIddLj32ELj1ELj8ELb1ELb1ELb0EEEvllPKT_S5_PKT0_S8_PS3_S9_
; %bb.0:
	s_load_dwordx4 s[16:19], s[0:1], 0x0
	s_lshl_b32 s6, s3, 3
	s_mov_b32 s7, 0
	v_mov_b64_e32 v[2:3], s[6:7]
	s_mov_b32 s4, s3
	s_waitcnt lgkmcnt(0)
	v_cmp_gt_i64_e32 vcc, s[16:17], v[2:3]
	v_bfe_u32 v1, v0, 10, 10
	s_cbranch_vccnz .LBB39_2
; %bb.1:
	s_add_u32 s24, s0, 64
	s_addc_u32 s25, s1, 0
	s_mov_b64 s[8:9], 0
	v_bfe_u32 v6, v0, 10, 10
	s_branch .LBB39_3
.LBB39_2:
	s_mov_b64 s[8:9], -1
                                        ; implicit-def: $sgpr24_sgpr25
                                        ; implicit-def: $vgpr6
.LBB39_3:
	s_load_dwordx4 s[20:23], s[0:1], 0x30
	v_and_b32_e32 v0, 0x3ff, v0
	v_mov_b64_e32 v[4:5], 0
	s_andn2_b64 vcc, exec, s[8:9]
	v_mov_b64_e32 v[2:3], 0
	s_cbranch_vccnz .LBB39_11
; %bb.4:
	s_load_dword s3, s[0:1], 0x4c
	s_load_dword s5, s[0:1], 0x44
	s_load_dwordx8 s[8:15], s[0:1], 0x10
	s_add_u32 s24, s0, 64
	s_addc_u32 s25, s1, 0
	s_waitcnt lgkmcnt(0)
	s_and_b32 s0, s3, 0xffff
	v_mbcnt_lo_u32_b32 v6, -1, 0
	v_mad_u32_u24 v2, v1, s0, v0
	v_lshlrev_b32_e32 v4, 3, v1
	v_mov_b32_e32 v5, 0
	v_mbcnt_hi_u32_b32 v6, -1, v6
	v_and_b32_e32 v2, 63, v2
	v_mov_b32_e32 v3, v5
	v_mov_b32_e32 v11, v5
	v_lshlrev_b32_e32 v6, 2, v6
	s_lshl_b32 s26, s5, 3
	v_lshl_add_u64 v[4:5], v[4:5], 0, s[6:7]
	v_cmp_gt_u32_e64 s[0:1], 8, v2
	v_lshl_add_u32 v10, s2, 5, v0
	v_and_b32_e32 v18, 0x100, v6
	v_lshl_add_u64 v[6:7], v[4:5], 0, v[2:3]
	v_mul_lo_u32 v12, s19, v4
	v_mul_lo_u32 v5, s18, v5
	v_mad_u64_u32 v[2:3], s[30:31], s18, v4, 0
	s_mul_i32 s3, s19, s26
	s_mul_hi_u32 s5, s18, s26
	s_mov_b32 s27, 0
	v_add3_u32 v3, v3, v5, v12
	v_lshlrev_b64 v[4:5], 3, v[10:11]
	s_add_i32 s31, s5, s3
	s_mul_i32 s30, s18, s26
	v_or_b32_e32 v19, 4, v18
	v_or_b32_e32 v20, 8, v18
	;; [unrolled: 1-line block ×7, first 2 shown]
	v_lshlrev_b64 v[8:9], 3, v[6:7]
	s_lshl_b64 s[28:29], s[26:27], 3
	v_lshl_add_u64 v[10:11], v[2:3], 3, v[4:5]
	s_lshl_b64 s[30:31], s[30:31], 3
	s_lshl_b64 s[34:35], s[18:19], 3
	v_mov_b64_e32 v[2:3], 0
	v_mov_b64_e32 v[12:13], s[16:17]
	;; [unrolled: 1-line block ×3, first 2 shown]
	s_branch .LBB39_7
.LBB39_5:                               ;   in Loop: Header=BB39_7 Depth=1
	s_or_b64 exec, exec, s[38:39]
.LBB39_6:                               ;   in Loop: Header=BB39_7 Depth=1
	s_or_b64 exec, exec, s[36:37]
	v_lshl_add_u64 v[26:27], s[10:11], 0, v[10:11]
	global_load_dwordx2 v[28:29], v[26:27], off
	v_lshl_add_u64 v[30:31], s[8:9], 0, v[10:11]
	global_load_dwordx2 v[32:33], v[30:31], off
	;; [unrolled: 2-line block ×6, first 2 shown]
	v_lshl_add_u64 v[26:27], v[26:27], 0, s[34:35]
	v_lshl_add_u64 v[30:31], v[30:31], 0, s[34:35]
	global_load_dwordx2 v[42:43], v[26:27], off
	global_load_dwordx2 v[44:45], v[30:31], off
	v_lshl_add_u64 v[26:27], v[26:27], 0, s[34:35]
	v_lshl_add_u64 v[30:31], v[30:31], 0, s[34:35]
	global_load_dwordx2 v[46:47], v[26:27], off
	global_load_dwordx2 v[48:49], v[30:31], off
	;; [unrolled: 4-line block ×3, first 2 shown]
	v_lshl_add_u64 v[26:27], v[26:27], 0, s[34:35]
	global_load_dwordx2 v[54:55], v[26:27], off
	v_lshl_add_u64 v[30:31], v[30:31], 0, s[34:35]
	global_load_dwordx2 v[56:57], v[30:31], off
	v_lshl_add_u64 v[26:27], v[26:27], 0, s[34:35]
	v_lshl_add_u64 v[30:31], v[30:31], 0, s[34:35]
	global_load_dwordx2 v[58:59], v[26:27], off
	global_load_dwordx2 v[60:61], v[30:31], off
	s_waitcnt vmcnt(17)
	ds_bpermute_b32 v26, v18, v16
	ds_bpermute_b32 v27, v18, v17
	s_waitcnt vmcnt(16)
	ds_bpermute_b32 v30, v18, v14
	ds_bpermute_b32 v31, v18, v15
	s_add_u32 s6, s6, s26
	s_addc_u32 s7, s7, 0
	v_cmp_lt_i64_e32 vcc, s[6:7], v[12:13]
	v_lshl_add_u64 v[8:9], v[8:9], 0, s[28:29]
	v_lshl_add_u64 v[6:7], v[6:7], 0, s[26:27]
	v_lshl_add_u64 v[10:11], v[10:11], 0, s[30:31]
	s_and_b64 vcc, exec, vcc
	s_waitcnt vmcnt(15) lgkmcnt(2)
	v_add_f64 v[26:27], v[28:29], -v[26:27]
	ds_bpermute_b32 v28, v19, v16
	ds_bpermute_b32 v29, v19, v17
	s_waitcnt vmcnt(14)
	v_mul_f64 v[26:27], v[32:33], v[26:27]
	s_waitcnt lgkmcnt(2)
	v_fmac_f64_e32 v[2:3], v[26:27], v[30:31]
	ds_bpermute_b32 v26, v19, v14
	ds_bpermute_b32 v27, v19, v15
	s_waitcnt vmcnt(13) lgkmcnt(2)
	v_add_f64 v[28:29], v[34:35], -v[28:29]
	ds_bpermute_b32 v34, v20, v16
	ds_bpermute_b32 v35, v20, v17
	ds_bpermute_b32 v30, v20, v14
	ds_bpermute_b32 v31, v20, v15
	s_waitcnt vmcnt(12)
	v_mul_f64 v[28:29], v[36:37], v[28:29]
	s_waitcnt lgkmcnt(4)
	v_fmac_f64_e32 v[2:3], v[28:29], v[26:27]
	ds_bpermute_b32 v26, v21, v16
	ds_bpermute_b32 v27, v21, v17
	s_waitcnt vmcnt(11) lgkmcnt(4)
	v_add_f64 v[34:35], v[38:39], -v[34:35]
	ds_bpermute_b32 v28, v22, v16
	ds_bpermute_b32 v29, v22, v17
	s_waitcnt vmcnt(10)
	v_mul_f64 v[34:35], v[40:41], v[34:35]
	ds_bpermute_b32 v38, v23, v16
	ds_bpermute_b32 v39, v23, v17
	s_waitcnt lgkmcnt(6)
	v_fmac_f64_e32 v[2:3], v[34:35], v[30:31]
	ds_bpermute_b32 v34, v21, v14
	ds_bpermute_b32 v35, v21, v15
	;; [unrolled: 1-line block ×4, first 2 shown]
	v_add_f64 v[4:5], v[4:5], v[32:33]
	ds_bpermute_b32 v32, v22, v14
	ds_bpermute_b32 v33, v22, v15
	;; [unrolled: 1-line block ×4, first 2 shown]
	v_add_f64 v[4:5], v[4:5], v[36:37]
	ds_bpermute_b32 v36, v23, v14
	ds_bpermute_b32 v37, v23, v15
	v_add_f64 v[4:5], v[4:5], v[40:41]
	ds_bpermute_b32 v40, v24, v14
	ds_bpermute_b32 v41, v24, v15
	s_waitcnt vmcnt(9) lgkmcnt(14)
	v_add_f64 v[26:27], v[42:43], -v[26:27]
	ds_bpermute_b32 v14, v25, v14
	s_waitcnt vmcnt(8)
	v_mul_f64 v[26:27], v[44:45], v[26:27]
	s_waitcnt vmcnt(7)
	v_add_f64 v[28:29], v[46:47], -v[28:29]
	ds_bpermute_b32 v15, v25, v15
	v_add_f64 v[4:5], v[4:5], v[44:45]
	s_waitcnt lgkmcnt(12)
	v_fmac_f64_e32 v[2:3], v[26:27], v[34:35]
	s_waitcnt vmcnt(6)
	v_mul_f64 v[26:27], v[48:49], v[28:29]
	s_waitcnt vmcnt(5)
	v_add_f64 v[28:29], v[50:51], -v[38:39]
	v_add_f64 v[4:5], v[4:5], v[48:49]
	s_waitcnt lgkmcnt(8)
	v_fmac_f64_e32 v[2:3], v[26:27], v[32:33]
	s_waitcnt vmcnt(4)
	v_mul_f64 v[26:27], v[52:53], v[28:29]
	s_waitcnt vmcnt(3)
	v_add_f64 v[28:29], v[54:55], -v[30:31]
	;; [unrolled: 7-line block ×3, first 2 shown]
	s_waitcnt lgkmcnt(2)
	v_fmac_f64_e32 v[2:3], v[26:27], v[40:41]
	v_add_f64 v[4:5], v[4:5], v[56:57]
	s_waitcnt vmcnt(0)
	v_mul_f64 v[16:17], v[60:61], v[16:17]
	s_waitcnt lgkmcnt(0)
	v_fmac_f64_e32 v[2:3], v[16:17], v[14:15]
	v_add_f64 v[4:5], v[4:5], v[60:61]
	s_cbranch_vccz .LBB39_10
.LBB39_7:                               ; =>This Inner Loop Header: Depth=1
	v_mov_b64_e32 v[14:15], 0
	v_mov_b64_e32 v[16:17], 0
	s_and_saveexec_b64 s[36:37], s[0:1]
	s_cbranch_execz .LBB39_6
; %bb.8:                                ;   in Loop: Header=BB39_7 Depth=1
	v_cmp_gt_i64_e32 vcc, s[16:17], v[6:7]
	v_mov_b64_e32 v[16:17], 0
	v_mov_b64_e32 v[14:15], 0
	s_and_saveexec_b64 s[38:39], vcc
	s_cbranch_execz .LBB39_5
; %bb.9:                                ;   in Loop: Header=BB39_7 Depth=1
	v_lshl_add_u64 v[28:29], s[12:13], 0, v[8:9]
	v_lshl_add_u64 v[26:27], s[14:15], 0, v[8:9]
	global_load_dwordx2 v[16:17], v[28:29], off
	global_load_dwordx2 v[14:15], v[26:27], off
	s_branch .LBB39_5
.LBB39_10:
	v_mov_b32_e32 v6, v1
.LBB39_11:
	s_load_dword s5, s[24:25], 0xc
	s_mov_b32 s3, 0
	v_mov_b32_e32 v1, 0
	s_lshl_b64 s[0:1], s[2:3], 5
	v_lshl_add_u64 v[8:9], s[0:1], 0, v[0:1]
	s_waitcnt lgkmcnt(0)
	s_lshr_b32 s0, s5, 16
	v_mov_b32_e32 v7, v1
	v_mov_b32_e32 v0, s4
	v_mad_u64_u32 v[0:1], s[0:1], s0, v0, v[6:7]
	s_cmp_eq_u64 s[20:21], 0
	v_mul_lo_u32 v1, v1, s18
	v_mul_lo_u32 v6, v0, s19
	s_cbranch_scc1 .LBB39_13
; %bb.12:
	v_mad_u64_u32 v[10:11], s[0:1], v0, s18, 0
	v_add3_u32 v11, v11, v6, v1
	v_lshl_add_u64 v[10:11], v[10:11], 3, s[20:21]
	v_lshl_add_u64 v[10:11], v[8:9], 3, v[10:11]
	global_store_dwordx2 v[10:11], v[2:3], off
.LBB39_13:
	s_cmp_eq_u64 s[22:23], 0
	s_cbranch_scc1 .LBB39_15
; %bb.14:
	v_mad_u64_u32 v[2:3], s[0:1], v0, s18, 0
	v_add3_u32 v3, v3, v6, v1
	v_lshl_add_u64 v[0:1], v[2:3], 3, s[22:23]
	v_lshl_add_u64 v[0:1], v[8:9], 3, v[0:1]
	global_store_dwordx2 v[0:1], v[4:5], off
.LBB39_15:
	s_endpgm
	.section	.rodata,"a",@progbits
	.p2align	6, 0x0
	.amdhsa_kernel _ZN2at6native12_GLOBAL__N_135GammaBetaBackwardCUDAKernelTemplateIddLj32ELj1ELj8ELb1ELb1ELb0EEEvllPKT_S5_PKT0_S8_PS3_S9_
		.amdhsa_group_segment_fixed_size 0
		.amdhsa_private_segment_fixed_size 0
		.amdhsa_kernarg_size 320
		.amdhsa_user_sgpr_count 2
		.amdhsa_user_sgpr_dispatch_ptr 0
		.amdhsa_user_sgpr_queue_ptr 0
		.amdhsa_user_sgpr_kernarg_segment_ptr 1
		.amdhsa_user_sgpr_dispatch_id 0
		.amdhsa_user_sgpr_kernarg_preload_length 0
		.amdhsa_user_sgpr_kernarg_preload_offset 0
		.amdhsa_user_sgpr_private_segment_size 0
		.amdhsa_uses_dynamic_stack 0
		.amdhsa_enable_private_segment 0
		.amdhsa_system_sgpr_workgroup_id_x 1
		.amdhsa_system_sgpr_workgroup_id_y 1
		.amdhsa_system_sgpr_workgroup_id_z 0
		.amdhsa_system_sgpr_workgroup_info 0
		.amdhsa_system_vgpr_workitem_id 1
		.amdhsa_next_free_vgpr 62
		.amdhsa_next_free_sgpr 40
		.amdhsa_accum_offset 64
		.amdhsa_reserve_vcc 1
		.amdhsa_float_round_mode_32 0
		.amdhsa_float_round_mode_16_64 0
		.amdhsa_float_denorm_mode_32 3
		.amdhsa_float_denorm_mode_16_64 3
		.amdhsa_dx10_clamp 1
		.amdhsa_ieee_mode 1
		.amdhsa_fp16_overflow 0
		.amdhsa_tg_split 0
		.amdhsa_exception_fp_ieee_invalid_op 0
		.amdhsa_exception_fp_denorm_src 0
		.amdhsa_exception_fp_ieee_div_zero 0
		.amdhsa_exception_fp_ieee_overflow 0
		.amdhsa_exception_fp_ieee_underflow 0
		.amdhsa_exception_fp_ieee_inexact 0
		.amdhsa_exception_int_div_zero 0
	.end_amdhsa_kernel
	.section	.text._ZN2at6native12_GLOBAL__N_135GammaBetaBackwardCUDAKernelTemplateIddLj32ELj1ELj8ELb1ELb1ELb0EEEvllPKT_S5_PKT0_S8_PS3_S9_,"axG",@progbits,_ZN2at6native12_GLOBAL__N_135GammaBetaBackwardCUDAKernelTemplateIddLj32ELj1ELj8ELb1ELb1ELb0EEEvllPKT_S5_PKT0_S8_PS3_S9_,comdat
.Lfunc_end39:
	.size	_ZN2at6native12_GLOBAL__N_135GammaBetaBackwardCUDAKernelTemplateIddLj32ELj1ELj8ELb1ELb1ELb0EEEvllPKT_S5_PKT0_S8_PS3_S9_, .Lfunc_end39-_ZN2at6native12_GLOBAL__N_135GammaBetaBackwardCUDAKernelTemplateIddLj32ELj1ELj8ELb1ELb1ELb0EEEvllPKT_S5_PKT0_S8_PS3_S9_
                                        ; -- End function
	.set _ZN2at6native12_GLOBAL__N_135GammaBetaBackwardCUDAKernelTemplateIddLj32ELj1ELj8ELb1ELb1ELb0EEEvllPKT_S5_PKT0_S8_PS3_S9_.num_vgpr, 62
	.set _ZN2at6native12_GLOBAL__N_135GammaBetaBackwardCUDAKernelTemplateIddLj32ELj1ELj8ELb1ELb1ELb0EEEvllPKT_S5_PKT0_S8_PS3_S9_.num_agpr, 0
	.set _ZN2at6native12_GLOBAL__N_135GammaBetaBackwardCUDAKernelTemplateIddLj32ELj1ELj8ELb1ELb1ELb0EEEvllPKT_S5_PKT0_S8_PS3_S9_.numbered_sgpr, 40
	.set _ZN2at6native12_GLOBAL__N_135GammaBetaBackwardCUDAKernelTemplateIddLj32ELj1ELj8ELb1ELb1ELb0EEEvllPKT_S5_PKT0_S8_PS3_S9_.num_named_barrier, 0
	.set _ZN2at6native12_GLOBAL__N_135GammaBetaBackwardCUDAKernelTemplateIddLj32ELj1ELj8ELb1ELb1ELb0EEEvllPKT_S5_PKT0_S8_PS3_S9_.private_seg_size, 0
	.set _ZN2at6native12_GLOBAL__N_135GammaBetaBackwardCUDAKernelTemplateIddLj32ELj1ELj8ELb1ELb1ELb0EEEvllPKT_S5_PKT0_S8_PS3_S9_.uses_vcc, 1
	.set _ZN2at6native12_GLOBAL__N_135GammaBetaBackwardCUDAKernelTemplateIddLj32ELj1ELj8ELb1ELb1ELb0EEEvllPKT_S5_PKT0_S8_PS3_S9_.uses_flat_scratch, 0
	.set _ZN2at6native12_GLOBAL__N_135GammaBetaBackwardCUDAKernelTemplateIddLj32ELj1ELj8ELb1ELb1ELb0EEEvllPKT_S5_PKT0_S8_PS3_S9_.has_dyn_sized_stack, 0
	.set _ZN2at6native12_GLOBAL__N_135GammaBetaBackwardCUDAKernelTemplateIddLj32ELj1ELj8ELb1ELb1ELb0EEEvllPKT_S5_PKT0_S8_PS3_S9_.has_recursion, 0
	.set _ZN2at6native12_GLOBAL__N_135GammaBetaBackwardCUDAKernelTemplateIddLj32ELj1ELj8ELb1ELb1ELb0EEEvllPKT_S5_PKT0_S8_PS3_S9_.has_indirect_call, 0
	.section	.AMDGPU.csdata,"",@progbits
; Kernel info:
; codeLenInByte = 1508
; TotalNumSgprs: 46
; NumVgprs: 62
; NumAgprs: 0
; TotalNumVgprs: 62
; ScratchSize: 0
; MemoryBound: 0
; FloatMode: 240
; IeeeMode: 1
; LDSByteSize: 0 bytes/workgroup (compile time only)
; SGPRBlocks: 5
; VGPRBlocks: 7
; NumSGPRsForWavesPerEU: 46
; NumVGPRsForWavesPerEU: 62
; AccumOffset: 64
; Occupancy: 8
; WaveLimiterHint : 0
; COMPUTE_PGM_RSRC2:SCRATCH_EN: 0
; COMPUTE_PGM_RSRC2:USER_SGPR: 2
; COMPUTE_PGM_RSRC2:TRAP_HANDLER: 0
; COMPUTE_PGM_RSRC2:TGID_X_EN: 1
; COMPUTE_PGM_RSRC2:TGID_Y_EN: 1
; COMPUTE_PGM_RSRC2:TGID_Z_EN: 0
; COMPUTE_PGM_RSRC2:TIDIG_COMP_CNT: 1
; COMPUTE_PGM_RSRC3_GFX90A:ACCUM_OFFSET: 15
; COMPUTE_PGM_RSRC3_GFX90A:TG_SPLIT: 0
	.section	.text._ZN2at6native12_GLOBAL__N_135GammaBetaBackwardCUDAKernelTemplateIddLj32ELj1ELj8ELb1ELb0ELb0EEEvllPKT_S5_PKT0_S8_PS3_S9_,"axG",@progbits,_ZN2at6native12_GLOBAL__N_135GammaBetaBackwardCUDAKernelTemplateIddLj32ELj1ELj8ELb1ELb0ELb0EEEvllPKT_S5_PKT0_S8_PS3_S9_,comdat
	.globl	_ZN2at6native12_GLOBAL__N_135GammaBetaBackwardCUDAKernelTemplateIddLj32ELj1ELj8ELb1ELb0ELb0EEEvllPKT_S5_PKT0_S8_PS3_S9_ ; -- Begin function _ZN2at6native12_GLOBAL__N_135GammaBetaBackwardCUDAKernelTemplateIddLj32ELj1ELj8ELb1ELb0ELb0EEEvllPKT_S5_PKT0_S8_PS3_S9_
	.p2align	8
	.type	_ZN2at6native12_GLOBAL__N_135GammaBetaBackwardCUDAKernelTemplateIddLj32ELj1ELj8ELb1ELb0ELb0EEEvllPKT_S5_PKT0_S8_PS3_S9_,@function
_ZN2at6native12_GLOBAL__N_135GammaBetaBackwardCUDAKernelTemplateIddLj32ELj1ELj8ELb1ELb0ELb0EEEvllPKT_S5_PKT0_S8_PS3_S9_: ; @_ZN2at6native12_GLOBAL__N_135GammaBetaBackwardCUDAKernelTemplateIddLj32ELj1ELj8ELb1ELb0ELb0EEEvllPKT_S5_PKT0_S8_PS3_S9_
; %bb.0:
	s_load_dwordx8 s[12:19], s[0:1], 0x0
	s_load_dwordx4 s[20:23], s[0:1], 0x20
	s_mov_b32 s8, s3
	s_lshl_b32 s3, s2, 5
	s_or_b32 s4, s3, 31
	s_mov_b32 s11, 0
	v_mov_b32_e32 v2, s4
	v_mov_b32_e32 v3, 0
	s_lshl_b32 s10, s8, 3
	s_waitcnt lgkmcnt(0)
	v_cmp_le_i64_e32 vcc, s[14:15], v[2:3]
	v_mov_b64_e32 v[2:3], s[10:11]
	v_cmp_gt_i64_e64 s[4:5], s[12:13], v[2:3]
	s_nop 1
	v_cndmask_b32_e64 v1, 0, 1, s[4:5]
	v_cmp_ne_u32_e64 s[4:5], 1, v1
	s_cbranch_vccz .LBB40_49
; %bb.1:
	v_mov_b64_e32 v[36:37], 0
	s_and_b64 vcc, exec, s[4:5]
	v_mov_b64_e32 v[38:39], 0
	s_cbranch_vccnz .LBB40_50
; %bb.2:
	v_and_b32_e32 v1, 0x3ff, v0
	v_mov_b32_e32 v2, 0
	v_bfe_u32 v84, v0, 10, 10
	v_add_u32_e32 v4, s3, v1
	v_mov_b32_e32 v5, v2
	v_lshlrev_b32_e32 v40, 3, v84
	v_mov_b32_e32 v41, v2
	v_cmp_gt_i64_e64 s[6:7], s[14:15], v[4:5]
	v_lshlrev_b64 v[42:43], 3, v[4:5]
	v_lshl_add_u64 v[4:5], v[40:41], 0, s[10:11]
	v_mul_lo_u32 v3, s15, v4
	v_mul_lo_u32 v8, s14, v5
	v_mad_u64_u32 v[6:7], s[28:29], s14, v4, 0
	v_add3_u32 v7, v7, v8, v3
	v_lshlrev_b64 v[6:7], 3, v[6:7]
	v_lshl_add_u64 v[44:45], s[16:17], 0, v[6:7]
	v_lshl_add_u64 v[46:47], s[18:19], 0, v[6:7]
	v_lshl_add_u64 v[6:7], v[4:5], 0, 7
	v_mul_lo_u32 v9, s15, v6
	v_mul_lo_u32 v10, s14, v7
	v_mad_u64_u32 v[6:7], s[34:35], s14, v6, 0
	v_add3_u32 v7, v7, v10, v9
	v_lshlrev_b64 v[6:7], 3, v[6:7]
	v_lshl_add_u64 v[48:49], s[16:17], 0, v[6:7]
	v_lshl_add_u64 v[50:51], s[18:19], 0, v[6:7]
	;; [unrolled: 8-line block ×6, first 2 shown]
	v_lshl_add_u64 v[6:7], v[4:5], 0, 2
	s_load_dword s9, s[0:1], 0x44
	v_mul_lo_u32 v5, s15, v6
	v_mul_lo_u32 v9, s14, v7
	v_mad_u64_u32 v[6:7], s[34:35], s14, v6, 0
	v_add3_u32 v7, v7, v9, v5
	v_lshlrev_b64 v[6:7], 3, v[6:7]
	v_lshl_add_u64 v[68:69], s[16:17], 0, v[6:7]
	v_lshl_add_u64 v[70:71], s[18:19], 0, v[6:7]
	v_mov_b64_e32 v[6:7], s[14:15]
	s_add_u32 s26, s0, 64
	v_mad_u64_u32 v[4:5], s[34:35], s14, v4, v[6:7]
	s_addc_u32 s27, s1, 0
	s_waitcnt lgkmcnt(0)
	s_lshl_b32 s24, s9, 3
	v_add3_u32 v5, v3, v5, v8
	v_mbcnt_lo_u32_b32 v3, -1, 0
	s_mul_i32 s9, s15, s24
	s_mul_hi_u32 s28, s14, s24
	v_mbcnt_hi_u32_b32 v3, -1, v3
	s_add_i32 s29, s28, s9
	s_mul_i32 s28, s14, s24
	v_lshlrev_b64 v[4:5], 3, v[4:5]
	v_lshlrev_b32_e32 v3, 2, v3
	s_mov_b32 s25, 0
	s_lshl_b64 s[28:29], s[28:29], 3
	s_mov_b64 s[30:31], 7
	v_lshl_add_u64 v[72:73], s[16:17], 0, v[4:5]
	v_lshl_add_u64 v[74:75], s[18:19], 0, v[4:5]
	v_mov_b64_e32 v[76:77], 0
	v_and_b32_e32 v85, 0x100, v3
	v_mov_b64_e32 v[36:37], 0
	s_mov_b64 s[34:35], s[10:11]
.LBB40_3:                               ; =>This Inner Loop Header: Depth=1
	s_add_u32 s36, s10, s30
	s_addc_u32 s37, 0, s31
	v_mov_b64_e32 v[4:5], s[12:13]
	v_cmp_ge_i64_e32 vcc, s[36:37], v[4:5]
	v_lshl_add_u64 v[78:79], s[10:11], 0, v[40:41]
	s_mov_b64 s[36:37], -1
	s_and_b64 vcc, exec, vcc
                                        ; implicit-def: $vgpr4_vgpr5_vgpr6_vgpr7_vgpr8_vgpr9_vgpr10_vgpr11_vgpr12_vgpr13_vgpr14_vgpr15_vgpr16_vgpr17_vgpr18_vgpr19
                                        ; implicit-def: $vgpr82_vgpr83
                                        ; implicit-def: $vgpr20_vgpr21_vgpr22_vgpr23_vgpr24_vgpr25_vgpr26_vgpr27_vgpr28_vgpr29_vgpr30_vgpr31_vgpr32_vgpr33_vgpr34_vgpr35
                                        ; implicit-def: $vgpr4
                                        ; implicit-def: $vgpr6_vgpr7
                                        ; implicit-def: $vgpr38_vgpr39
	s_cbranch_vccz .LBB40_25
; %bb.4:                                ;   in Loop: Header=BB40_3 Depth=1
	s_load_dword s9, s[26:27], 0xc
	v_mov_b64_e32 v[82:83], 0
	v_mov_b64_e32 v[80:81], 0
	s_waitcnt lgkmcnt(0)
	s_and_b32 s9, s9, 0xffff
	v_mad_u32_u24 v3, v84, s9, v1
	v_and_b32_e32 v4, 63, v3
	v_cmp_gt_u32_e32 vcc, 8, v4
	s_and_saveexec_b64 s[36:37], vcc
	s_cbranch_execz .LBB40_8
; %bb.5:                                ;   in Loop: Header=BB40_3 Depth=1
	v_mov_b32_e32 v5, v2
	v_lshl_add_u64 v[4:5], v[78:79], 0, v[4:5]
	v_cmp_gt_i64_e32 vcc, s[12:13], v[4:5]
	v_mov_b64_e32 v[80:81], 0
	v_mov_b64_e32 v[82:83], 0
	s_and_saveexec_b64 s[38:39], vcc
	s_cbranch_execz .LBB40_7
; %bb.6:                                ;   in Loop: Header=BB40_3 Depth=1
	v_lshlrev_b64 v[4:5], 3, v[4:5]
	v_lshl_add_u64 v[6:7], s[22:23], 0, v[4:5]
	v_lshl_add_u64 v[4:5], s[20:21], 0, v[4:5]
	global_load_dwordx2 v[80:81], v[4:5], off
	global_load_dwordx2 v[82:83], v[6:7], off
.LBB40_7:                               ;   in Loop: Header=BB40_3 Depth=1
	s_or_b64 exec, exec, s[38:39]
.LBB40_8:                               ;   in Loop: Header=BB40_3 Depth=1
	s_or_b64 exec, exec, s[36:37]
	v_mov_b32_e32 v16, v2
	v_mov_b32_e32 v17, v2
	;; [unrolled: 1-line block ×15, first 2 shown]
	v_mov_b64_e32 v[34:35], v[16:17]
	v_cmp_gt_i64_e32 vcc, s[12:13], v[78:79]
	v_mov_b64_e32 v[32:33], v[14:15]
	v_mov_b64_e32 v[30:31], v[12:13]
	;; [unrolled: 1-line block ×8, first 2 shown]
	s_and_b64 s[38:39], s[6:7], vcc
	v_mov_b64_e32 v[16:17], v[14:15]
	v_mov_b64_e32 v[14:15], v[12:13]
	;; [unrolled: 1-line block ×7, first 2 shown]
	s_and_saveexec_b64 s[36:37], s[38:39]
	s_cbranch_execz .LBB40_10
; %bb.9:                                ;   in Loop: Header=BB40_3 Depth=1
	v_lshl_add_u64 v[4:5], v[44:45], 0, v[42:43]
	v_lshl_add_u64 v[6:7], v[46:47], 0, v[42:43]
	global_load_dwordx2 v[4:5], v[4:5], off
	v_mov_b32_e32 v8, v2
	global_load_dwordx2 v[20:21], v[6:7], off
	v_mov_b32_e32 v6, v2
	v_mov_b32_e32 v7, v2
	;; [unrolled: 1-line block ×27, first 2 shown]
.LBB40_10:                              ;   in Loop: Header=BB40_3 Depth=1
	s_or_b64 exec, exec, s[36:37]
	v_lshl_add_u64 v[38:39], v[78:79], 0, 1
	v_cmp_gt_i64_e32 vcc, s[12:13], v[38:39]
	s_and_b64 s[38:39], s[6:7], vcc
	s_and_saveexec_b64 s[36:37], s[38:39]
	s_cbranch_execz .LBB40_12
; %bb.11:                               ;   in Loop: Header=BB40_3 Depth=1
	v_lshl_add_u64 v[6:7], v[72:73], 0, v[42:43]
	v_lshl_add_u64 v[22:23], v[74:75], 0, v[42:43]
	global_load_dwordx2 v[6:7], v[6:7], off
	s_nop 0
	global_load_dwordx2 v[22:23], v[22:23], off
.LBB40_12:                              ;   in Loop: Header=BB40_3 Depth=1
	s_or_b64 exec, exec, s[36:37]
	v_lshl_add_u64 v[38:39], v[78:79], 0, 2
	v_cmp_gt_i64_e32 vcc, s[12:13], v[38:39]
	s_and_b64 s[38:39], s[6:7], vcc
	s_and_saveexec_b64 s[36:37], s[38:39]
	s_cbranch_execz .LBB40_14
; %bb.13:                               ;   in Loop: Header=BB40_3 Depth=1
	v_lshl_add_u64 v[8:9], v[68:69], 0, v[42:43]
	v_lshl_add_u64 v[24:25], v[70:71], 0, v[42:43]
	global_load_dwordx2 v[8:9], v[8:9], off
	s_nop 0
	global_load_dwordx2 v[24:25], v[24:25], off
.LBB40_14:                              ;   in Loop: Header=BB40_3 Depth=1
	s_or_b64 exec, exec, s[36:37]
	v_lshl_add_u64 v[38:39], v[78:79], 0, 3
	v_cmp_gt_i64_e32 vcc, s[12:13], v[38:39]
	s_and_b64 s[38:39], s[6:7], vcc
	s_and_saveexec_b64 s[36:37], s[38:39]
	s_cbranch_execz .LBB40_16
; %bb.15:                               ;   in Loop: Header=BB40_3 Depth=1
	v_lshl_add_u64 v[10:11], v[64:65], 0, v[42:43]
	v_lshl_add_u64 v[26:27], v[66:67], 0, v[42:43]
	global_load_dwordx2 v[10:11], v[10:11], off
	s_nop 0
	global_load_dwordx2 v[26:27], v[26:27], off
.LBB40_16:                              ;   in Loop: Header=BB40_3 Depth=1
	s_or_b64 exec, exec, s[36:37]
	v_lshl_add_u64 v[38:39], v[78:79], 0, 4
	v_cmp_gt_i64_e32 vcc, s[12:13], v[38:39]
	s_and_b64 s[38:39], s[6:7], vcc
	s_and_saveexec_b64 s[36:37], s[38:39]
	s_cbranch_execz .LBB40_18
; %bb.17:                               ;   in Loop: Header=BB40_3 Depth=1
	v_lshl_add_u64 v[12:13], v[60:61], 0, v[42:43]
	v_lshl_add_u64 v[28:29], v[62:63], 0, v[42:43]
	global_load_dwordx2 v[12:13], v[12:13], off
	s_nop 0
	global_load_dwordx2 v[28:29], v[28:29], off
.LBB40_18:                              ;   in Loop: Header=BB40_3 Depth=1
	s_or_b64 exec, exec, s[36:37]
	v_lshl_add_u64 v[38:39], v[78:79], 0, 5
	v_cmp_gt_i64_e32 vcc, s[12:13], v[38:39]
	s_and_b64 s[38:39], s[6:7], vcc
	s_and_saveexec_b64 s[36:37], s[38:39]
	s_cbranch_execz .LBB40_20
; %bb.19:                               ;   in Loop: Header=BB40_3 Depth=1
	v_lshl_add_u64 v[14:15], v[56:57], 0, v[42:43]
	v_lshl_add_u64 v[30:31], v[58:59], 0, v[42:43]
	global_load_dwordx2 v[14:15], v[14:15], off
	s_nop 0
	global_load_dwordx2 v[30:31], v[30:31], off
.LBB40_20:                              ;   in Loop: Header=BB40_3 Depth=1
	s_or_b64 exec, exec, s[36:37]
	v_lshl_add_u64 v[38:39], v[78:79], 0, 6
	v_cmp_gt_i64_e32 vcc, s[12:13], v[38:39]
	s_and_b64 s[38:39], s[6:7], vcc
	s_and_saveexec_b64 s[36:37], s[38:39]
	s_cbranch_execz .LBB40_22
; %bb.21:                               ;   in Loop: Header=BB40_3 Depth=1
	v_lshl_add_u64 v[16:17], v[52:53], 0, v[42:43]
	v_lshl_add_u64 v[32:33], v[54:55], 0, v[42:43]
	global_load_dwordx2 v[16:17], v[16:17], off
	s_nop 0
	global_load_dwordx2 v[32:33], v[32:33], off
.LBB40_22:                              ;   in Loop: Header=BB40_3 Depth=1
	s_or_b64 exec, exec, s[36:37]
	v_lshl_add_u64 v[38:39], v[78:79], 0, 7
	v_cmp_gt_i64_e32 vcc, s[12:13], v[38:39]
	s_and_b64 s[38:39], s[6:7], vcc
	s_and_saveexec_b64 s[36:37], s[38:39]
	s_cbranch_execz .LBB40_24
; %bb.23:                               ;   in Loop: Header=BB40_3 Depth=1
	v_lshl_add_u64 v[18:19], v[48:49], 0, v[42:43]
	v_lshl_add_u64 v[34:35], v[50:51], 0, v[42:43]
	global_load_dwordx2 v[18:19], v[18:19], off
	s_nop 0
	global_load_dwordx2 v[34:35], v[34:35], off
.LBB40_24:                              ;   in Loop: Header=BB40_3 Depth=1
	s_or_b64 exec, exec, s[36:37]
	s_waitcnt vmcnt(1)
	ds_bpermute_b32 v38, v85, v80
	ds_bpermute_b32 v39, v85, v81
	s_waitcnt vmcnt(0)
	ds_bpermute_b32 v86, v85, v82
	ds_bpermute_b32 v87, v85, v83
	ds_bpermute_b32 v88, v85, v80 offset:4
	ds_bpermute_b32 v89, v85, v81 offset:4
	s_waitcnt lgkmcnt(4)
	v_add_f64 v[20:21], v[20:21], -v[38:39]
	v_mul_f64 v[20:21], v[4:5], v[20:21]
	s_waitcnt lgkmcnt(2)
	v_fma_f64 v[38:39], v[20:21], v[86:87], v[76:77]
	ds_bpermute_b32 v20, v85, v82 offset:4
	ds_bpermute_b32 v21, v85, v83 offset:4
	;; [unrolled: 1-line block ×4, first 2 shown]
	v_add_f64 v[4:5], v[36:37], v[4:5]
	s_waitcnt lgkmcnt(4)
	v_add_f64 v[22:23], v[22:23], -v[88:89]
	v_mul_f64 v[22:23], v[6:7], v[22:23]
	v_add_f64 v[4:5], v[6:7], v[4:5]
	ds_bpermute_b32 v6, v85, v82 offset:8
	ds_bpermute_b32 v7, v85, v83 offset:8
	s_waitcnt lgkmcnt(4)
	v_fmac_f64_e32 v[38:39], v[22:23], v[20:21]
	s_waitcnt lgkmcnt(2)
	v_add_f64 v[20:21], v[24:25], -v[86:87]
	ds_bpermute_b32 v22, v85, v80 offset:12
	ds_bpermute_b32 v23, v85, v81 offset:12
	v_mul_f64 v[20:21], v[8:9], v[20:21]
	s_waitcnt lgkmcnt(2)
	v_fmac_f64_e32 v[38:39], v[20:21], v[6:7]
	ds_bpermute_b32 v6, v85, v82 offset:12
	ds_bpermute_b32 v7, v85, v83 offset:12
	v_add_f64 v[4:5], v[8:9], v[4:5]
	s_waitcnt lgkmcnt(2)
	v_add_f64 v[8:9], v[26:27], -v[22:23]
	ds_bpermute_b32 v20, v85, v80 offset:16
	ds_bpermute_b32 v21, v85, v81 offset:16
	v_mul_f64 v[8:9], v[10:11], v[8:9]
	s_waitcnt lgkmcnt(2)
	v_fmac_f64_e32 v[38:39], v[8:9], v[6:7]
	ds_bpermute_b32 v6, v85, v82 offset:16
	ds_bpermute_b32 v7, v85, v83 offset:16
	v_add_f64 v[4:5], v[10:11], v[4:5]
	s_waitcnt lgkmcnt(2)
	v_add_f64 v[8:9], v[28:29], -v[20:21]
	ds_bpermute_b32 v10, v85, v80 offset:20
	ds_bpermute_b32 v11, v85, v81 offset:20
	v_mul_f64 v[8:9], v[12:13], v[8:9]
	s_waitcnt lgkmcnt(2)
	v_fmac_f64_e32 v[38:39], v[8:9], v[6:7]
	ds_bpermute_b32 v6, v85, v82 offset:20
	ds_bpermute_b32 v7, v85, v83 offset:20
	s_waitcnt lgkmcnt(2)
	v_add_f64 v[8:9], v[30:31], -v[10:11]
	ds_bpermute_b32 v10, v85, v80 offset:24
	ds_bpermute_b32 v11, v85, v81 offset:24
	v_mul_f64 v[8:9], v[14:15], v[8:9]
	v_add_f64 v[4:5], v[12:13], v[4:5]
	s_waitcnt lgkmcnt(2)
	v_fmac_f64_e32 v[38:39], v[8:9], v[6:7]
	ds_bpermute_b32 v8, v85, v82 offset:24
	ds_bpermute_b32 v9, v85, v83 offset:24
	v_add_f64 v[6:7], v[14:15], v[4:5]
	ds_bpermute_b32 v82, v85, v82 offset:28
	ds_bpermute_b32 v83, v85, v83 offset:28
	;; [unrolled: 1-line block ×4, first 2 shown]
	s_waitcnt lgkmcnt(6)
	v_add_f64 v[10:11], v[32:33], -v[10:11]
	v_mul_f64 v[10:11], v[16:17], v[10:11]
	s_waitcnt lgkmcnt(4)
	v_fmac_f64_e32 v[38:39], v[10:11], v[8:9]
	v_add_f64 v[6:7], v[16:17], v[6:7]
	s_mov_b64 s[36:37], 0
.LBB40_25:                              ;   in Loop: Header=BB40_3 Depth=1
	s_and_b64 vcc, exec, s[36:37]
	s_cbranch_vccz .LBB40_40
; %bb.26:                               ;   in Loop: Header=BB40_3 Depth=1
	s_load_dword s9, s[26:27], 0x0
	v_mov_b64_e32 v[80:81], 0
	v_mov_b64_e32 v[38:39], 0
	s_waitcnt lgkmcnt(0)
	s_cmp_lt_u32 s2, s9
	s_cselect_b32 s9, 12, 18
	s_add_u32 s36, s26, s9
	s_addc_u32 s37, s27, 0
	global_load_ushort v3, v2, s[36:37]
	s_waitcnt vmcnt(0)
	v_mad_u32_u24 v3, v84, v3, v1
	v_and_b32_e32 v4, 63, v3
	v_cmp_gt_u32_e32 vcc, 8, v4
	s_and_saveexec_b64 s[36:37], vcc
	s_cbranch_execz .LBB40_30
; %bb.27:                               ;   in Loop: Header=BB40_3 Depth=1
	v_mov_b32_e32 v5, v2
	v_lshl_add_u64 v[4:5], v[78:79], 0, v[4:5]
	v_cmp_gt_i64_e32 vcc, s[12:13], v[4:5]
	v_mov_b64_e32 v[38:39], 0
	v_mov_b64_e32 v[80:81], 0
	s_and_saveexec_b64 s[38:39], vcc
	s_cbranch_execz .LBB40_29
; %bb.28:                               ;   in Loop: Header=BB40_3 Depth=1
	v_lshlrev_b64 v[4:5], 3, v[4:5]
	v_lshl_add_u64 v[6:7], s[22:23], 0, v[4:5]
	v_lshl_add_u64 v[4:5], s[20:21], 0, v[4:5]
	global_load_dwordx2 v[38:39], v[4:5], off
	global_load_dwordx2 v[80:81], v[6:7], off
.LBB40_29:                              ;   in Loop: Header=BB40_3 Depth=1
	s_or_b64 exec, exec, s[38:39]
.LBB40_30:                              ;   in Loop: Header=BB40_3 Depth=1
	s_or_b64 exec, exec, s[36:37]
	v_mov_b32_e32 v16, v2
	v_mov_b32_e32 v17, v2
	;; [unrolled: 1-line block ×15, first 2 shown]
	v_mov_b64_e32 v[34:35], v[16:17]
	v_mov_b64_e32 v[32:33], v[14:15]
	;; [unrolled: 1-line block ×16, first 2 shown]
	s_and_saveexec_b64 s[36:37], s[6:7]
	s_cbranch_execnz .LBB40_42
; %bb.31:                               ;   in Loop: Header=BB40_3 Depth=1
	s_or_b64 exec, exec, s[36:37]
	s_and_saveexec_b64 s[36:37], s[6:7]
	s_cbranch_execnz .LBB40_43
.LBB40_32:                              ;   in Loop: Header=BB40_3 Depth=1
	s_or_b64 exec, exec, s[36:37]
	s_and_saveexec_b64 s[36:37], s[6:7]
	s_cbranch_execnz .LBB40_44
.LBB40_33:                              ;   in Loop: Header=BB40_3 Depth=1
	s_or_b64 exec, exec, s[36:37]
	s_and_saveexec_b64 s[36:37], s[6:7]
	s_cbranch_execnz .LBB40_45
.LBB40_34:                              ;   in Loop: Header=BB40_3 Depth=1
	s_or_b64 exec, exec, s[36:37]
	s_and_saveexec_b64 s[36:37], s[6:7]
	s_cbranch_execnz .LBB40_46
.LBB40_35:                              ;   in Loop: Header=BB40_3 Depth=1
	s_or_b64 exec, exec, s[36:37]
	s_and_saveexec_b64 s[36:37], s[6:7]
	s_cbranch_execnz .LBB40_47
.LBB40_36:                              ;   in Loop: Header=BB40_3 Depth=1
	s_or_b64 exec, exec, s[36:37]
	s_and_saveexec_b64 s[36:37], s[6:7]
	s_cbranch_execnz .LBB40_48
.LBB40_37:                              ;   in Loop: Header=BB40_3 Depth=1
	s_or_b64 exec, exec, s[36:37]
	s_and_saveexec_b64 s[36:37], s[6:7]
	s_cbranch_execz .LBB40_39
.LBB40_38:                              ;   in Loop: Header=BB40_3 Depth=1
	v_lshl_add_u64 v[18:19], v[48:49], 0, v[42:43]
	v_lshl_add_u64 v[34:35], v[50:51], 0, v[42:43]
	global_load_dwordx2 v[18:19], v[18:19], off
	s_nop 0
	global_load_dwordx2 v[34:35], v[34:35], off
.LBB40_39:                              ;   in Loop: Header=BB40_3 Depth=1
	s_or_b64 exec, exec, s[36:37]
	s_waitcnt vmcnt(1)
	ds_bpermute_b32 v78, v85, v38
	ds_bpermute_b32 v79, v85, v39
	s_waitcnt vmcnt(0)
	ds_bpermute_b32 v82, v85, v80
	ds_bpermute_b32 v83, v85, v81
	ds_bpermute_b32 v86, v85, v38 offset:4
	ds_bpermute_b32 v87, v85, v39 offset:4
	s_waitcnt lgkmcnt(4)
	v_add_f64 v[20:21], v[20:21], -v[78:79]
	v_mul_f64 v[20:21], v[4:5], v[20:21]
	s_waitcnt lgkmcnt(2)
	v_fmac_f64_e32 v[76:77], v[20:21], v[82:83]
	v_add_f64 v[4:5], v[36:37], v[4:5]
	ds_bpermute_b32 v20, v85, v80 offset:4
	ds_bpermute_b32 v21, v85, v81 offset:4
	ds_bpermute_b32 v36, v85, v38 offset:8
	ds_bpermute_b32 v37, v85, v39 offset:8
	s_waitcnt lgkmcnt(4)
	v_add_f64 v[22:23], v[22:23], -v[86:87]
	v_mul_f64 v[22:23], v[6:7], v[22:23]
	v_add_f64 v[4:5], v[6:7], v[4:5]
	ds_bpermute_b32 v6, v85, v80 offset:8
	ds_bpermute_b32 v7, v85, v81 offset:8
	s_waitcnt lgkmcnt(4)
	v_fmac_f64_e32 v[76:77], v[22:23], v[20:21]
	s_waitcnt lgkmcnt(2)
	v_add_f64 v[20:21], v[24:25], -v[36:37]
	ds_bpermute_b32 v22, v85, v38 offset:12
	ds_bpermute_b32 v23, v85, v39 offset:12
	v_mul_f64 v[20:21], v[8:9], v[20:21]
	s_waitcnt lgkmcnt(2)
	v_fmac_f64_e32 v[76:77], v[20:21], v[6:7]
	ds_bpermute_b32 v6, v85, v80 offset:12
	ds_bpermute_b32 v7, v85, v81 offset:12
	v_add_f64 v[4:5], v[8:9], v[4:5]
	s_waitcnt lgkmcnt(2)
	v_add_f64 v[8:9], v[26:27], -v[22:23]
	ds_bpermute_b32 v20, v85, v38 offset:16
	ds_bpermute_b32 v21, v85, v39 offset:16
	v_mul_f64 v[8:9], v[10:11], v[8:9]
	s_waitcnt lgkmcnt(2)
	v_fmac_f64_e32 v[76:77], v[8:9], v[6:7]
	ds_bpermute_b32 v6, v85, v80 offset:16
	ds_bpermute_b32 v7, v85, v81 offset:16
	v_add_f64 v[4:5], v[10:11], v[4:5]
	s_waitcnt lgkmcnt(2)
	v_add_f64 v[8:9], v[28:29], -v[20:21]
	ds_bpermute_b32 v10, v85, v38 offset:20
	ds_bpermute_b32 v11, v85, v39 offset:20
	v_mul_f64 v[8:9], v[12:13], v[8:9]
	s_waitcnt lgkmcnt(2)
	v_fmac_f64_e32 v[76:77], v[8:9], v[6:7]
	ds_bpermute_b32 v6, v85, v80 offset:20
	ds_bpermute_b32 v7, v85, v81 offset:20
	s_waitcnt lgkmcnt(2)
	v_add_f64 v[8:9], v[30:31], -v[10:11]
	ds_bpermute_b32 v10, v85, v38 offset:24
	ds_bpermute_b32 v11, v85, v39 offset:24
	v_mul_f64 v[8:9], v[14:15], v[8:9]
	s_waitcnt lgkmcnt(2)
	v_fmac_f64_e32 v[76:77], v[8:9], v[6:7]
	ds_bpermute_b32 v8, v85, v80 offset:24
	ds_bpermute_b32 v9, v85, v81 offset:24
	v_add_f64 v[4:5], v[12:13], v[4:5]
	v_add_f64 v[6:7], v[14:15], v[4:5]
	ds_bpermute_b32 v82, v85, v80 offset:28
	ds_bpermute_b32 v83, v85, v81 offset:28
	;; [unrolled: 1-line block ×4, first 2 shown]
	s_waitcnt lgkmcnt(6)
	v_add_f64 v[10:11], v[32:33], -v[10:11]
	v_mul_f64 v[10:11], v[16:17], v[10:11]
	s_waitcnt lgkmcnt(4)
	v_fmac_f64_e32 v[76:77], v[10:11], v[8:9]
	v_add_f64 v[6:7], v[16:17], v[6:7]
	v_mov_b64_e32 v[38:39], v[76:77]
.LBB40_40:                              ;   in Loop: Header=BB40_3 Depth=1
	s_waitcnt lgkmcnt(0)
	v_add_f64 v[4:5], v[34:35], -v[4:5]
	v_mul_f64 v[4:5], v[18:19], v[4:5]
	s_add_u32 s34, s34, s24
	v_fmac_f64_e32 v[38:39], v[4:5], v[82:83]
	s_addc_u32 s35, s35, 0
	v_mov_b64_e32 v[4:5], s[12:13]
	s_add_u32 s30, s30, s24
	v_cmp_lt_i64_e32 vcc, s[34:35], v[4:5]
	v_add_f64 v[36:37], v[6:7], v[18:19]
	v_lshl_add_u64 v[44:45], v[44:45], 0, s[28:29]
	v_lshl_add_u64 v[46:47], v[46:47], 0, s[28:29]
	;; [unrolled: 1-line block ×17, first 2 shown]
	s_addc_u32 s31, 0, s31
	s_cbranch_vccz .LBB40_50
; %bb.41:                               ;   in Loop: Header=BB40_3 Depth=1
	v_mov_b64_e32 v[76:77], v[38:39]
	s_branch .LBB40_3
.LBB40_42:                              ;   in Loop: Header=BB40_3 Depth=1
	v_lshl_add_u64 v[4:5], v[44:45], 0, v[42:43]
	v_lshl_add_u64 v[6:7], v[46:47], 0, v[42:43]
	global_load_dwordx2 v[4:5], v[4:5], off
	v_mov_b32_e32 v8, v2
	global_load_dwordx2 v[20:21], v[6:7], off
	v_mov_b32_e32 v6, v2
	v_mov_b32_e32 v7, v2
	;; [unrolled: 1-line block ×27, first 2 shown]
	s_or_b64 exec, exec, s[36:37]
	s_and_saveexec_b64 s[36:37], s[6:7]
	s_cbranch_execz .LBB40_32
.LBB40_43:                              ;   in Loop: Header=BB40_3 Depth=1
	v_lshl_add_u64 v[6:7], v[72:73], 0, v[42:43]
	v_lshl_add_u64 v[22:23], v[74:75], 0, v[42:43]
	global_load_dwordx2 v[6:7], v[6:7], off
	s_nop 0
	global_load_dwordx2 v[22:23], v[22:23], off
	s_or_b64 exec, exec, s[36:37]
	s_and_saveexec_b64 s[36:37], s[6:7]
	s_cbranch_execz .LBB40_33
.LBB40_44:                              ;   in Loop: Header=BB40_3 Depth=1
	v_lshl_add_u64 v[8:9], v[68:69], 0, v[42:43]
	v_lshl_add_u64 v[24:25], v[70:71], 0, v[42:43]
	global_load_dwordx2 v[8:9], v[8:9], off
	s_nop 0
	global_load_dwordx2 v[24:25], v[24:25], off
	s_or_b64 exec, exec, s[36:37]
	s_and_saveexec_b64 s[36:37], s[6:7]
	s_cbranch_execz .LBB40_34
.LBB40_45:                              ;   in Loop: Header=BB40_3 Depth=1
	v_lshl_add_u64 v[10:11], v[64:65], 0, v[42:43]
	v_lshl_add_u64 v[26:27], v[66:67], 0, v[42:43]
	global_load_dwordx2 v[10:11], v[10:11], off
	s_nop 0
	global_load_dwordx2 v[26:27], v[26:27], off
	s_or_b64 exec, exec, s[36:37]
	s_and_saveexec_b64 s[36:37], s[6:7]
	s_cbranch_execz .LBB40_35
.LBB40_46:                              ;   in Loop: Header=BB40_3 Depth=1
	v_lshl_add_u64 v[12:13], v[60:61], 0, v[42:43]
	v_lshl_add_u64 v[28:29], v[62:63], 0, v[42:43]
	global_load_dwordx2 v[12:13], v[12:13], off
	s_nop 0
	global_load_dwordx2 v[28:29], v[28:29], off
	s_or_b64 exec, exec, s[36:37]
	s_and_saveexec_b64 s[36:37], s[6:7]
	s_cbranch_execz .LBB40_36
.LBB40_47:                              ;   in Loop: Header=BB40_3 Depth=1
	v_lshl_add_u64 v[14:15], v[56:57], 0, v[42:43]
	v_lshl_add_u64 v[30:31], v[58:59], 0, v[42:43]
	global_load_dwordx2 v[14:15], v[14:15], off
	s_nop 0
	global_load_dwordx2 v[30:31], v[30:31], off
	s_or_b64 exec, exec, s[36:37]
	s_and_saveexec_b64 s[36:37], s[6:7]
	s_cbranch_execz .LBB40_37
.LBB40_48:                              ;   in Loop: Header=BB40_3 Depth=1
	v_lshl_add_u64 v[16:17], v[52:53], 0, v[42:43]
	v_lshl_add_u64 v[32:33], v[54:55], 0, v[42:43]
	global_load_dwordx2 v[16:17], v[16:17], off
	s_nop 0
	global_load_dwordx2 v[32:33], v[32:33], off
	s_or_b64 exec, exec, s[36:37]
	s_and_saveexec_b64 s[36:37], s[6:7]
	s_cbranch_execnz .LBB40_38
	s_branch .LBB40_39
.LBB40_49:
                                        ; implicit-def: $vgpr36_vgpr37
                                        ; implicit-def: $vgpr38_vgpr39
	s_branch .LBB40_51
.LBB40_50:
	s_cbranch_execnz .LBB40_82
.LBB40_51:
	v_mov_b64_e32 v[36:37], 0
	s_and_b64 vcc, exec, s[4:5]
	v_mov_b64_e32 v[38:39], 0
	s_cbranch_vccnz .LBB40_82
; %bb.52:
	v_mov_b32_e32 v2, 0
	v_bfe_u32 v1, v0, 10, 10
	v_lshlrev_b32_e32 v6, 6, v1
	v_mov_b32_e32 v7, v2
	v_lshl_add_u64 v[6:7], s[10:11], 3, v[6:7]
	v_lshl_add_u64 v[8:9], v[6:7], 0, 8
	v_mov_b64_e32 v[10:11], s[16:17]
	v_mov_b64_e32 v[22:23], s[18:19]
	v_lshlrev_b32_e32 v40, 3, v1
	v_mov_b32_e32 v41, v2
	v_mad_u64_u32 v[42:43], s[4:5], s14, v8, v[10:11]
	v_mul_lo_u32 v3, s14, v9
	v_mul_lo_u32 v9, s15, v8
	v_lshl_add_u64 v[12:13], v[6:7], 0, 16
	v_lshl_add_u64 v[14:15], v[6:7], 0, 24
	;; [unrolled: 1-line block ×5, first 2 shown]
	v_mad_u64_u32 v[52:53], s[4:5], s14, v8, v[22:23]
	v_lshl_add_u64 v[6:7], v[6:7], 0, 56
	v_lshl_add_u64 v[4:5], v[40:41], 0, s[10:11]
	v_add3_u32 v43, v9, v43, v3
	v_add3_u32 v53, v9, v53, v3
	v_mad_u64_u32 v[58:59], s[4:5], s14, v6, v[10:11]
	v_mul_lo_u32 v7, s14, v7
	v_mul_lo_u32 v9, s15, v6
	v_mad_u64_u32 v[68:69], s[4:5], s14, v6, v[22:23]
	v_mad_u64_u32 v[54:55], s[4:5], s14, v20, v[10:11]
	v_mul_lo_u32 v3, s14, v21
	v_mul_lo_u32 v8, s15, v20
	v_add3_u32 v59, v9, v59, v7
	v_mad_u64_u32 v[66:67], s[4:5], s14, v20, v[22:23]
	v_add3_u32 v69, v9, v69, v7
	v_lshl_add_u64 v[6:7], v[4:5], 0, 7
	v_add3_u32 v55, v8, v55, v3
	v_add3_u32 v67, v8, v67, v3
	v_mul_lo_u32 v3, s15, v6
	v_mul_lo_u32 v8, s14, v7
	v_mad_u64_u32 v[6:7], s[4:5], s14, v6, 0
	v_add3_u32 v7, v7, v8, v3
	v_lshl_add_u64 v[8:9], v[4:5], 0, 6
	v_mad_u64_u32 v[44:45], s[4:5], s14, v12, v[10:11]
	v_mad_u64_u32 v[46:47], s[4:5], s14, v14, v[10:11]
	v_mad_u64_u32 v[48:49], s[4:5], s14, v16, v[10:11]
	v_mad_u64_u32 v[50:51], s[4:5], s14, v18, v[10:11]
	v_mul_lo_u32 v3, s15, v8
	v_mul_lo_u32 v10, s14, v9
	v_mad_u64_u32 v[8:9], s[4:5], s14, v8, 0
	v_add3_u32 v9, v9, v10, v3
	v_lshl_add_u64 v[10:11], v[4:5], 0, 5
	v_mul_lo_u32 v13, s14, v13
	v_mul_lo_u32 v24, s15, v12
	v_mad_u64_u32 v[56:57], s[4:5], s14, v12, v[22:23]
	v_mul_lo_u32 v3, s15, v10
	v_mul_lo_u32 v12, s14, v11
	v_mad_u64_u32 v[10:11], s[4:5], s14, v10, 0
	v_add3_u32 v45, v24, v45, v13
	v_add3_u32 v57, v24, v57, v13
	v_add3_u32 v11, v11, v12, v3
	v_lshl_add_u64 v[12:13], v[4:5], 0, 4
	v_mul_lo_u32 v15, s14, v15
	v_mul_lo_u32 v25, s15, v14
	v_mad_u64_u32 v[60:61], s[4:5], s14, v14, v[22:23]
	v_mul_lo_u32 v3, s15, v12
	v_mul_lo_u32 v14, s14, v13
	v_mad_u64_u32 v[12:13], s[4:5], s14, v12, 0
	v_add3_u32 v47, v25, v47, v15
	v_add3_u32 v61, v25, v61, v15
	;; [unrolled: 10-line block ×4, first 2 shown]
	v_add3_u32 v17, v17, v18, v3
	v_mov_b64_e32 v[18:19], s[14:15]
	v_mad_u64_u32 v[18:19], s[4:5], s14, v4, v[18:19]
	v_mul_lo_u32 v3, s15, v4
	v_mul_lo_u32 v20, s14, v5
	v_mad_u64_u32 v[4:5], s[4:5], s14, v4, 0
	v_add3_u32 v5, v5, v20, v3
	s_load_dword s4, s[0:1], 0x44
	v_lshlrev_b64 v[4:5], 3, v[4:5]
	v_lshl_add_u64 v[72:73], s[16:17], 0, v[4:5]
	v_lshl_add_u64 v[74:75], s[18:19], 0, v[4:5]
	v_lshlrev_b64 v[4:5], 3, v[6:7]
	v_lshl_add_u64 v[76:77], s[16:17], 0, v[4:5]
	v_lshl_add_u64 v[78:79], s[18:19], 0, v[4:5]
	;; [unrolled: 3-line block ×3, first 2 shown]
	v_lshlrev_b64 v[4:5], 3, v[10:11]
	s_add_u32 s6, s0, 64
	v_lshl_add_u64 v[84:85], s[16:17], 0, v[4:5]
	v_lshl_add_u64 v[86:87], s[18:19], 0, v[4:5]
	v_lshlrev_b64 v[4:5], 3, v[12:13]
	v_add3_u32 v19, v3, v19, v20
	v_and_b32_e32 v110, 0x3ff, v0
	s_addc_u32 s7, s1, 0
	s_waitcnt lgkmcnt(0)
	s_lshl_b32 s4, s4, 3
	v_lshl_add_u64 v[88:89], s[16:17], 0, v[4:5]
	v_lshl_add_u64 v[90:91], s[18:19], 0, v[4:5]
	v_lshlrev_b64 v[4:5], 3, v[14:15]
	v_mbcnt_lo_u32_b32 v3, -1, 0
	v_add_u32_e32 v20, s3, v110
	s_mul_i32 s3, s15, s4
	s_mul_hi_u32 s9, s14, s4
	v_lshl_add_u64 v[92:93], s[16:17], 0, v[4:5]
	v_lshl_add_u64 v[94:95], s[18:19], 0, v[4:5]
	v_lshlrev_b64 v[4:5], 3, v[16:17]
	v_mbcnt_hi_u32_b32 v3, -1, v3
	v_mov_b32_e32 v21, v2
	s_add_i32 s25, s9, s3
	s_mul_i32 s24, s14, s4
	v_lshl_add_u64 v[96:97], s[16:17], 0, v[4:5]
	v_lshl_add_u64 v[98:99], s[18:19], 0, v[4:5]
	v_lshlrev_b64 v[4:5], 3, v[18:19]
	v_lshlrev_b32_e32 v3, 2, v3
	s_mov_b32 s5, 0
	v_lshlrev_b64 v[70:71], 3, v[20:21]
	s_lshl_b64 s[24:25], s[24:25], 3
	s_mov_b64 s[26:27], 7
	v_lshl_add_u64 v[100:101], s[16:17], 0, v[4:5]
	v_lshl_add_u64 v[102:103], s[18:19], 0, v[4:5]
	v_and_b32_e32 v111, 0x100, v3
	s_mov_b64 s[16:17], s[10:11]
	v_mov_b64_e32 v[38:39], 0
	v_mov_b64_e32 v[36:37], 0
	s_branch .LBB40_56
.LBB40_53:                              ;   in Loop: Header=BB40_56 Depth=1
	s_or_b64 exec, exec, s[28:29]
.LBB40_54:                              ;   in Loop: Header=BB40_56 Depth=1
	s_or_b64 exec, exec, s[18:19]
	v_lshl_add_u64 v[10:11], v[52:53], 0, v[70:71]
	v_lshl_add_u64 v[8:9], v[74:75], 0, v[70:71]
	global_load_dwordx2 v[10:11], v[10:11], off
	v_lshl_add_u64 v[18:19], v[72:73], 0, v[70:71]
	global_load_dwordx2 v[8:9], v[8:9], off
	;; [unrolled: 2-line block ×7, first 2 shown]
	global_load_dwordx2 v[26:27], v[22:23], off
	v_lshl_add_u64 v[30:31], v[64:65], 0, v[70:71]
	s_waitcnt vmcnt(9)
	ds_bpermute_b32 v104, v111, v6 offset:4
	ds_bpermute_b32 v105, v111, v7 offset:4
	global_load_dwordx2 v[30:31], v[30:31], off
	ds_bpermute_b32 v34, v111, v6
	ds_bpermute_b32 v35, v111, v7
	v_lshl_add_u64 v[20:21], v[46:47], 0, v[70:71]
	global_load_dwordx2 v[20:21], v[20:21], off
	v_lshl_add_u64 v[118:119], v[66:67], 0, v[70:71]
	v_lshl_add_u64 v[22:23], v[48:49], 0, v[70:71]
	global_load_dwordx2 v[118:119], v[118:119], off
	v_lshl_add_u64 v[28:29], v[50:51], 0, v[70:71]
	v_lshl_add_u64 v[32:33], v[54:55], 0, v[70:71]
	global_load_dwordx2 v[120:121], v[22:23], off
	global_load_dwordx2 v[122:123], v[28:29], off
	;; [unrolled: 1-line block ×3, first 2 shown]
	ds_bpermute_b32 v106, v111, v6 offset:8
	ds_bpermute_b32 v107, v111, v7 offset:8
	;; [unrolled: 1-line block ×12, first 2 shown]
	s_waitcnt vmcnt(13) lgkmcnt(14)
	v_add_f64 v[10:11], v[10:11], -v[104:105]
	v_lshl_add_u64 v[104:105], v[68:69], 0, v[70:71]
	s_waitcnt vmcnt(12) lgkmcnt(12)
	v_add_f64 v[8:9], v[8:9], -v[34:35]
	v_lshl_add_u64 v[34:35], v[58:59], 0, v[70:71]
	global_load_dwordx2 v[22:23], v[104:105], off
	s_waitcnt vmcnt(12)
	v_add_f64 v[28:29], v[36:37], v[18:19]
	v_mul_f64 v[8:9], v[18:19], v[8:9]
	global_load_dwordx2 v[18:19], v[34:35], off
	s_waitcnt vmcnt(12) lgkmcnt(10)
	v_add_f64 v[12:13], v[12:13], -v[106:107]
	ds_bpermute_b32 v106, v111, v4
	ds_bpermute_b32 v107, v111, v5
	s_waitcnt vmcnt(11) lgkmcnt(10)
	v_add_f64 v[14:15], v[14:15], -v[108:109]
	ds_bpermute_b32 v108, v111, v4 offset:4
	ds_bpermute_b32 v109, v111, v5 offset:4
	s_waitcnt vmcnt(10) lgkmcnt(10)
	v_add_f64 v[16:17], v[16:17], -v[112:113]
	ds_bpermute_b32 v112, v111, v4 offset:8
	ds_bpermute_b32 v113, v111, v5 offset:8
	s_waitcnt vmcnt(9)
	v_mul_f64 v[10:11], v[24:25], v[10:11]
	s_waitcnt lgkmcnt(4)
	v_fmac_f64_e32 v[38:39], v[8:9], v[106:107]
	s_waitcnt lgkmcnt(2)
	v_fmac_f64_e32 v[38:39], v[10:11], v[108:109]
	ds_bpermute_b32 v10, v111, v4 offset:12
	ds_bpermute_b32 v11, v111, v5 offset:12
	s_waitcnt vmcnt(7)
	v_add_f64 v[8:9], v[30:31], -v[114:115]
	ds_bpermute_b32 v30, v111, v4 offset:16
	ds_bpermute_b32 v31, v111, v5 offset:16
	v_add_f64 v[24:25], v[28:29], v[24:25]
	ds_bpermute_b32 v28, v111, v4 offset:20
	ds_bpermute_b32 v29, v111, v5 offset:20
	v_mul_f64 v[12:13], v[26:27], v[12:13]
	v_add_f64 v[24:25], v[24:25], v[26:27]
	ds_bpermute_b32 v26, v111, v4 offset:24
	ds_bpermute_b32 v27, v111, v5 offset:24
	s_waitcnt lgkmcnt(8)
	v_fmac_f64_e32 v[38:39], v[12:13], v[112:113]
	s_waitcnt vmcnt(6)
	v_mul_f64 v[14:15], v[20:21], v[14:15]
	v_add_f64 v[20:21], v[24:25], v[20:21]
	ds_bpermute_b32 v24, v111, v4 offset:28
	ds_bpermute_b32 v25, v111, v5 offset:28
	s_waitcnt vmcnt(4)
	v_mul_f64 v[16:17], v[120:121], v[16:17]
	s_waitcnt lgkmcnt(8)
	v_fmac_f64_e32 v[38:39], v[14:15], v[10:11]
	v_add_f64 v[12:13], v[118:119], -v[116:117]
	s_waitcnt vmcnt(3)
	v_mul_f64 v[8:9], v[122:123], v[8:9]
	s_waitcnt lgkmcnt(6)
	v_fmac_f64_e32 v[38:39], v[16:17], v[30:31]
	s_waitcnt vmcnt(2)
	v_mul_f64 v[12:13], v[124:125], v[12:13]
	v_add_f64 v[20:21], v[20:21], v[120:121]
	s_waitcnt lgkmcnt(4)
	v_fmac_f64_e32 v[38:39], v[8:9], v[28:29]
	v_add_f64 v[10:11], v[20:21], v[122:123]
	s_waitcnt lgkmcnt(2)
	v_fmac_f64_e32 v[38:39], v[12:13], v[26:27]
	v_add_f64 v[4:5], v[10:11], v[124:125]
	v_mov_b64_e32 v[20:21], v[38:39]
	s_waitcnt vmcnt(1)
	v_add_f64 v[6:7], v[22:23], -v[6:7]
	s_waitcnt vmcnt(0)
	v_mul_f64 v[6:7], v[18:19], v[6:7]
	s_waitcnt lgkmcnt(0)
	v_mul_f64 v[6:7], v[6:7], v[24:25]
.LBB40_55:                              ;   in Loop: Header=BB40_56 Depth=1
	s_add_u32 s16, s16, s4
	v_add_f64 v[36:37], v[4:5], v[18:19]
	s_addc_u32 s17, s17, 0
	v_mov_b64_e32 v[4:5], s[12:13]
	s_add_u32 s26, s26, s4
	v_cmp_ge_i64_e32 vcc, s[16:17], v[4:5]
	v_add_f64 v[38:39], v[20:21], v[6:7]
	v_lshl_add_u64 v[72:73], v[72:73], 0, s[24:25]
	v_lshl_add_u64 v[74:75], v[74:75], 0, s[24:25]
	;; [unrolled: 1-line block ×31, first 2 shown]
	s_addc_u32 s27, 0, s27
	s_cbranch_vccnz .LBB40_82
.LBB40_56:                              ; =>This Inner Loop Header: Depth=1
	s_add_u32 s18, s10, s26
	s_addc_u32 s19, 0, s27
	v_mov_b64_e32 v[4:5], s[12:13]
	v_cmp_ge_i64_e32 vcc, s[18:19], v[4:5]
	v_lshl_add_u64 v[104:105], s[10:11], 0, v[40:41]
	s_mov_b64 s[18:19], -1
	s_and_b64 vcc, exec, vcc
                                        ; implicit-def: $vgpr18_vgpr19
                                        ; implicit-def: $vgpr6_vgpr7
                                        ; implicit-def: $vgpr4_vgpr5
                                        ; implicit-def: $vgpr20_vgpr21
	s_cbranch_vccz .LBB40_78
; %bb.57:                               ;   in Loop: Header=BB40_56 Depth=1
	s_load_dword s3, s[6:7], 0xc
	v_mov_b64_e32 v[106:107], 0
	v_mov_b64_e32 v[108:109], 0
	s_waitcnt lgkmcnt(0)
	s_and_b32 s3, s3, 0xffff
	v_mad_u32_u24 v3, v1, s3, v110
	v_and_b32_e32 v4, 63, v3
	v_cmp_gt_u32_e32 vcc, 8, v4
	s_and_saveexec_b64 s[18:19], vcc
	s_cbranch_execz .LBB40_61
; %bb.58:                               ;   in Loop: Header=BB40_56 Depth=1
	v_mov_b32_e32 v5, v2
	v_lshl_add_u64 v[4:5], v[104:105], 0, v[4:5]
	v_cmp_gt_i64_e32 vcc, s[12:13], v[4:5]
	v_mov_b64_e32 v[108:109], 0
	v_mov_b64_e32 v[106:107], 0
	s_and_saveexec_b64 s[28:29], vcc
	s_cbranch_execz .LBB40_60
; %bb.59:                               ;   in Loop: Header=BB40_56 Depth=1
	v_lshlrev_b64 v[4:5], 3, v[4:5]
	v_lshl_add_u64 v[6:7], s[22:23], 0, v[4:5]
	v_lshl_add_u64 v[4:5], s[20:21], 0, v[4:5]
	global_load_dwordx2 v[108:109], v[4:5], off
	global_load_dwordx2 v[106:107], v[6:7], off
.LBB40_60:                              ;   in Loop: Header=BB40_56 Depth=1
	s_or_b64 exec, exec, s[28:29]
.LBB40_61:                              ;   in Loop: Header=BB40_56 Depth=1
	s_or_b64 exec, exec, s[18:19]
	v_mov_b32_e32 v16, v2
	v_mov_b32_e32 v17, v2
	;; [unrolled: 1-line block ×15, first 2 shown]
	v_mov_b64_e32 v[34:35], v[16:17]
	v_mov_b64_e32 v[32:33], v[14:15]
	;; [unrolled: 1-line block ×9, first 2 shown]
	v_cmp_gt_i64_e32 vcc, s[12:13], v[104:105]
	v_mov_b64_e32 v[16:17], v[14:15]
	v_mov_b64_e32 v[14:15], v[12:13]
	;; [unrolled: 1-line block ×7, first 2 shown]
	s_and_saveexec_b64 s[18:19], vcc
	s_cbranch_execz .LBB40_63
; %bb.62:                               ;   in Loop: Header=BB40_56 Depth=1
	v_lshl_add_u64 v[4:5], v[72:73], 0, v[70:71]
	v_lshl_add_u64 v[6:7], v[74:75], 0, v[70:71]
	global_load_dwordx2 v[4:5], v[4:5], off
	v_mov_b32_e32 v8, v2
	global_load_dwordx2 v[20:21], v[6:7], off
	v_mov_b32_e32 v6, v2
	v_mov_b32_e32 v7, v2
	;; [unrolled: 1-line block ×27, first 2 shown]
.LBB40_63:                              ;   in Loop: Header=BB40_56 Depth=1
	s_or_b64 exec, exec, s[18:19]
	v_lshl_add_u64 v[112:113], v[104:105], 0, 1
	v_cmp_gt_i64_e32 vcc, s[12:13], v[112:113]
	s_and_saveexec_b64 s[18:19], vcc
	s_cbranch_execz .LBB40_65
; %bb.64:                               ;   in Loop: Header=BB40_56 Depth=1
	v_lshl_add_u64 v[6:7], v[100:101], 0, v[70:71]
	v_lshl_add_u64 v[22:23], v[102:103], 0, v[70:71]
	global_load_dwordx2 v[6:7], v[6:7], off
	s_nop 0
	global_load_dwordx2 v[22:23], v[22:23], off
.LBB40_65:                              ;   in Loop: Header=BB40_56 Depth=1
	s_or_b64 exec, exec, s[18:19]
	v_lshl_add_u64 v[112:113], v[104:105], 0, 2
	v_cmp_gt_i64_e32 vcc, s[12:13], v[112:113]
	s_and_saveexec_b64 s[18:19], vcc
	s_cbranch_execz .LBB40_67
; %bb.66:                               ;   in Loop: Header=BB40_56 Depth=1
	v_lshl_add_u64 v[8:9], v[96:97], 0, v[70:71]
	v_lshl_add_u64 v[24:25], v[98:99], 0, v[70:71]
	global_load_dwordx2 v[8:9], v[8:9], off
	s_nop 0
	global_load_dwordx2 v[24:25], v[24:25], off
.LBB40_67:                              ;   in Loop: Header=BB40_56 Depth=1
	;; [unrolled: 12-line block ×7, first 2 shown]
	s_or_b64 exec, exec, s[18:19]
	s_waitcnt vmcnt(1)
	ds_bpermute_b32 v112, v111, v108
	ds_bpermute_b32 v113, v111, v109
	s_waitcnt vmcnt(0)
	ds_bpermute_b32 v114, v111, v106
	ds_bpermute_b32 v115, v111, v107
	ds_bpermute_b32 v116, v111, v108 offset:4
	ds_bpermute_b32 v117, v111, v109 offset:4
	s_waitcnt lgkmcnt(4)
	v_add_f64 v[20:21], v[20:21], -v[112:113]
	v_mul_f64 v[20:21], v[4:5], v[20:21]
	s_waitcnt lgkmcnt(2)
	v_fma_f64 v[20:21], v[20:21], v[114:115], v[38:39]
	ds_bpermute_b32 v112, v111, v106 offset:4
	ds_bpermute_b32 v113, v111, v107 offset:4
	;; [unrolled: 1-line block ×4, first 2 shown]
	v_add_f64 v[4:5], v[36:37], v[4:5]
	s_waitcnt lgkmcnt(4)
	v_add_f64 v[22:23], v[22:23], -v[116:117]
	v_mul_f64 v[22:23], v[6:7], v[22:23]
	v_add_f64 v[4:5], v[6:7], v[4:5]
	ds_bpermute_b32 v6, v111, v106 offset:8
	ds_bpermute_b32 v7, v111, v107 offset:8
	s_waitcnt lgkmcnt(4)
	v_fmac_f64_e32 v[20:21], v[22:23], v[112:113]
	s_waitcnt lgkmcnt(2)
	v_add_f64 v[22:23], v[24:25], -v[114:115]
	ds_bpermute_b32 v24, v111, v108 offset:12
	ds_bpermute_b32 v25, v111, v109 offset:12
	v_mul_f64 v[22:23], v[8:9], v[22:23]
	s_waitcnt lgkmcnt(2)
	v_fmac_f64_e32 v[20:21], v[22:23], v[6:7]
	ds_bpermute_b32 v6, v111, v106 offset:12
	ds_bpermute_b32 v7, v111, v107 offset:12
	v_add_f64 v[4:5], v[8:9], v[4:5]
	s_waitcnt lgkmcnt(2)
	v_add_f64 v[8:9], v[26:27], -v[24:25]
	ds_bpermute_b32 v22, v111, v108 offset:16
	ds_bpermute_b32 v23, v111, v109 offset:16
	v_mul_f64 v[8:9], v[10:11], v[8:9]
	s_waitcnt lgkmcnt(2)
	v_fmac_f64_e32 v[20:21], v[8:9], v[6:7]
	v_add_f64 v[4:5], v[10:11], v[4:5]
	ds_bpermute_b32 v6, v111, v106 offset:16
	ds_bpermute_b32 v7, v111, v107 offset:16
	;; [unrolled: 1-line block ×4, first 2 shown]
	s_waitcnt lgkmcnt(4)
	v_add_f64 v[8:9], v[28:29], -v[22:23]
	v_mul_f64 v[8:9], v[12:13], v[8:9]
	s_waitcnt lgkmcnt(2)
	v_fmac_f64_e32 v[20:21], v[8:9], v[6:7]
	ds_bpermute_b32 v6, v111, v106 offset:20
	ds_bpermute_b32 v7, v111, v107 offset:20
	s_waitcnt lgkmcnt(2)
	v_add_f64 v[8:9], v[30:31], -v[10:11]
	ds_bpermute_b32 v10, v111, v108 offset:24
	ds_bpermute_b32 v11, v111, v109 offset:24
	v_mul_f64 v[8:9], v[14:15], v[8:9]
	s_waitcnt lgkmcnt(2)
	v_fmac_f64_e32 v[20:21], v[8:9], v[6:7]
	ds_bpermute_b32 v6, v111, v106 offset:24
	ds_bpermute_b32 v7, v111, v107 offset:24
	s_waitcnt lgkmcnt(2)
	v_add_f64 v[8:9], v[32:33], -v[10:11]
	ds_bpermute_b32 v10, v111, v108 offset:28
	ds_bpermute_b32 v11, v111, v109 offset:28
	v_add_f64 v[4:5], v[12:13], v[4:5]
	ds_bpermute_b32 v12, v111, v106 offset:28
	ds_bpermute_b32 v13, v111, v107 offset:28
	v_mul_f64 v[8:9], v[16:17], v[8:9]
	s_waitcnt lgkmcnt(4)
	v_fmac_f64_e32 v[20:21], v[8:9], v[6:7]
	s_waitcnt lgkmcnt(2)
	v_add_f64 v[6:7], v[34:35], -v[10:11]
	v_add_f64 v[4:5], v[14:15], v[4:5]
	v_mul_f64 v[6:7], v[18:19], v[6:7]
	v_add_f64 v[4:5], v[16:17], v[4:5]
	s_waitcnt lgkmcnt(0)
	v_mul_f64 v[6:7], v[6:7], v[12:13]
	s_mov_b64 s[18:19], 0
.LBB40_78:                              ;   in Loop: Header=BB40_56 Depth=1
	s_and_b64 vcc, exec, s[18:19]
	s_cbranch_vccz .LBB40_55
; %bb.79:                               ;   in Loop: Header=BB40_56 Depth=1
	s_load_dword s3, s[6:7], 0x0
	v_mov_b64_e32 v[4:5], 0
	v_mov_b64_e32 v[6:7], 0
	s_waitcnt lgkmcnt(0)
	s_cmp_lt_u32 s2, s3
	s_cselect_b32 s3, 12, 18
	s_add_u32 s18, s6, s3
	s_addc_u32 s19, s7, 0
	global_load_ushort v3, v2, s[18:19]
	s_waitcnt vmcnt(0)
	v_mad_u32_u24 v3, v1, v3, v110
	v_and_b32_e32 v8, 63, v3
	v_cmp_gt_u32_e32 vcc, 8, v8
	s_and_saveexec_b64 s[18:19], vcc
	s_cbranch_execz .LBB40_54
; %bb.80:                               ;   in Loop: Header=BB40_56 Depth=1
	v_mov_b32_e32 v9, v2
	v_lshl_add_u64 v[8:9], v[104:105], 0, v[8:9]
	v_cmp_gt_i64_e32 vcc, s[12:13], v[8:9]
	v_mov_b64_e32 v[6:7], 0
	v_mov_b64_e32 v[4:5], 0
	s_and_saveexec_b64 s[28:29], vcc
	s_cbranch_execz .LBB40_53
; %bb.81:                               ;   in Loop: Header=BB40_56 Depth=1
	v_lshlrev_b64 v[4:5], 3, v[8:9]
	v_lshl_add_u64 v[10:11], s[20:21], 0, v[4:5]
	v_lshl_add_u64 v[8:9], s[22:23], 0, v[4:5]
	global_load_dwordx2 v[6:7], v[10:11], off
	global_load_dwordx2 v[4:5], v[8:9], off
	s_branch .LBB40_53
.LBB40_82:
	s_mov_b32 s3, 0
	s_lshl_b64 s[2:3], s[2:3], 5
	v_and_b32_e32 v1, 0x3ff, v0
	v_or_b32_e32 v2, s2, v1
	v_mov_b32_e32 v3, s3
	v_cmp_gt_i64_e32 vcc, s[14:15], v[2:3]
	s_and_saveexec_b64 s[2:3], vcc
	s_cbranch_execz .LBB40_87
; %bb.83:
	s_load_dword s2, s[0:1], 0x4c
	s_load_dwordx4 s[4:7], s[0:1], 0x30
	v_bfe_u32 v0, v0, 10, 10
	v_mov_b32_e32 v1, 0
	v_mov_b32_e32 v4, s8
	s_waitcnt lgkmcnt(0)
	s_lshr_b32 s0, s2, 16
	v_mad_u64_u32 v[0:1], s[0:1], s0, v4, v[0:1]
	s_cmp_eq_u64 s[4:5], 0
	v_mul_lo_u32 v1, v1, s14
	v_mul_lo_u32 v4, v0, s15
	s_cbranch_scc1 .LBB40_85
; %bb.84:
	v_mad_u64_u32 v[6:7], s[0:1], v0, s14, 0
	v_add3_u32 v7, v7, v4, v1
	v_lshl_add_u64 v[6:7], v[6:7], 3, s[4:5]
	v_lshl_add_u64 v[6:7], v[2:3], 3, v[6:7]
	global_store_dwordx2 v[6:7], v[38:39], off
.LBB40_85:
	s_cmp_eq_u64 s[6:7], 0
	s_cbranch_scc1 .LBB40_87
; %bb.86:
	v_mad_u64_u32 v[6:7], s[0:1], v0, s14, 0
	v_add3_u32 v7, v7, v4, v1
	v_lshl_add_u64 v[0:1], v[6:7], 3, s[6:7]
	v_lshl_add_u64 v[0:1], v[2:3], 3, v[0:1]
	global_store_dwordx2 v[0:1], v[36:37], off
.LBB40_87:
	s_endpgm
	.section	.rodata,"a",@progbits
	.p2align	6, 0x0
	.amdhsa_kernel _ZN2at6native12_GLOBAL__N_135GammaBetaBackwardCUDAKernelTemplateIddLj32ELj1ELj8ELb1ELb0ELb0EEEvllPKT_S5_PKT0_S8_PS3_S9_
		.amdhsa_group_segment_fixed_size 0
		.amdhsa_private_segment_fixed_size 0
		.amdhsa_kernarg_size 320
		.amdhsa_user_sgpr_count 2
		.amdhsa_user_sgpr_dispatch_ptr 0
		.amdhsa_user_sgpr_queue_ptr 0
		.amdhsa_user_sgpr_kernarg_segment_ptr 1
		.amdhsa_user_sgpr_dispatch_id 0
		.amdhsa_user_sgpr_kernarg_preload_length 0
		.amdhsa_user_sgpr_kernarg_preload_offset 0
		.amdhsa_user_sgpr_private_segment_size 0
		.amdhsa_uses_dynamic_stack 0
		.amdhsa_enable_private_segment 0
		.amdhsa_system_sgpr_workgroup_id_x 1
		.amdhsa_system_sgpr_workgroup_id_y 1
		.amdhsa_system_sgpr_workgroup_id_z 0
		.amdhsa_system_sgpr_workgroup_info 0
		.amdhsa_system_vgpr_workitem_id 1
		.amdhsa_next_free_vgpr 126
		.amdhsa_next_free_sgpr 40
		.amdhsa_accum_offset 128
		.amdhsa_reserve_vcc 1
		.amdhsa_float_round_mode_32 0
		.amdhsa_float_round_mode_16_64 0
		.amdhsa_float_denorm_mode_32 3
		.amdhsa_float_denorm_mode_16_64 3
		.amdhsa_dx10_clamp 1
		.amdhsa_ieee_mode 1
		.amdhsa_fp16_overflow 0
		.amdhsa_tg_split 0
		.amdhsa_exception_fp_ieee_invalid_op 0
		.amdhsa_exception_fp_denorm_src 0
		.amdhsa_exception_fp_ieee_div_zero 0
		.amdhsa_exception_fp_ieee_overflow 0
		.amdhsa_exception_fp_ieee_underflow 0
		.amdhsa_exception_fp_ieee_inexact 0
		.amdhsa_exception_int_div_zero 0
	.end_amdhsa_kernel
	.section	.text._ZN2at6native12_GLOBAL__N_135GammaBetaBackwardCUDAKernelTemplateIddLj32ELj1ELj8ELb1ELb0ELb0EEEvllPKT_S5_PKT0_S8_PS3_S9_,"axG",@progbits,_ZN2at6native12_GLOBAL__N_135GammaBetaBackwardCUDAKernelTemplateIddLj32ELj1ELj8ELb1ELb0ELb0EEEvllPKT_S5_PKT0_S8_PS3_S9_,comdat
.Lfunc_end40:
	.size	_ZN2at6native12_GLOBAL__N_135GammaBetaBackwardCUDAKernelTemplateIddLj32ELj1ELj8ELb1ELb0ELb0EEEvllPKT_S5_PKT0_S8_PS3_S9_, .Lfunc_end40-_ZN2at6native12_GLOBAL__N_135GammaBetaBackwardCUDAKernelTemplateIddLj32ELj1ELj8ELb1ELb0ELb0EEEvllPKT_S5_PKT0_S8_PS3_S9_
                                        ; -- End function
	.set _ZN2at6native12_GLOBAL__N_135GammaBetaBackwardCUDAKernelTemplateIddLj32ELj1ELj8ELb1ELb0ELb0EEEvllPKT_S5_PKT0_S8_PS3_S9_.num_vgpr, 126
	.set _ZN2at6native12_GLOBAL__N_135GammaBetaBackwardCUDAKernelTemplateIddLj32ELj1ELj8ELb1ELb0ELb0EEEvllPKT_S5_PKT0_S8_PS3_S9_.num_agpr, 0
	.set _ZN2at6native12_GLOBAL__N_135GammaBetaBackwardCUDAKernelTemplateIddLj32ELj1ELj8ELb1ELb0ELb0EEEvllPKT_S5_PKT0_S8_PS3_S9_.numbered_sgpr, 40
	.set _ZN2at6native12_GLOBAL__N_135GammaBetaBackwardCUDAKernelTemplateIddLj32ELj1ELj8ELb1ELb0ELb0EEEvllPKT_S5_PKT0_S8_PS3_S9_.num_named_barrier, 0
	.set _ZN2at6native12_GLOBAL__N_135GammaBetaBackwardCUDAKernelTemplateIddLj32ELj1ELj8ELb1ELb0ELb0EEEvllPKT_S5_PKT0_S8_PS3_S9_.private_seg_size, 0
	.set _ZN2at6native12_GLOBAL__N_135GammaBetaBackwardCUDAKernelTemplateIddLj32ELj1ELj8ELb1ELb0ELb0EEEvllPKT_S5_PKT0_S8_PS3_S9_.uses_vcc, 1
	.set _ZN2at6native12_GLOBAL__N_135GammaBetaBackwardCUDAKernelTemplateIddLj32ELj1ELj8ELb1ELb0ELb0EEEvllPKT_S5_PKT0_S8_PS3_S9_.uses_flat_scratch, 0
	.set _ZN2at6native12_GLOBAL__N_135GammaBetaBackwardCUDAKernelTemplateIddLj32ELj1ELj8ELb1ELb0ELb0EEEvllPKT_S5_PKT0_S8_PS3_S9_.has_dyn_sized_stack, 0
	.set _ZN2at6native12_GLOBAL__N_135GammaBetaBackwardCUDAKernelTemplateIddLj32ELj1ELj8ELb1ELb0ELb0EEEvllPKT_S5_PKT0_S8_PS3_S9_.has_recursion, 0
	.set _ZN2at6native12_GLOBAL__N_135GammaBetaBackwardCUDAKernelTemplateIddLj32ELj1ELj8ELb1ELb0ELb0EEEvllPKT_S5_PKT0_S8_PS3_S9_.has_indirect_call, 0
	.section	.AMDGPU.csdata,"",@progbits
; Kernel info:
; codeLenInByte = 7740
; TotalNumSgprs: 46
; NumVgprs: 126
; NumAgprs: 0
; TotalNumVgprs: 126
; ScratchSize: 0
; MemoryBound: 1
; FloatMode: 240
; IeeeMode: 1
; LDSByteSize: 0 bytes/workgroup (compile time only)
; SGPRBlocks: 5
; VGPRBlocks: 15
; NumSGPRsForWavesPerEU: 46
; NumVGPRsForWavesPerEU: 126
; AccumOffset: 128
; Occupancy: 4
; WaveLimiterHint : 0
; COMPUTE_PGM_RSRC2:SCRATCH_EN: 0
; COMPUTE_PGM_RSRC2:USER_SGPR: 2
; COMPUTE_PGM_RSRC2:TRAP_HANDLER: 0
; COMPUTE_PGM_RSRC2:TGID_X_EN: 1
; COMPUTE_PGM_RSRC2:TGID_Y_EN: 1
; COMPUTE_PGM_RSRC2:TGID_Z_EN: 0
; COMPUTE_PGM_RSRC2:TIDIG_COMP_CNT: 1
; COMPUTE_PGM_RSRC3_GFX90A:ACCUM_OFFSET: 31
; COMPUTE_PGM_RSRC3_GFX90A:TG_SPLIT: 0
	.section	.text._ZN2at6native12_GLOBAL__N_135GammaBetaBackwardCUDAKernelTemplateIddLj32ELj8ELj64ELb0ELb1ELb0EEEvllPKT_S5_PKT0_S8_PS3_S9_,"axG",@progbits,_ZN2at6native12_GLOBAL__N_135GammaBetaBackwardCUDAKernelTemplateIddLj32ELj8ELj64ELb0ELb1ELb0EEEvllPKT_S5_PKT0_S8_PS3_S9_,comdat
	.globl	_ZN2at6native12_GLOBAL__N_135GammaBetaBackwardCUDAKernelTemplateIddLj32ELj8ELj64ELb0ELb1ELb0EEEvllPKT_S5_PKT0_S8_PS3_S9_ ; -- Begin function _ZN2at6native12_GLOBAL__N_135GammaBetaBackwardCUDAKernelTemplateIddLj32ELj8ELj64ELb0ELb1ELb0EEEvllPKT_S5_PKT0_S8_PS3_S9_
	.p2align	8
	.type	_ZN2at6native12_GLOBAL__N_135GammaBetaBackwardCUDAKernelTemplateIddLj32ELj8ELj64ELb0ELb1ELb0EEEvllPKT_S5_PKT0_S8_PS3_S9_,@function
_ZN2at6native12_GLOBAL__N_135GammaBetaBackwardCUDAKernelTemplateIddLj32ELj8ELj64ELb0ELb1ELb0EEEvllPKT_S5_PKT0_S8_PS3_S9_: ; @_ZN2at6native12_GLOBAL__N_135GammaBetaBackwardCUDAKernelTemplateIddLj32ELj8ELj64ELb0ELb1ELb0EEEvllPKT_S5_PKT0_S8_PS3_S9_
; %bb.0:
	s_load_dwordx4 s[16:19], s[0:1], 0x0
	s_lshl_b32 s20, s3, 6
	s_mov_b32 s21, 0
	v_mov_b64_e32 v[2:3], s[20:21]
	v_bfe_u32 v18, v0, 10, 10
	s_waitcnt lgkmcnt(0)
	v_cmp_gt_i64_e32 vcc, s[16:17], v[2:3]
	s_cbranch_vccnz .LBB41_2
; %bb.1:
	s_mov_b64 s[4:5], 0
	v_bfe_u32 v1, v0, 10, 10
	s_branch .LBB41_3
.LBB41_2:
	s_mov_b64 s[4:5], -1
                                        ; implicit-def: $vgpr1
.LBB41_3:
	s_load_dwordx4 s[12:15], s[0:1], 0x30
	v_and_b32_e32 v16, 0x3ff, v0
	v_mov_b64_e32 v[12:13], 0
	s_andn2_b64 vcc, exec, s[4:5]
	v_mbcnt_lo_u32_b32 v17, -1, 0
	v_mov_b64_e32 v[4:5], 0
	s_cbranch_vccnz .LBB41_11
; %bb.4:
	s_load_dword s3, s[0:1], 0x4c
	s_load_dword s22, s[0:1], 0x44
	s_load_dwordx8 s[4:11], s[0:1], 0x10
	v_mbcnt_hi_u32_b32 v6, -1, v17
	v_lshlrev_b32_e32 v0, 3, v18
	s_waitcnt lgkmcnt(0)
	s_and_b32 s0, s3, 0xffff
	v_mad_u32_u24 v1, v18, s0, v16
	v_and_b32_e32 v2, 63, v1
	v_mov_b32_e32 v1, 0
	v_lshlrev_b32_e32 v6, 2, v6
	v_mov_b32_e32 v3, v1
	v_and_b32_e32 v19, 0x100, v6
	v_lshl_add_u64 v[6:7], v[0:1], 0, s[20:21]
	v_mov_b32_e32 v5, v1
	s_lshl_b32 s22, s22, 6
	v_lshl_add_u64 v[0:1], v[6:7], 0, v[2:3]
	v_mul_lo_u32 v8, s19, v6
	v_mul_lo_u32 v9, s18, v7
	v_mad_u64_u32 v[6:7], s[26:27], s18, v6, 0
	v_lshl_add_u32 v4, s2, 5, v16
	s_mul_i32 s3, s19, s22
	s_mul_hi_u32 s26, s18, s22
	s_mov_b32 s23, 0
	v_add3_u32 v7, v7, v9, v8
	v_lshlrev_b64 v[4:5], 3, v[4:5]
	s_add_i32 s27, s26, s3
	s_mul_i32 s26, s18, s22
	v_cmp_gt_u32_e64 s[0:1], 8, v2
	v_or_b32_e32 v20, 4, v19
	v_or_b32_e32 v21, 8, v19
	;; [unrolled: 1-line block ×7, first 2 shown]
	v_lshlrev_b64 v[2:3], 3, v[0:1]
	s_lshl_b64 s[24:25], s[22:23], 3
	v_lshl_add_u64 v[6:7], v[6:7], 3, v[4:5]
	s_lshl_b64 s[26:27], s[26:27], 3
	s_lshl_b64 s[18:19], s[18:19], 3
	v_mov_b64_e32 v[4:5], 0
	v_mov_b64_e32 v[8:9], s[16:17]
	;; [unrolled: 1-line block ×3, first 2 shown]
	s_branch .LBB41_7
.LBB41_5:                               ;   in Loop: Header=BB41_7 Depth=1
	s_or_b64 exec, exec, s[30:31]
.LBB41_6:                               ;   in Loop: Header=BB41_7 Depth=1
	s_or_b64 exec, exec, s[28:29]
	v_lshl_add_u64 v[28:29], s[6:7], 0, v[6:7]
	global_load_dwordx2 v[30:31], v[28:29], off
	v_lshl_add_u64 v[32:33], s[4:5], 0, v[6:7]
	global_load_dwordx2 v[34:35], v[32:33], off
	;; [unrolled: 2-line block ×6, first 2 shown]
	v_lshl_add_u64 v[28:29], v[28:29], 0, s[18:19]
	v_lshl_add_u64 v[32:33], v[32:33], 0, s[18:19]
	global_load_dwordx2 v[44:45], v[28:29], off
	global_load_dwordx2 v[46:47], v[32:33], off
	v_lshl_add_u64 v[28:29], v[28:29], 0, s[18:19]
	v_lshl_add_u64 v[32:33], v[32:33], 0, s[18:19]
	global_load_dwordx2 v[48:49], v[28:29], off
	global_load_dwordx2 v[50:51], v[32:33], off
	;; [unrolled: 4-line block ×3, first 2 shown]
	v_lshl_add_u64 v[28:29], v[28:29], 0, s[18:19]
	global_load_dwordx2 v[56:57], v[28:29], off
	v_lshl_add_u64 v[32:33], v[32:33], 0, s[18:19]
	global_load_dwordx2 v[58:59], v[32:33], off
	v_lshl_add_u64 v[28:29], v[28:29], 0, s[18:19]
	v_lshl_add_u64 v[32:33], v[32:33], 0, s[18:19]
	global_load_dwordx2 v[60:61], v[28:29], off
	global_load_dwordx2 v[62:63], v[32:33], off
	s_waitcnt vmcnt(17)
	ds_bpermute_b32 v28, v19, v14
	ds_bpermute_b32 v29, v19, v15
	s_waitcnt vmcnt(16)
	ds_bpermute_b32 v32, v19, v10
	ds_bpermute_b32 v33, v19, v11
	s_add_u32 s20, s20, s22
	s_addc_u32 s21, s21, 0
	v_cmp_lt_i64_e32 vcc, s[20:21], v[8:9]
	v_lshl_add_u64 v[2:3], v[2:3], 0, s[24:25]
	v_lshl_add_u64 v[0:1], v[0:1], 0, s[22:23]
	;; [unrolled: 1-line block ×3, first 2 shown]
	s_and_b64 vcc, exec, vcc
	s_waitcnt vmcnt(15) lgkmcnt(2)
	v_add_f64 v[28:29], v[30:31], -v[28:29]
	ds_bpermute_b32 v30, v20, v14
	ds_bpermute_b32 v31, v20, v15
	s_waitcnt vmcnt(14)
	v_mul_f64 v[28:29], v[34:35], v[28:29]
	s_waitcnt lgkmcnt(2)
	v_fmac_f64_e32 v[4:5], v[28:29], v[32:33]
	ds_bpermute_b32 v28, v20, v10
	ds_bpermute_b32 v29, v20, v11
	s_waitcnt vmcnt(13) lgkmcnt(2)
	v_add_f64 v[30:31], v[36:37], -v[30:31]
	ds_bpermute_b32 v36, v21, v14
	ds_bpermute_b32 v37, v21, v15
	;; [unrolled: 1-line block ×4, first 2 shown]
	s_waitcnt vmcnt(12)
	v_mul_f64 v[30:31], v[38:39], v[30:31]
	s_waitcnt lgkmcnt(4)
	v_fmac_f64_e32 v[4:5], v[30:31], v[28:29]
	ds_bpermute_b32 v28, v22, v14
	ds_bpermute_b32 v29, v22, v15
	s_waitcnt vmcnt(11) lgkmcnt(4)
	v_add_f64 v[36:37], v[40:41], -v[36:37]
	ds_bpermute_b32 v30, v23, v14
	ds_bpermute_b32 v31, v23, v15
	s_waitcnt vmcnt(10)
	v_mul_f64 v[36:37], v[42:43], v[36:37]
	ds_bpermute_b32 v40, v24, v14
	ds_bpermute_b32 v41, v24, v15
	s_waitcnt lgkmcnt(6)
	v_fmac_f64_e32 v[4:5], v[36:37], v[32:33]
	ds_bpermute_b32 v36, v22, v10
	ds_bpermute_b32 v37, v22, v11
	;; [unrolled: 1-line block ×4, first 2 shown]
	v_add_f64 v[12:13], v[12:13], v[34:35]
	ds_bpermute_b32 v34, v23, v10
	ds_bpermute_b32 v35, v23, v11
	ds_bpermute_b32 v14, v26, v14
	ds_bpermute_b32 v15, v26, v15
	v_add_f64 v[12:13], v[12:13], v[38:39]
	ds_bpermute_b32 v38, v24, v10
	ds_bpermute_b32 v39, v24, v11
	v_add_f64 v[12:13], v[12:13], v[42:43]
	ds_bpermute_b32 v42, v25, v10
	ds_bpermute_b32 v43, v25, v11
	s_waitcnt vmcnt(9) lgkmcnt(14)
	v_add_f64 v[28:29], v[44:45], -v[28:29]
	ds_bpermute_b32 v10, v26, v10
	s_waitcnt vmcnt(8)
	v_mul_f64 v[28:29], v[46:47], v[28:29]
	s_waitcnt vmcnt(7)
	v_add_f64 v[30:31], v[48:49], -v[30:31]
	ds_bpermute_b32 v11, v26, v11
	v_add_f64 v[12:13], v[12:13], v[46:47]
	s_waitcnt lgkmcnt(12)
	v_fmac_f64_e32 v[4:5], v[28:29], v[36:37]
	s_waitcnt vmcnt(6)
	v_mul_f64 v[28:29], v[50:51], v[30:31]
	s_waitcnt vmcnt(5)
	v_add_f64 v[30:31], v[52:53], -v[40:41]
	v_add_f64 v[12:13], v[12:13], v[50:51]
	s_waitcnt lgkmcnt(8)
	v_fmac_f64_e32 v[4:5], v[28:29], v[34:35]
	s_waitcnt vmcnt(4)
	v_mul_f64 v[28:29], v[54:55], v[30:31]
	s_waitcnt vmcnt(3)
	v_add_f64 v[30:31], v[56:57], -v[32:33]
	;; [unrolled: 7-line block ×3, first 2 shown]
	s_waitcnt lgkmcnt(2)
	v_fmac_f64_e32 v[4:5], v[28:29], v[42:43]
	v_add_f64 v[12:13], v[12:13], v[58:59]
	s_waitcnt vmcnt(0)
	v_mul_f64 v[14:15], v[62:63], v[14:15]
	s_waitcnt lgkmcnt(0)
	v_fmac_f64_e32 v[4:5], v[14:15], v[10:11]
	v_add_f64 v[12:13], v[12:13], v[62:63]
	s_cbranch_vccz .LBB41_10
.LBB41_7:                               ; =>This Inner Loop Header: Depth=1
	v_mov_b64_e32 v[10:11], 0
	v_mov_b64_e32 v[14:15], 0
	s_and_saveexec_b64 s[28:29], s[0:1]
	s_cbranch_execz .LBB41_6
; %bb.8:                                ;   in Loop: Header=BB41_7 Depth=1
	v_cmp_gt_i64_e32 vcc, s[16:17], v[0:1]
	v_mov_b64_e32 v[14:15], 0
	v_mov_b64_e32 v[10:11], 0
	s_and_saveexec_b64 s[30:31], vcc
	s_cbranch_execz .LBB41_5
; %bb.9:                                ;   in Loop: Header=BB41_7 Depth=1
	v_lshl_add_u64 v[30:31], s[8:9], 0, v[2:3]
	v_lshl_add_u64 v[28:29], s[10:11], 0, v[2:3]
	global_load_dwordx2 v[14:15], v[30:31], off
	global_load_dwordx2 v[10:11], v[28:29], off
	s_branch .LBB41_5
.LBB41_10:
	v_mov_b32_e32 v1, v18
.LBB41_11:
	v_mad_u32_u24 v0, v1, 33, v16
	v_sub_u32_e32 v9, v0, v1
	s_movk_i32 s0, 0x800
	v_lshl_add_u32 v2, v0, 3, 0
	v_cmp_gt_u32_e32 vcc, s0, v9
	ds_write_b64 v2, v[4:5]
	ds_write_b64 v2, v[12:13] offset:2112
	s_waitcnt lgkmcnt(0)
	s_barrier
	s_and_saveexec_b64 s[0:1], vcc
	s_cbranch_execz .LBB41_75
; %bb.12:
	v_and_b32_e32 v1, 63, v9
	v_lshrrev_b32_e32 v0, 6, v9
	v_cmp_gt_u32_e64 s[0:1], 8, v1
	v_mul_u32_u24_e32 v8, 33, v1
                                        ; implicit-def: $vgpr2_vgpr3
                                        ; implicit-def: $vgpr4_vgpr5
	s_and_saveexec_b64 s[4:5], s[0:1]
	s_cbranch_execz .LBB41_14
; %bb.13:
	v_add_u32_e32 v1, v0, v8
	v_lshl_add_u32 v1, v1, 3, 0
	ds_read_b64 v[4:5], v1
	ds_read_b64 v[2:3], v1 offset:2112
.LBB41_14:
	s_or_b64 exec, exec, s[4:5]
	v_mbcnt_hi_u32_b32 v1, -1, v17
	v_and_b32_e32 v6, 64, v1
	v_add_u32_e32 v14, 64, v6
	v_xor_b32_e32 v6, 4, v1
	v_cmp_lt_i32_e32 vcc, v6, v14
	s_mov_b32 s3, 0
	s_lshl_b64 s[4:5], s[2:3], 5
	v_cndmask_b32_e32 v6, v1, v6, vcc
	v_lshlrev_b32_e32 v10, 2, v6
	s_waitcnt lgkmcnt(1)
	ds_bpermute_b32 v6, v10, v4
	ds_bpermute_b32 v7, v10, v5
	s_waitcnt lgkmcnt(2)
	ds_bpermute_b32 v12, v10, v2
	ds_bpermute_b32 v13, v10, v3
	s_cmp_lg_u64 s[12:13], 0
	s_cselect_b64 s[8:9], -1, 0
	s_waitcnt lgkmcnt(2)
	v_add_f64 v[4:5], v[4:5], v[6:7]
	v_xor_b32_e32 v6, 2, v1
	v_cmp_lt_i32_e32 vcc, v6, v14
	s_waitcnt lgkmcnt(0)
	v_add_f64 v[2:3], v[2:3], v[12:13]
	s_cmp_lg_u64 s[14:15], 0
	v_cndmask_b32_e32 v6, v1, v6, vcc
	v_lshlrev_b32_e32 v11, 2, v6
	ds_bpermute_b32 v6, v11, v4
	ds_bpermute_b32 v7, v11, v5
	;; [unrolled: 1-line block ×4, first 2 shown]
	v_cmp_eq_u32_e64 s[2:3], 0, v16
	s_cselect_b64 s[6:7], -1, 0
	s_waitcnt lgkmcnt(2)
	v_add_f64 v[4:5], v[4:5], v[6:7]
	s_waitcnt lgkmcnt(0)
	v_add_f64 v[6:7], v[2:3], v[12:13]
	v_xor_b32_e32 v2, 1, v1
	v_cmp_lt_i32_e32 vcc, v2, v14
	s_nop 1
	v_cndmask_b32_e32 v1, v1, v2, vcc
	v_lshlrev_b32_e32 v12, 2, v1
	ds_bpermute_b32 v2, v12, v4
	ds_bpermute_b32 v3, v12, v5
	;; [unrolled: 1-line block ×4, first 2 shown]
	v_mov_b32_e32 v1, 0
	s_waitcnt lgkmcnt(2)
	v_add_f64 v[2:3], v[4:5], v[2:3]
	s_waitcnt lgkmcnt(0)
	v_add_f64 v[4:5], v[6:7], v[14:15]
	s_and_saveexec_b64 s[10:11], s[2:3]
	s_cbranch_execz .LBB41_19
; %bb.15:
	v_mov_b32_e32 v7, s5
	s_andn2_b64 vcc, exec, s[8:9]
	v_or_b32_e32 v6, s4, v0
	s_cbranch_vccnz .LBB41_17
; %bb.16:
	v_lshl_add_u64 v[14:15], v[6:7], 3, s[12:13]
	global_store_dwordx2 v[14:15], v[2:3], off
.LBB41_17:
	s_andn2_b64 vcc, exec, s[6:7]
	s_cbranch_vccnz .LBB41_19
; %bb.18:
	v_lshl_add_u64 v[6:7], v[6:7], 3, s[14:15]
	global_store_dwordx2 v[6:7], v[4:5], off
.LBB41_19:
	s_or_b64 exec, exec, s[10:11]
	s_movk_i32 s10, 0x700
	v_cmp_gt_u32_e32 vcc, s10, v9
	s_and_b64 exec, exec, vcc
	s_cbranch_execz .LBB41_75
; %bb.20:
	s_and_saveexec_b64 s[10:11], s[0:1]
	s_cbranch_execz .LBB41_22
; %bb.21:
	v_add_u32_e32 v2, v0, v8
	v_lshl_add_u32 v4, v2, 3, 0
	ds_read_b64 v[2:3], v4 offset:32
	ds_read_b64 v[4:5], v4 offset:2144
.LBB41_22:
	s_or_b64 exec, exec, s[10:11]
	s_waitcnt lgkmcnt(1)
	ds_bpermute_b32 v6, v10, v2
	ds_bpermute_b32 v7, v10, v3
	s_waitcnt lgkmcnt(2)
	ds_bpermute_b32 v14, v10, v4
	ds_bpermute_b32 v15, v10, v5
	s_waitcnt lgkmcnt(2)
	v_add_f64 v[2:3], v[2:3], v[6:7]
	ds_bpermute_b32 v6, v11, v2
	s_waitcnt lgkmcnt(1)
	v_add_f64 v[4:5], v[4:5], v[14:15]
	ds_bpermute_b32 v7, v11, v3
	ds_bpermute_b32 v14, v11, v4
	ds_bpermute_b32 v15, v11, v5
	s_waitcnt lgkmcnt(2)
	v_add_f64 v[2:3], v[2:3], v[6:7]
	ds_bpermute_b32 v6, v12, v2
	s_waitcnt lgkmcnt(1)
	v_add_f64 v[4:5], v[4:5], v[14:15]
	ds_bpermute_b32 v7, v12, v3
	ds_bpermute_b32 v14, v12, v4
	ds_bpermute_b32 v15, v12, v5
	s_waitcnt lgkmcnt(2)
	v_add_f64 v[2:3], v[2:3], v[6:7]
	s_waitcnt lgkmcnt(0)
	v_add_f64 v[4:5], v[4:5], v[14:15]
	s_and_saveexec_b64 s[10:11], s[2:3]
	s_cbranch_execz .LBB41_27
; %bb.23:
	s_andn2_b64 vcc, exec, s[8:9]
	s_cbranch_vccnz .LBB41_25
; %bb.24:
	v_lshl_add_u64 v[6:7], s[4:5], 0, v[0:1]
	v_lshl_add_u64 v[6:7], v[6:7], 3, s[12:13]
	global_store_dwordx2 v[6:7], v[2:3], off offset:32
.LBB41_25:
	s_andn2_b64 vcc, exec, s[6:7]
	s_cbranch_vccnz .LBB41_27
; %bb.26:
	v_lshl_add_u64 v[6:7], s[4:5], 0, v[0:1]
	v_lshl_add_u64 v[6:7], v[6:7], 3, s[14:15]
	global_store_dwordx2 v[6:7], v[4:5], off offset:32
.LBB41_27:
	s_or_b64 exec, exec, s[10:11]
	s_movk_i32 s10, 0x600
	v_cmp_gt_u32_e32 vcc, s10, v9
	s_and_b64 exec, exec, vcc
	s_cbranch_execz .LBB41_75
; %bb.28:
	s_and_saveexec_b64 s[10:11], s[0:1]
	s_cbranch_execz .LBB41_30
; %bb.29:
	v_add_u32_e32 v2, v0, v8
	v_lshl_add_u32 v4, v2, 3, 0
	ds_read_b64 v[2:3], v4 offset:64
	ds_read_b64 v[4:5], v4 offset:2176
.LBB41_30:
	s_or_b64 exec, exec, s[10:11]
	s_waitcnt lgkmcnt(1)
	ds_bpermute_b32 v6, v10, v2
	ds_bpermute_b32 v7, v10, v3
	s_waitcnt lgkmcnt(2)
	ds_bpermute_b32 v14, v10, v4
	ds_bpermute_b32 v15, v10, v5
	s_waitcnt lgkmcnt(2)
	v_add_f64 v[2:3], v[2:3], v[6:7]
	ds_bpermute_b32 v6, v11, v2
	s_waitcnt lgkmcnt(1)
	v_add_f64 v[4:5], v[4:5], v[14:15]
	ds_bpermute_b32 v7, v11, v3
	ds_bpermute_b32 v14, v11, v4
	ds_bpermute_b32 v15, v11, v5
	s_waitcnt lgkmcnt(2)
	v_add_f64 v[2:3], v[2:3], v[6:7]
	ds_bpermute_b32 v6, v12, v2
	s_waitcnt lgkmcnt(1)
	v_add_f64 v[4:5], v[4:5], v[14:15]
	ds_bpermute_b32 v7, v12, v3
	ds_bpermute_b32 v14, v12, v4
	ds_bpermute_b32 v15, v12, v5
	s_waitcnt lgkmcnt(2)
	v_add_f64 v[2:3], v[2:3], v[6:7]
	s_waitcnt lgkmcnt(0)
	v_add_f64 v[4:5], v[4:5], v[14:15]
	s_and_saveexec_b64 s[10:11], s[2:3]
	s_cbranch_execz .LBB41_35
; %bb.31:
	s_andn2_b64 vcc, exec, s[8:9]
	s_cbranch_vccnz .LBB41_33
; %bb.32:
	v_lshl_add_u64 v[6:7], s[4:5], 0, v[0:1]
	v_lshl_add_u64 v[6:7], v[6:7], 3, s[12:13]
	global_store_dwordx2 v[6:7], v[2:3], off offset:64
.LBB41_33:
	s_andn2_b64 vcc, exec, s[6:7]
	s_cbranch_vccnz .LBB41_35
; %bb.34:
	v_lshl_add_u64 v[6:7], s[4:5], 0, v[0:1]
	v_lshl_add_u64 v[6:7], v[6:7], 3, s[14:15]
	global_store_dwordx2 v[6:7], v[4:5], off offset:64
.LBB41_35:
	;; [unrolled: 58-line block ×6, first 2 shown]
	s_or_b64 exec, exec, s[10:11]
	s_movk_i32 s10, 0x100
	v_cmp_gt_u32_e32 vcc, s10, v9
	s_and_b64 exec, exec, vcc
	s_cbranch_execz .LBB41_75
; %bb.68:
	s_and_saveexec_b64 s[10:11], s[0:1]
	s_cbranch_execz .LBB41_70
; %bb.69:
	v_add_u32_e32 v2, v0, v8
	v_lshl_add_u32 v4, v2, 3, 0
	ds_read_b64 v[2:3], v4 offset:224
	ds_read_b64 v[4:5], v4 offset:2336
.LBB41_70:
	s_or_b64 exec, exec, s[10:11]
	s_waitcnt lgkmcnt(1)
	ds_bpermute_b32 v6, v10, v2
	ds_bpermute_b32 v7, v10, v3
	s_waitcnt lgkmcnt(2)
	ds_bpermute_b32 v8, v10, v4
	ds_bpermute_b32 v9, v10, v5
	s_waitcnt lgkmcnt(2)
	v_add_f64 v[2:3], v[2:3], v[6:7]
	ds_bpermute_b32 v6, v11, v2
	s_waitcnt lgkmcnt(1)
	v_add_f64 v[4:5], v[4:5], v[8:9]
	ds_bpermute_b32 v7, v11, v3
	ds_bpermute_b32 v8, v11, v4
	;; [unrolled: 1-line block ×3, first 2 shown]
	s_waitcnt lgkmcnt(2)
	v_add_f64 v[6:7], v[2:3], v[6:7]
	s_waitcnt lgkmcnt(0)
	v_add_f64 v[2:3], v[4:5], v[8:9]
	ds_bpermute_b32 v8, v12, v6
	ds_bpermute_b32 v9, v12, v7
	ds_bpermute_b32 v4, v12, v2
	ds_bpermute_b32 v5, v12, v3
	s_and_b64 exec, exec, s[2:3]
	s_cbranch_execz .LBB41_75
; %bb.71:
	s_andn2_b64 vcc, exec, s[8:9]
	v_lshl_add_u64 v[0:1], s[4:5], 0, v[0:1]
	s_cbranch_vccnz .LBB41_73
; %bb.72:
	s_waitcnt lgkmcnt(2)
	v_add_f64 v[6:7], v[6:7], v[8:9]
	v_lshl_add_u64 v[8:9], v[0:1], 3, s[12:13]
	global_store_dwordx2 v[8:9], v[6:7], off offset:224
.LBB41_73:
	s_andn2_b64 vcc, exec, s[6:7]
	s_cbranch_vccnz .LBB41_75
; %bb.74:
	s_waitcnt lgkmcnt(0)
	v_add_f64 v[2:3], v[2:3], v[4:5]
	v_lshl_add_u64 v[0:1], v[0:1], 3, s[14:15]
	global_store_dwordx2 v[0:1], v[2:3], off offset:224
.LBB41_75:
	s_endpgm
	.section	.rodata,"a",@progbits
	.p2align	6, 0x0
	.amdhsa_kernel _ZN2at6native12_GLOBAL__N_135GammaBetaBackwardCUDAKernelTemplateIddLj32ELj8ELj64ELb0ELb1ELb0EEEvllPKT_S5_PKT0_S8_PS3_S9_
		.amdhsa_group_segment_fixed_size 0
		.amdhsa_private_segment_fixed_size 0
		.amdhsa_kernarg_size 320
		.amdhsa_user_sgpr_count 2
		.amdhsa_user_sgpr_dispatch_ptr 0
		.amdhsa_user_sgpr_queue_ptr 0
		.amdhsa_user_sgpr_kernarg_segment_ptr 1
		.amdhsa_user_sgpr_dispatch_id 0
		.amdhsa_user_sgpr_kernarg_preload_length 0
		.amdhsa_user_sgpr_kernarg_preload_offset 0
		.amdhsa_user_sgpr_private_segment_size 0
		.amdhsa_uses_dynamic_stack 0
		.amdhsa_enable_private_segment 0
		.amdhsa_system_sgpr_workgroup_id_x 1
		.amdhsa_system_sgpr_workgroup_id_y 1
		.amdhsa_system_sgpr_workgroup_id_z 0
		.amdhsa_system_sgpr_workgroup_info 0
		.amdhsa_system_vgpr_workitem_id 1
		.amdhsa_next_free_vgpr 64
		.amdhsa_next_free_sgpr 32
		.amdhsa_accum_offset 64
		.amdhsa_reserve_vcc 1
		.amdhsa_float_round_mode_32 0
		.amdhsa_float_round_mode_16_64 0
		.amdhsa_float_denorm_mode_32 3
		.amdhsa_float_denorm_mode_16_64 3
		.amdhsa_dx10_clamp 1
		.amdhsa_ieee_mode 1
		.amdhsa_fp16_overflow 0
		.amdhsa_tg_split 0
		.amdhsa_exception_fp_ieee_invalid_op 0
		.amdhsa_exception_fp_denorm_src 0
		.amdhsa_exception_fp_ieee_div_zero 0
		.amdhsa_exception_fp_ieee_overflow 0
		.amdhsa_exception_fp_ieee_underflow 0
		.amdhsa_exception_fp_ieee_inexact 0
		.amdhsa_exception_int_div_zero 0
	.end_amdhsa_kernel
	.section	.text._ZN2at6native12_GLOBAL__N_135GammaBetaBackwardCUDAKernelTemplateIddLj32ELj8ELj64ELb0ELb1ELb0EEEvllPKT_S5_PKT0_S8_PS3_S9_,"axG",@progbits,_ZN2at6native12_GLOBAL__N_135GammaBetaBackwardCUDAKernelTemplateIddLj32ELj8ELj64ELb0ELb1ELb0EEEvllPKT_S5_PKT0_S8_PS3_S9_,comdat
.Lfunc_end41:
	.size	_ZN2at6native12_GLOBAL__N_135GammaBetaBackwardCUDAKernelTemplateIddLj32ELj8ELj64ELb0ELb1ELb0EEEvllPKT_S5_PKT0_S8_PS3_S9_, .Lfunc_end41-_ZN2at6native12_GLOBAL__N_135GammaBetaBackwardCUDAKernelTemplateIddLj32ELj8ELj64ELb0ELb1ELb0EEEvllPKT_S5_PKT0_S8_PS3_S9_
                                        ; -- End function
	.set _ZN2at6native12_GLOBAL__N_135GammaBetaBackwardCUDAKernelTemplateIddLj32ELj8ELj64ELb0ELb1ELb0EEEvllPKT_S5_PKT0_S8_PS3_S9_.num_vgpr, 64
	.set _ZN2at6native12_GLOBAL__N_135GammaBetaBackwardCUDAKernelTemplateIddLj32ELj8ELj64ELb0ELb1ELb0EEEvllPKT_S5_PKT0_S8_PS3_S9_.num_agpr, 0
	.set _ZN2at6native12_GLOBAL__N_135GammaBetaBackwardCUDAKernelTemplateIddLj32ELj8ELj64ELb0ELb1ELb0EEEvllPKT_S5_PKT0_S8_PS3_S9_.numbered_sgpr, 32
	.set _ZN2at6native12_GLOBAL__N_135GammaBetaBackwardCUDAKernelTemplateIddLj32ELj8ELj64ELb0ELb1ELb0EEEvllPKT_S5_PKT0_S8_PS3_S9_.num_named_barrier, 0
	.set _ZN2at6native12_GLOBAL__N_135GammaBetaBackwardCUDAKernelTemplateIddLj32ELj8ELj64ELb0ELb1ELb0EEEvllPKT_S5_PKT0_S8_PS3_S9_.private_seg_size, 0
	.set _ZN2at6native12_GLOBAL__N_135GammaBetaBackwardCUDAKernelTemplateIddLj32ELj8ELj64ELb0ELb1ELb0EEEvllPKT_S5_PKT0_S8_PS3_S9_.uses_vcc, 1
	.set _ZN2at6native12_GLOBAL__N_135GammaBetaBackwardCUDAKernelTemplateIddLj32ELj8ELj64ELb0ELb1ELb0EEEvllPKT_S5_PKT0_S8_PS3_S9_.uses_flat_scratch, 0
	.set _ZN2at6native12_GLOBAL__N_135GammaBetaBackwardCUDAKernelTemplateIddLj32ELj8ELj64ELb0ELb1ELb0EEEvllPKT_S5_PKT0_S8_PS3_S9_.has_dyn_sized_stack, 0
	.set _ZN2at6native12_GLOBAL__N_135GammaBetaBackwardCUDAKernelTemplateIddLj32ELj8ELj64ELb0ELb1ELb0EEEvllPKT_S5_PKT0_S8_PS3_S9_.has_recursion, 0
	.set _ZN2at6native12_GLOBAL__N_135GammaBetaBackwardCUDAKernelTemplateIddLj32ELj8ELj64ELb0ELb1ELb0EEEvllPKT_S5_PKT0_S8_PS3_S9_.has_indirect_call, 0
	.section	.AMDGPU.csdata,"",@progbits
; Kernel info:
; codeLenInByte = 3936
; TotalNumSgprs: 38
; NumVgprs: 64
; NumAgprs: 0
; TotalNumVgprs: 64
; ScratchSize: 0
; MemoryBound: 0
; FloatMode: 240
; IeeeMode: 1
; LDSByteSize: 0 bytes/workgroup (compile time only)
; SGPRBlocks: 4
; VGPRBlocks: 7
; NumSGPRsForWavesPerEU: 38
; NumVGPRsForWavesPerEU: 64
; AccumOffset: 64
; Occupancy: 8
; WaveLimiterHint : 0
; COMPUTE_PGM_RSRC2:SCRATCH_EN: 0
; COMPUTE_PGM_RSRC2:USER_SGPR: 2
; COMPUTE_PGM_RSRC2:TRAP_HANDLER: 0
; COMPUTE_PGM_RSRC2:TGID_X_EN: 1
; COMPUTE_PGM_RSRC2:TGID_Y_EN: 1
; COMPUTE_PGM_RSRC2:TGID_Z_EN: 0
; COMPUTE_PGM_RSRC2:TIDIG_COMP_CNT: 1
; COMPUTE_PGM_RSRC3_GFX90A:ACCUM_OFFSET: 15
; COMPUTE_PGM_RSRC3_GFX90A:TG_SPLIT: 0
	.section	.text._ZN2at6native12_GLOBAL__N_135GammaBetaBackwardCUDAKernelTemplateIddLj32ELj8ELj64ELb0ELb0ELb0EEEvllPKT_S5_PKT0_S8_PS3_S9_,"axG",@progbits,_ZN2at6native12_GLOBAL__N_135GammaBetaBackwardCUDAKernelTemplateIddLj32ELj8ELj64ELb0ELb0ELb0EEEvllPKT_S5_PKT0_S8_PS3_S9_,comdat
	.globl	_ZN2at6native12_GLOBAL__N_135GammaBetaBackwardCUDAKernelTemplateIddLj32ELj8ELj64ELb0ELb0ELb0EEEvllPKT_S5_PKT0_S8_PS3_S9_ ; -- Begin function _ZN2at6native12_GLOBAL__N_135GammaBetaBackwardCUDAKernelTemplateIddLj32ELj8ELj64ELb0ELb0ELb0EEEvllPKT_S5_PKT0_S8_PS3_S9_
	.p2align	8
	.type	_ZN2at6native12_GLOBAL__N_135GammaBetaBackwardCUDAKernelTemplateIddLj32ELj8ELj64ELb0ELb0ELb0EEEvllPKT_S5_PKT0_S8_PS3_S9_,@function
_ZN2at6native12_GLOBAL__N_135GammaBetaBackwardCUDAKernelTemplateIddLj32ELj8ELj64ELb0ELb0ELb0EEEvllPKT_S5_PKT0_S8_PS3_S9_: ; @_ZN2at6native12_GLOBAL__N_135GammaBetaBackwardCUDAKernelTemplateIddLj32ELj8ELj64ELb0ELb0ELb0EEEvllPKT_S5_PKT0_S8_PS3_S9_
; %bb.0:
	s_load_dwordx8 s[8:15], s[0:1], 0x0
	s_load_dwordx4 s[16:19], s[0:1], 0x20
	s_lshl_b32 s33, s2, 5
	s_or_b32 s4, s33, 31
	s_mov_b32 s21, 0
	v_mov_b32_e32 v2, s4
	v_mov_b32_e32 v3, 0
	s_lshl_b32 s20, s3, 6
	s_waitcnt lgkmcnt(0)
	v_cmp_le_i64_e32 vcc, s[10:11], v[2:3]
	v_mov_b64_e32 v[2:3], s[20:21]
	v_cmp_gt_i64_e64 s[4:5], s[8:9], v[2:3]
	s_nop 1
	v_cndmask_b32_e64 v1, 0, 1, s[4:5]
	v_cmp_ne_u32_e64 s[4:5], 1, v1
	s_cbranch_vccz .LBB42_49
; %bb.1:
	v_mov_b64_e32 v[36:37], 0
	s_and_b64 vcc, exec, s[4:5]
	v_mov_b64_e32 v[38:39], 0
	s_cbranch_vccnz .LBB42_50
; %bb.2:
	v_and_b32_e32 v1, 0x3ff, v0
	v_mov_b32_e32 v2, 0
	v_bfe_u32 v84, v0, 10, 10
	v_add_u32_e32 v4, s33, v1
	v_mov_b32_e32 v5, v2
	v_lshlrev_b32_e32 v40, 3, v84
	v_mov_b32_e32 v41, v2
	v_cmp_gt_i64_e64 s[6:7], s[10:11], v[4:5]
	v_lshlrev_b64 v[42:43], 3, v[4:5]
	v_lshl_add_u64 v[4:5], v[40:41], 0, s[20:21]
	v_mul_lo_u32 v3, s11, v4
	v_mul_lo_u32 v8, s10, v5
	v_mad_u64_u32 v[6:7], s[24:25], s10, v4, 0
	v_add3_u32 v7, v7, v8, v3
	v_lshlrev_b64 v[6:7], 3, v[6:7]
	v_lshl_add_u64 v[44:45], s[12:13], 0, v[6:7]
	v_lshl_add_u64 v[46:47], s[14:15], 0, v[6:7]
	v_lshl_add_u64 v[6:7], v[4:5], 0, 7
	v_mul_lo_u32 v9, s11, v6
	v_mul_lo_u32 v10, s10, v7
	v_mad_u64_u32 v[6:7], s[26:27], s10, v6, 0
	v_add3_u32 v7, v7, v10, v9
	v_lshlrev_b64 v[6:7], 3, v[6:7]
	v_lshl_add_u64 v[48:49], s[12:13], 0, v[6:7]
	v_lshl_add_u64 v[50:51], s[14:15], 0, v[6:7]
	;; [unrolled: 8-line block ×5, first 2 shown]
	v_lshl_add_u64 v[6:7], v[4:5], 0, 3
	v_mul_lo_u32 v9, s11, v6
	v_mul_lo_u32 v10, s10, v7
	v_mad_u64_u32 v[6:7], s[26:27], s10, v6, 0
	v_add3_u32 v7, v7, v10, v9
	s_load_dword s3, s[0:1], 0x44
	v_lshlrev_b64 v[6:7], 3, v[6:7]
	v_lshl_add_u64 v[64:65], s[12:13], 0, v[6:7]
	v_lshl_add_u64 v[66:67], s[14:15], 0, v[6:7]
	;; [unrolled: 1-line block ×3, first 2 shown]
	v_mul_lo_u32 v5, s11, v6
	v_mul_lo_u32 v9, s10, v7
	v_mad_u64_u32 v[6:7], s[26:27], s10, v6, 0
	v_add3_u32 v7, v7, v9, v5
	s_add_u32 s22, s0, 64
	v_lshlrev_b64 v[6:7], 3, v[6:7]
	s_addc_u32 s23, s1, 0
	s_waitcnt lgkmcnt(0)
	s_lshl_b32 s3, s3, 6
	v_lshl_add_u64 v[68:69], s[12:13], 0, v[6:7]
	v_lshl_add_u64 v[70:71], s[14:15], 0, v[6:7]
	v_mov_b64_e32 v[6:7], s[10:11]
	s_mul_i32 s24, s11, s3
	s_mul_hi_u32 s25, s10, s3
	v_mad_u64_u32 v[4:5], s[26:27], s10, v4, v[6:7]
	s_add_i32 s25, s25, s24
	s_mul_i32 s24, s10, s3
	v_add3_u32 v5, v3, v5, v8
	v_mbcnt_lo_u32_b32 v3, -1, 0
	s_lshl_b64 s[24:25], s[24:25], 3
	v_mbcnt_hi_u32_b32 v3, -1, v3
	v_lshlrev_b64 v[4:5], 3, v[4:5]
	s_add_u32 s26, s20, 63
	s_movk_i32 s28, 0xffc1
	s_movk_i32 s30, 0xffc2
	;; [unrolled: 1-line block ×8, first 2 shown]
	v_lshlrev_b32_e32 v3, 2, v3
	v_lshl_add_u64 v[72:73], s[12:13], 0, v[4:5]
	v_lshl_add_u64 v[74:75], s[14:15], 0, v[4:5]
	s_addc_u32 s27, 0, 0
	v_mov_b64_e32 v[76:77], 0
	s_mov_b32 s29, -1
	s_mov_b32 s31, -1
	;; [unrolled: 1-line block ×8, first 2 shown]
	v_and_b32_e32 v85, 0x100, v3
	v_mov_b64_e32 v[36:37], 0
	s_mov_b64 s[46:47], s[20:21]
.LBB42_3:                               ; =>This Inner Loop Header: Depth=1
	v_mov_b64_e32 v[4:5], s[8:9]
	v_cmp_ge_i64_e32 vcc, s[26:27], v[4:5]
	v_lshl_add_u64 v[78:79], v[40:41], 0, s[26:27]
	s_mov_b64 s[48:49], -1
	s_and_b64 vcc, exec, vcc
                                        ; implicit-def: $vgpr4_vgpr5_vgpr6_vgpr7_vgpr8_vgpr9_vgpr10_vgpr11_vgpr12_vgpr13_vgpr14_vgpr15_vgpr16_vgpr17_vgpr18_vgpr19
                                        ; implicit-def: $vgpr82_vgpr83
                                        ; implicit-def: $vgpr20_vgpr21_vgpr22_vgpr23_vgpr24_vgpr25_vgpr26_vgpr27_vgpr28_vgpr29_vgpr30_vgpr31_vgpr32_vgpr33_vgpr34_vgpr35
                                        ; implicit-def: $vgpr4
                                        ; implicit-def: $vgpr6_vgpr7
                                        ; implicit-def: $vgpr38_vgpr39
	s_cbranch_vccz .LBB42_25
; %bb.4:                                ;   in Loop: Header=BB42_3 Depth=1
	s_load_dword s48, s[22:23], 0xc
	v_mov_b64_e32 v[82:83], 0
	v_mov_b64_e32 v[80:81], 0
	s_waitcnt lgkmcnt(0)
	s_and_b32 s48, s48, 0xffff
	v_mad_u32_u24 v3, v84, s48, v1
	v_and_b32_e32 v4, 63, v3
	v_cmp_gt_u32_e32 vcc, 8, v4
	s_and_saveexec_b64 s[48:49], vcc
	s_cbranch_execz .LBB42_8
; %bb.5:                                ;   in Loop: Header=BB42_3 Depth=1
	v_mov_b32_e32 v5, v2
	v_lshl_add_u64 v[4:5], v[78:79], 0, v[4:5]
	v_lshl_add_u64 v[4:5], v[4:5], 0, s[28:29]
	v_cmp_gt_i64_e32 vcc, s[8:9], v[4:5]
	v_mov_b64_e32 v[80:81], 0
	v_mov_b64_e32 v[82:83], 0
	s_and_saveexec_b64 s[50:51], vcc
	s_cbranch_execz .LBB42_7
; %bb.6:                                ;   in Loop: Header=BB42_3 Depth=1
	v_lshlrev_b64 v[4:5], 3, v[4:5]
	v_lshl_add_u64 v[6:7], s[18:19], 0, v[4:5]
	v_lshl_add_u64 v[4:5], s[16:17], 0, v[4:5]
	global_load_dwordx2 v[80:81], v[4:5], off
	global_load_dwordx2 v[82:83], v[6:7], off
.LBB42_7:                               ;   in Loop: Header=BB42_3 Depth=1
	s_or_b64 exec, exec, s[50:51]
.LBB42_8:                               ;   in Loop: Header=BB42_3 Depth=1
	s_or_b64 exec, exec, s[48:49]
	v_lshl_add_u64 v[4:5], v[78:79], 0, s[28:29]
	v_mov_b32_e32 v16, v2
	v_mov_b32_e32 v17, v2
	v_cmp_gt_i64_e32 vcc, s[8:9], v[4:5]
	v_mov_b32_e32 v3, v2
	v_mov_b32_e32 v4, v2
	;; [unrolled: 1-line block ×13, first 2 shown]
	v_mov_b64_e32 v[34:35], v[16:17]
	v_mov_b64_e32 v[32:33], v[14:15]
	;; [unrolled: 1-line block ×9, first 2 shown]
	s_and_b64 s[50:51], s[6:7], vcc
	v_mov_b64_e32 v[16:17], v[14:15]
	v_mov_b64_e32 v[14:15], v[12:13]
	v_mov_b64_e32 v[12:13], v[10:11]
	v_mov_b64_e32 v[10:11], v[8:9]
	v_mov_b64_e32 v[8:9], v[6:7]
	v_mov_b64_e32 v[6:7], v[4:5]
	v_mov_b64_e32 v[4:5], v[2:3]
	s_and_saveexec_b64 s[48:49], s[50:51]
	s_cbranch_execz .LBB42_10
; %bb.9:                                ;   in Loop: Header=BB42_3 Depth=1
	v_lshl_add_u64 v[4:5], v[44:45], 0, v[42:43]
	v_lshl_add_u64 v[6:7], v[46:47], 0, v[42:43]
	global_load_dwordx2 v[4:5], v[4:5], off
	v_mov_b32_e32 v8, v2
	global_load_dwordx2 v[20:21], v[6:7], off
	v_mov_b32_e32 v6, v2
	v_mov_b32_e32 v7, v2
	;; [unrolled: 1-line block ×27, first 2 shown]
.LBB42_10:                              ;   in Loop: Header=BB42_3 Depth=1
	s_or_b64 exec, exec, s[48:49]
	v_lshl_add_u64 v[38:39], v[78:79], 0, s[30:31]
	v_cmp_gt_i64_e32 vcc, s[8:9], v[38:39]
	s_and_b64 s[50:51], s[6:7], vcc
	s_and_saveexec_b64 s[48:49], s[50:51]
	s_cbranch_execz .LBB42_12
; %bb.11:                               ;   in Loop: Header=BB42_3 Depth=1
	v_lshl_add_u64 v[6:7], v[72:73], 0, v[42:43]
	v_lshl_add_u64 v[22:23], v[74:75], 0, v[42:43]
	global_load_dwordx2 v[6:7], v[6:7], off
	s_nop 0
	global_load_dwordx2 v[22:23], v[22:23], off
.LBB42_12:                              ;   in Loop: Header=BB42_3 Depth=1
	s_or_b64 exec, exec, s[48:49]
	v_lshl_add_u64 v[38:39], v[78:79], 0, s[34:35]
	v_cmp_gt_i64_e32 vcc, s[8:9], v[38:39]
	s_and_b64 s[50:51], s[6:7], vcc
	s_and_saveexec_b64 s[48:49], s[50:51]
	s_cbranch_execz .LBB42_14
; %bb.13:                               ;   in Loop: Header=BB42_3 Depth=1
	v_lshl_add_u64 v[8:9], v[68:69], 0, v[42:43]
	v_lshl_add_u64 v[24:25], v[70:71], 0, v[42:43]
	global_load_dwordx2 v[8:9], v[8:9], off
	s_nop 0
	global_load_dwordx2 v[24:25], v[24:25], off
.LBB42_14:                              ;   in Loop: Header=BB42_3 Depth=1
	s_or_b64 exec, exec, s[48:49]
	v_lshl_add_u64 v[38:39], v[78:79], 0, s[36:37]
	v_cmp_gt_i64_e32 vcc, s[8:9], v[38:39]
	s_and_b64 s[50:51], s[6:7], vcc
	s_and_saveexec_b64 s[48:49], s[50:51]
	s_cbranch_execz .LBB42_16
; %bb.15:                               ;   in Loop: Header=BB42_3 Depth=1
	v_lshl_add_u64 v[10:11], v[64:65], 0, v[42:43]
	v_lshl_add_u64 v[26:27], v[66:67], 0, v[42:43]
	global_load_dwordx2 v[10:11], v[10:11], off
	s_nop 0
	global_load_dwordx2 v[26:27], v[26:27], off
.LBB42_16:                              ;   in Loop: Header=BB42_3 Depth=1
	s_or_b64 exec, exec, s[48:49]
	v_lshl_add_u64 v[38:39], v[78:79], 0, s[38:39]
	v_cmp_gt_i64_e32 vcc, s[8:9], v[38:39]
	s_and_b64 s[50:51], s[6:7], vcc
	s_and_saveexec_b64 s[48:49], s[50:51]
	s_cbranch_execz .LBB42_18
; %bb.17:                               ;   in Loop: Header=BB42_3 Depth=1
	v_lshl_add_u64 v[12:13], v[60:61], 0, v[42:43]
	v_lshl_add_u64 v[28:29], v[62:63], 0, v[42:43]
	global_load_dwordx2 v[12:13], v[12:13], off
	s_nop 0
	global_load_dwordx2 v[28:29], v[28:29], off
.LBB42_18:                              ;   in Loop: Header=BB42_3 Depth=1
	s_or_b64 exec, exec, s[48:49]
	v_lshl_add_u64 v[38:39], v[78:79], 0, s[40:41]
	v_cmp_gt_i64_e32 vcc, s[8:9], v[38:39]
	s_and_b64 s[50:51], s[6:7], vcc
	s_and_saveexec_b64 s[48:49], s[50:51]
	s_cbranch_execz .LBB42_20
; %bb.19:                               ;   in Loop: Header=BB42_3 Depth=1
	v_lshl_add_u64 v[14:15], v[56:57], 0, v[42:43]
	v_lshl_add_u64 v[30:31], v[58:59], 0, v[42:43]
	global_load_dwordx2 v[14:15], v[14:15], off
	s_nop 0
	global_load_dwordx2 v[30:31], v[30:31], off
.LBB42_20:                              ;   in Loop: Header=BB42_3 Depth=1
	s_or_b64 exec, exec, s[48:49]
	v_lshl_add_u64 v[38:39], v[78:79], 0, s[42:43]
	v_cmp_gt_i64_e32 vcc, s[8:9], v[38:39]
	s_and_b64 s[50:51], s[6:7], vcc
	s_and_saveexec_b64 s[48:49], s[50:51]
	s_cbranch_execz .LBB42_22
; %bb.21:                               ;   in Loop: Header=BB42_3 Depth=1
	v_lshl_add_u64 v[16:17], v[52:53], 0, v[42:43]
	v_lshl_add_u64 v[32:33], v[54:55], 0, v[42:43]
	global_load_dwordx2 v[16:17], v[16:17], off
	s_nop 0
	global_load_dwordx2 v[32:33], v[32:33], off
.LBB42_22:                              ;   in Loop: Header=BB42_3 Depth=1
	s_or_b64 exec, exec, s[48:49]
	v_lshl_add_u64 v[38:39], v[78:79], 0, s[44:45]
	v_cmp_gt_i64_e32 vcc, s[8:9], v[38:39]
	s_and_b64 s[50:51], s[6:7], vcc
	s_and_saveexec_b64 s[48:49], s[50:51]
	s_cbranch_execz .LBB42_24
; %bb.23:                               ;   in Loop: Header=BB42_3 Depth=1
	v_lshl_add_u64 v[18:19], v[48:49], 0, v[42:43]
	v_lshl_add_u64 v[34:35], v[50:51], 0, v[42:43]
	global_load_dwordx2 v[18:19], v[18:19], off
	s_nop 0
	global_load_dwordx2 v[34:35], v[34:35], off
.LBB42_24:                              ;   in Loop: Header=BB42_3 Depth=1
	s_or_b64 exec, exec, s[48:49]
	s_waitcnt vmcnt(1)
	ds_bpermute_b32 v38, v85, v80
	ds_bpermute_b32 v39, v85, v81
	s_waitcnt vmcnt(0)
	ds_bpermute_b32 v86, v85, v82
	ds_bpermute_b32 v87, v85, v83
	ds_bpermute_b32 v88, v85, v80 offset:4
	ds_bpermute_b32 v89, v85, v81 offset:4
	s_waitcnt lgkmcnt(4)
	v_add_f64 v[20:21], v[20:21], -v[38:39]
	v_mul_f64 v[20:21], v[4:5], v[20:21]
	s_waitcnt lgkmcnt(2)
	v_fma_f64 v[38:39], v[20:21], v[86:87], v[76:77]
	ds_bpermute_b32 v20, v85, v82 offset:4
	ds_bpermute_b32 v21, v85, v83 offset:4
	;; [unrolled: 1-line block ×4, first 2 shown]
	v_add_f64 v[4:5], v[36:37], v[4:5]
	s_waitcnt lgkmcnt(4)
	v_add_f64 v[22:23], v[22:23], -v[88:89]
	v_mul_f64 v[22:23], v[6:7], v[22:23]
	v_add_f64 v[4:5], v[6:7], v[4:5]
	ds_bpermute_b32 v6, v85, v82 offset:8
	ds_bpermute_b32 v7, v85, v83 offset:8
	s_waitcnt lgkmcnt(4)
	v_fmac_f64_e32 v[38:39], v[22:23], v[20:21]
	s_waitcnt lgkmcnt(2)
	v_add_f64 v[20:21], v[24:25], -v[86:87]
	ds_bpermute_b32 v22, v85, v80 offset:12
	ds_bpermute_b32 v23, v85, v81 offset:12
	v_mul_f64 v[20:21], v[8:9], v[20:21]
	s_waitcnt lgkmcnt(2)
	v_fmac_f64_e32 v[38:39], v[20:21], v[6:7]
	ds_bpermute_b32 v6, v85, v82 offset:12
	ds_bpermute_b32 v7, v85, v83 offset:12
	v_add_f64 v[4:5], v[8:9], v[4:5]
	s_waitcnt lgkmcnt(2)
	v_add_f64 v[8:9], v[26:27], -v[22:23]
	ds_bpermute_b32 v20, v85, v80 offset:16
	ds_bpermute_b32 v21, v85, v81 offset:16
	v_mul_f64 v[8:9], v[10:11], v[8:9]
	s_waitcnt lgkmcnt(2)
	v_fmac_f64_e32 v[38:39], v[8:9], v[6:7]
	ds_bpermute_b32 v6, v85, v82 offset:16
	ds_bpermute_b32 v7, v85, v83 offset:16
	v_add_f64 v[4:5], v[10:11], v[4:5]
	s_waitcnt lgkmcnt(2)
	v_add_f64 v[8:9], v[28:29], -v[20:21]
	ds_bpermute_b32 v10, v85, v80 offset:20
	ds_bpermute_b32 v11, v85, v81 offset:20
	v_mul_f64 v[8:9], v[12:13], v[8:9]
	s_waitcnt lgkmcnt(2)
	v_fmac_f64_e32 v[38:39], v[8:9], v[6:7]
	ds_bpermute_b32 v6, v85, v82 offset:20
	ds_bpermute_b32 v7, v85, v83 offset:20
	s_waitcnt lgkmcnt(2)
	v_add_f64 v[8:9], v[30:31], -v[10:11]
	ds_bpermute_b32 v10, v85, v80 offset:24
	ds_bpermute_b32 v11, v85, v81 offset:24
	v_mul_f64 v[8:9], v[14:15], v[8:9]
	v_add_f64 v[4:5], v[12:13], v[4:5]
	s_waitcnt lgkmcnt(2)
	v_fmac_f64_e32 v[38:39], v[8:9], v[6:7]
	ds_bpermute_b32 v8, v85, v82 offset:24
	ds_bpermute_b32 v9, v85, v83 offset:24
	v_add_f64 v[6:7], v[14:15], v[4:5]
	ds_bpermute_b32 v82, v85, v82 offset:28
	ds_bpermute_b32 v83, v85, v83 offset:28
	;; [unrolled: 1-line block ×4, first 2 shown]
	s_waitcnt lgkmcnt(6)
	v_add_f64 v[10:11], v[32:33], -v[10:11]
	v_mul_f64 v[10:11], v[16:17], v[10:11]
	s_waitcnt lgkmcnt(4)
	v_fmac_f64_e32 v[38:39], v[10:11], v[8:9]
	v_add_f64 v[6:7], v[16:17], v[6:7]
	s_mov_b64 s[48:49], 0
.LBB42_25:                              ;   in Loop: Header=BB42_3 Depth=1
	s_and_b64 vcc, exec, s[48:49]
	s_cbranch_vccz .LBB42_40
; %bb.26:                               ;   in Loop: Header=BB42_3 Depth=1
	s_load_dword s48, s[22:23], 0x0
	v_mov_b64_e32 v[80:81], 0
	v_mov_b64_e32 v[38:39], 0
	s_waitcnt lgkmcnt(0)
	s_cmp_lt_u32 s2, s48
	s_cselect_b32 s48, 12, 18
	s_add_u32 s48, s22, s48
	s_addc_u32 s49, s23, 0
	global_load_ushort v3, v2, s[48:49]
	s_waitcnt vmcnt(0)
	v_mad_u32_u24 v3, v84, v3, v1
	v_and_b32_e32 v4, 63, v3
	v_cmp_gt_u32_e32 vcc, 8, v4
	s_and_saveexec_b64 s[48:49], vcc
	s_cbranch_execz .LBB42_30
; %bb.27:                               ;   in Loop: Header=BB42_3 Depth=1
	v_mov_b32_e32 v5, v2
	v_lshl_add_u64 v[4:5], v[78:79], 0, v[4:5]
	v_lshl_add_u64 v[4:5], v[4:5], 0, s[28:29]
	v_cmp_gt_i64_e32 vcc, s[8:9], v[4:5]
	v_mov_b64_e32 v[38:39], 0
	v_mov_b64_e32 v[80:81], 0
	s_and_saveexec_b64 s[50:51], vcc
	s_cbranch_execz .LBB42_29
; %bb.28:                               ;   in Loop: Header=BB42_3 Depth=1
	v_lshlrev_b64 v[4:5], 3, v[4:5]
	v_lshl_add_u64 v[6:7], s[18:19], 0, v[4:5]
	v_lshl_add_u64 v[4:5], s[16:17], 0, v[4:5]
	global_load_dwordx2 v[38:39], v[4:5], off
	global_load_dwordx2 v[80:81], v[6:7], off
.LBB42_29:                              ;   in Loop: Header=BB42_3 Depth=1
	s_or_b64 exec, exec, s[50:51]
.LBB42_30:                              ;   in Loop: Header=BB42_3 Depth=1
	s_or_b64 exec, exec, s[48:49]
	v_mov_b32_e32 v16, v2
	v_mov_b32_e32 v17, v2
	;; [unrolled: 1-line block ×15, first 2 shown]
	v_mov_b64_e32 v[34:35], v[16:17]
	v_mov_b64_e32 v[32:33], v[14:15]
	v_mov_b64_e32 v[30:31], v[12:13]
	v_mov_b64_e32 v[28:29], v[10:11]
	v_mov_b64_e32 v[26:27], v[8:9]
	v_mov_b64_e32 v[24:25], v[6:7]
	v_mov_b64_e32 v[22:23], v[4:5]
	v_mov_b64_e32 v[20:21], v[2:3]
	v_mov_b64_e32 v[18:19], v[16:17]
	v_mov_b64_e32 v[16:17], v[14:15]
	v_mov_b64_e32 v[14:15], v[12:13]
	v_mov_b64_e32 v[12:13], v[10:11]
	v_mov_b64_e32 v[10:11], v[8:9]
	v_mov_b64_e32 v[8:9], v[6:7]
	v_mov_b64_e32 v[6:7], v[4:5]
	v_mov_b64_e32 v[4:5], v[2:3]
	s_and_saveexec_b64 s[48:49], s[6:7]
	s_cbranch_execnz .LBB42_42
; %bb.31:                               ;   in Loop: Header=BB42_3 Depth=1
	s_or_b64 exec, exec, s[48:49]
	s_and_saveexec_b64 s[48:49], s[6:7]
	s_cbranch_execnz .LBB42_43
.LBB42_32:                              ;   in Loop: Header=BB42_3 Depth=1
	s_or_b64 exec, exec, s[48:49]
	s_and_saveexec_b64 s[48:49], s[6:7]
	s_cbranch_execnz .LBB42_44
.LBB42_33:                              ;   in Loop: Header=BB42_3 Depth=1
	s_or_b64 exec, exec, s[48:49]
	s_and_saveexec_b64 s[48:49], s[6:7]
	s_cbranch_execnz .LBB42_45
.LBB42_34:                              ;   in Loop: Header=BB42_3 Depth=1
	s_or_b64 exec, exec, s[48:49]
	s_and_saveexec_b64 s[48:49], s[6:7]
	s_cbranch_execnz .LBB42_46
.LBB42_35:                              ;   in Loop: Header=BB42_3 Depth=1
	s_or_b64 exec, exec, s[48:49]
	s_and_saveexec_b64 s[48:49], s[6:7]
	s_cbranch_execnz .LBB42_47
.LBB42_36:                              ;   in Loop: Header=BB42_3 Depth=1
	s_or_b64 exec, exec, s[48:49]
	s_and_saveexec_b64 s[48:49], s[6:7]
	s_cbranch_execnz .LBB42_48
.LBB42_37:                              ;   in Loop: Header=BB42_3 Depth=1
	s_or_b64 exec, exec, s[48:49]
	s_and_saveexec_b64 s[48:49], s[6:7]
	s_cbranch_execz .LBB42_39
.LBB42_38:                              ;   in Loop: Header=BB42_3 Depth=1
	v_lshl_add_u64 v[18:19], v[48:49], 0, v[42:43]
	v_lshl_add_u64 v[34:35], v[50:51], 0, v[42:43]
	global_load_dwordx2 v[18:19], v[18:19], off
	s_nop 0
	global_load_dwordx2 v[34:35], v[34:35], off
.LBB42_39:                              ;   in Loop: Header=BB42_3 Depth=1
	s_or_b64 exec, exec, s[48:49]
	s_waitcnt vmcnt(1)
	ds_bpermute_b32 v78, v85, v38
	ds_bpermute_b32 v79, v85, v39
	s_waitcnt vmcnt(0)
	ds_bpermute_b32 v82, v85, v80
	ds_bpermute_b32 v83, v85, v81
	ds_bpermute_b32 v86, v85, v38 offset:4
	ds_bpermute_b32 v87, v85, v39 offset:4
	s_waitcnt lgkmcnt(4)
	v_add_f64 v[20:21], v[20:21], -v[78:79]
	v_mul_f64 v[20:21], v[4:5], v[20:21]
	s_waitcnt lgkmcnt(2)
	v_fmac_f64_e32 v[76:77], v[20:21], v[82:83]
	v_add_f64 v[4:5], v[36:37], v[4:5]
	ds_bpermute_b32 v20, v85, v80 offset:4
	ds_bpermute_b32 v21, v85, v81 offset:4
	;; [unrolled: 1-line block ×4, first 2 shown]
	s_waitcnt lgkmcnt(4)
	v_add_f64 v[22:23], v[22:23], -v[86:87]
	v_mul_f64 v[22:23], v[6:7], v[22:23]
	v_add_f64 v[4:5], v[6:7], v[4:5]
	ds_bpermute_b32 v6, v85, v80 offset:8
	ds_bpermute_b32 v7, v85, v81 offset:8
	s_waitcnt lgkmcnt(4)
	v_fmac_f64_e32 v[76:77], v[22:23], v[20:21]
	s_waitcnt lgkmcnt(2)
	v_add_f64 v[20:21], v[24:25], -v[36:37]
	ds_bpermute_b32 v22, v85, v38 offset:12
	ds_bpermute_b32 v23, v85, v39 offset:12
	v_mul_f64 v[20:21], v[8:9], v[20:21]
	s_waitcnt lgkmcnt(2)
	v_fmac_f64_e32 v[76:77], v[20:21], v[6:7]
	ds_bpermute_b32 v6, v85, v80 offset:12
	ds_bpermute_b32 v7, v85, v81 offset:12
	v_add_f64 v[4:5], v[8:9], v[4:5]
	s_waitcnt lgkmcnt(2)
	v_add_f64 v[8:9], v[26:27], -v[22:23]
	ds_bpermute_b32 v20, v85, v38 offset:16
	ds_bpermute_b32 v21, v85, v39 offset:16
	v_mul_f64 v[8:9], v[10:11], v[8:9]
	s_waitcnt lgkmcnt(2)
	v_fmac_f64_e32 v[76:77], v[8:9], v[6:7]
	ds_bpermute_b32 v6, v85, v80 offset:16
	ds_bpermute_b32 v7, v85, v81 offset:16
	v_add_f64 v[4:5], v[10:11], v[4:5]
	s_waitcnt lgkmcnt(2)
	v_add_f64 v[8:9], v[28:29], -v[20:21]
	ds_bpermute_b32 v10, v85, v38 offset:20
	ds_bpermute_b32 v11, v85, v39 offset:20
	v_mul_f64 v[8:9], v[12:13], v[8:9]
	s_waitcnt lgkmcnt(2)
	v_fmac_f64_e32 v[76:77], v[8:9], v[6:7]
	ds_bpermute_b32 v6, v85, v80 offset:20
	ds_bpermute_b32 v7, v85, v81 offset:20
	s_waitcnt lgkmcnt(2)
	v_add_f64 v[8:9], v[30:31], -v[10:11]
	ds_bpermute_b32 v10, v85, v38 offset:24
	ds_bpermute_b32 v11, v85, v39 offset:24
	v_mul_f64 v[8:9], v[14:15], v[8:9]
	s_waitcnt lgkmcnt(2)
	v_fmac_f64_e32 v[76:77], v[8:9], v[6:7]
	ds_bpermute_b32 v8, v85, v80 offset:24
	ds_bpermute_b32 v9, v85, v81 offset:24
	v_add_f64 v[4:5], v[12:13], v[4:5]
	v_add_f64 v[6:7], v[14:15], v[4:5]
	ds_bpermute_b32 v82, v85, v80 offset:28
	ds_bpermute_b32 v83, v85, v81 offset:28
	;; [unrolled: 1-line block ×4, first 2 shown]
	s_waitcnt lgkmcnt(6)
	v_add_f64 v[10:11], v[32:33], -v[10:11]
	v_mul_f64 v[10:11], v[16:17], v[10:11]
	s_waitcnt lgkmcnt(4)
	v_fmac_f64_e32 v[76:77], v[10:11], v[8:9]
	v_add_f64 v[6:7], v[16:17], v[6:7]
	v_mov_b64_e32 v[38:39], v[76:77]
.LBB42_40:                              ;   in Loop: Header=BB42_3 Depth=1
	s_waitcnt lgkmcnt(0)
	v_add_f64 v[4:5], v[34:35], -v[4:5]
	v_mul_f64 v[4:5], v[18:19], v[4:5]
	s_add_u32 s46, s46, s3
	v_fmac_f64_e32 v[38:39], v[4:5], v[82:83]
	s_addc_u32 s47, s47, 0
	v_mov_b64_e32 v[4:5], s[8:9]
	s_add_u32 s26, s26, s3
	v_cmp_lt_i64_e32 vcc, s[46:47], v[4:5]
	v_add_f64 v[36:37], v[6:7], v[18:19]
	v_lshl_add_u64 v[44:45], v[44:45], 0, s[24:25]
	v_lshl_add_u64 v[46:47], v[46:47], 0, s[24:25]
	;; [unrolled: 1-line block ×16, first 2 shown]
	s_addc_u32 s27, s27, 0
	s_cbranch_vccz .LBB42_50
; %bb.41:                               ;   in Loop: Header=BB42_3 Depth=1
	v_mov_b64_e32 v[76:77], v[38:39]
	s_branch .LBB42_3
.LBB42_42:                              ;   in Loop: Header=BB42_3 Depth=1
	v_lshl_add_u64 v[4:5], v[44:45], 0, v[42:43]
	v_lshl_add_u64 v[6:7], v[46:47], 0, v[42:43]
	global_load_dwordx2 v[4:5], v[4:5], off
	v_mov_b32_e32 v8, v2
	global_load_dwordx2 v[20:21], v[6:7], off
	v_mov_b32_e32 v6, v2
	v_mov_b32_e32 v7, v2
	;; [unrolled: 1-line block ×27, first 2 shown]
	s_or_b64 exec, exec, s[48:49]
	s_and_saveexec_b64 s[48:49], s[6:7]
	s_cbranch_execz .LBB42_32
.LBB42_43:                              ;   in Loop: Header=BB42_3 Depth=1
	v_lshl_add_u64 v[6:7], v[72:73], 0, v[42:43]
	v_lshl_add_u64 v[22:23], v[74:75], 0, v[42:43]
	global_load_dwordx2 v[6:7], v[6:7], off
	s_nop 0
	global_load_dwordx2 v[22:23], v[22:23], off
	s_or_b64 exec, exec, s[48:49]
	s_and_saveexec_b64 s[48:49], s[6:7]
	s_cbranch_execz .LBB42_33
.LBB42_44:                              ;   in Loop: Header=BB42_3 Depth=1
	v_lshl_add_u64 v[8:9], v[68:69], 0, v[42:43]
	v_lshl_add_u64 v[24:25], v[70:71], 0, v[42:43]
	global_load_dwordx2 v[8:9], v[8:9], off
	s_nop 0
	global_load_dwordx2 v[24:25], v[24:25], off
	s_or_b64 exec, exec, s[48:49]
	s_and_saveexec_b64 s[48:49], s[6:7]
	s_cbranch_execz .LBB42_34
.LBB42_45:                              ;   in Loop: Header=BB42_3 Depth=1
	v_lshl_add_u64 v[10:11], v[64:65], 0, v[42:43]
	v_lshl_add_u64 v[26:27], v[66:67], 0, v[42:43]
	global_load_dwordx2 v[10:11], v[10:11], off
	s_nop 0
	global_load_dwordx2 v[26:27], v[26:27], off
	s_or_b64 exec, exec, s[48:49]
	s_and_saveexec_b64 s[48:49], s[6:7]
	s_cbranch_execz .LBB42_35
.LBB42_46:                              ;   in Loop: Header=BB42_3 Depth=1
	v_lshl_add_u64 v[12:13], v[60:61], 0, v[42:43]
	v_lshl_add_u64 v[28:29], v[62:63], 0, v[42:43]
	global_load_dwordx2 v[12:13], v[12:13], off
	s_nop 0
	global_load_dwordx2 v[28:29], v[28:29], off
	s_or_b64 exec, exec, s[48:49]
	s_and_saveexec_b64 s[48:49], s[6:7]
	s_cbranch_execz .LBB42_36
.LBB42_47:                              ;   in Loop: Header=BB42_3 Depth=1
	v_lshl_add_u64 v[14:15], v[56:57], 0, v[42:43]
	v_lshl_add_u64 v[30:31], v[58:59], 0, v[42:43]
	global_load_dwordx2 v[14:15], v[14:15], off
	s_nop 0
	global_load_dwordx2 v[30:31], v[30:31], off
	s_or_b64 exec, exec, s[48:49]
	s_and_saveexec_b64 s[48:49], s[6:7]
	s_cbranch_execz .LBB42_37
.LBB42_48:                              ;   in Loop: Header=BB42_3 Depth=1
	v_lshl_add_u64 v[16:17], v[52:53], 0, v[42:43]
	v_lshl_add_u64 v[32:33], v[54:55], 0, v[42:43]
	global_load_dwordx2 v[16:17], v[16:17], off
	s_nop 0
	global_load_dwordx2 v[32:33], v[32:33], off
	s_or_b64 exec, exec, s[48:49]
	s_and_saveexec_b64 s[48:49], s[6:7]
	s_cbranch_execnz .LBB42_38
	s_branch .LBB42_39
.LBB42_49:
                                        ; implicit-def: $vgpr36_vgpr37
                                        ; implicit-def: $vgpr38_vgpr39
	s_branch .LBB42_51
.LBB42_50:
	s_cbranch_execnz .LBB42_82
.LBB42_51:
	v_mov_b64_e32 v[36:37], 0
	s_and_b64 vcc, exec, s[4:5]
	v_mov_b64_e32 v[38:39], 0
	s_cbranch_vccnz .LBB42_82
; %bb.52:
	v_mov_b32_e32 v2, 0
	v_bfe_u32 v1, v0, 10, 10
	v_lshlrev_b32_e32 v6, 6, v1
	v_mov_b32_e32 v7, v2
	v_lshl_add_u64 v[6:7], s[20:21], 3, v[6:7]
	v_lshl_add_u64 v[8:9], v[6:7], 0, 8
	v_mov_b64_e32 v[10:11], s[12:13]
	v_mov_b64_e32 v[22:23], s[14:15]
	v_lshlrev_b32_e32 v40, 3, v1
	v_mov_b32_e32 v41, v2
	v_mad_u64_u32 v[42:43], s[4:5], s10, v8, v[10:11]
	v_mul_lo_u32 v3, s10, v9
	v_mul_lo_u32 v9, s11, v8
	v_lshl_add_u64 v[12:13], v[6:7], 0, 16
	v_lshl_add_u64 v[14:15], v[6:7], 0, 24
	;; [unrolled: 1-line block ×5, first 2 shown]
	v_mad_u64_u32 v[52:53], s[4:5], s10, v8, v[22:23]
	v_lshl_add_u64 v[6:7], v[6:7], 0, 56
	v_lshl_add_u64 v[4:5], v[40:41], 0, s[20:21]
	v_add3_u32 v43, v9, v43, v3
	v_add3_u32 v53, v9, v53, v3
	v_mad_u64_u32 v[58:59], s[4:5], s10, v6, v[10:11]
	v_mul_lo_u32 v7, s10, v7
	v_mul_lo_u32 v9, s11, v6
	v_mad_u64_u32 v[68:69], s[4:5], s10, v6, v[22:23]
	v_mad_u64_u32 v[54:55], s[4:5], s10, v20, v[10:11]
	v_mul_lo_u32 v3, s10, v21
	v_mul_lo_u32 v8, s11, v20
	v_add3_u32 v59, v9, v59, v7
	v_mad_u64_u32 v[66:67], s[4:5], s10, v20, v[22:23]
	v_add3_u32 v69, v9, v69, v7
	v_lshl_add_u64 v[6:7], v[4:5], 0, 7
	v_add3_u32 v55, v8, v55, v3
	v_add3_u32 v67, v8, v67, v3
	v_mul_lo_u32 v3, s11, v6
	v_mul_lo_u32 v8, s10, v7
	v_mad_u64_u32 v[6:7], s[4:5], s10, v6, 0
	v_add3_u32 v7, v7, v8, v3
	v_lshl_add_u64 v[8:9], v[4:5], 0, 6
	v_mad_u64_u32 v[44:45], s[4:5], s10, v12, v[10:11]
	v_mad_u64_u32 v[46:47], s[4:5], s10, v14, v[10:11]
	v_mad_u64_u32 v[48:49], s[4:5], s10, v16, v[10:11]
	v_mad_u64_u32 v[50:51], s[4:5], s10, v18, v[10:11]
	v_mul_lo_u32 v3, s11, v8
	v_mul_lo_u32 v10, s10, v9
	v_mad_u64_u32 v[8:9], s[4:5], s10, v8, 0
	v_add3_u32 v9, v9, v10, v3
	v_lshl_add_u64 v[10:11], v[4:5], 0, 5
	v_mul_lo_u32 v13, s10, v13
	v_mul_lo_u32 v24, s11, v12
	v_mad_u64_u32 v[56:57], s[4:5], s10, v12, v[22:23]
	v_mul_lo_u32 v3, s11, v10
	v_mul_lo_u32 v12, s10, v11
	v_mad_u64_u32 v[10:11], s[4:5], s10, v10, 0
	v_add3_u32 v45, v24, v45, v13
	v_add3_u32 v57, v24, v57, v13
	v_add3_u32 v11, v11, v12, v3
	v_lshl_add_u64 v[12:13], v[4:5], 0, 4
	v_mul_lo_u32 v15, s10, v15
	v_mul_lo_u32 v25, s11, v14
	v_mad_u64_u32 v[60:61], s[4:5], s10, v14, v[22:23]
	v_mul_lo_u32 v3, s11, v12
	v_mul_lo_u32 v14, s10, v13
	v_mad_u64_u32 v[12:13], s[4:5], s10, v12, 0
	v_add3_u32 v47, v25, v47, v15
	v_add3_u32 v61, v25, v61, v15
	;; [unrolled: 10-line block ×4, first 2 shown]
	v_add3_u32 v17, v17, v18, v3
	v_mov_b64_e32 v[18:19], s[10:11]
	v_mad_u64_u32 v[18:19], s[4:5], s10, v4, v[18:19]
	v_mul_lo_u32 v3, s11, v4
	v_mul_lo_u32 v20, s10, v5
	v_mad_u64_u32 v[4:5], s[4:5], s10, v4, 0
	v_add3_u32 v5, v5, v20, v3
	s_load_dword s3, s[0:1], 0x44
	v_lshlrev_b64 v[4:5], 3, v[4:5]
	v_lshl_add_u64 v[72:73], s[12:13], 0, v[4:5]
	v_lshl_add_u64 v[74:75], s[14:15], 0, v[4:5]
	v_lshlrev_b64 v[4:5], 3, v[6:7]
	v_lshl_add_u64 v[76:77], s[12:13], 0, v[4:5]
	v_lshl_add_u64 v[78:79], s[14:15], 0, v[4:5]
	v_lshlrev_b64 v[4:5], 3, v[8:9]
	s_add_u32 s4, s0, 64
	v_lshl_add_u64 v[80:81], s[12:13], 0, v[4:5]
	v_lshl_add_u64 v[82:83], s[14:15], 0, v[4:5]
	v_lshlrev_b64 v[4:5], 3, v[10:11]
	s_addc_u32 s5, s1, 0
	s_waitcnt lgkmcnt(0)
	s_lshl_b32 s3, s3, 6
	v_lshl_add_u64 v[84:85], s[12:13], 0, v[4:5]
	v_lshl_add_u64 v[86:87], s[14:15], 0, v[4:5]
	v_lshlrev_b64 v[4:5], 3, v[12:13]
	s_mul_i32 s6, s11, s3
	s_mul_hi_u32 s7, s10, s3
	v_lshl_add_u64 v[88:89], s[12:13], 0, v[4:5]
	v_lshl_add_u64 v[90:91], s[14:15], 0, v[4:5]
	v_lshlrev_b64 v[4:5], 3, v[14:15]
	v_add3_u32 v19, v3, v19, v20
	s_add_i32 s7, s7, s6
	s_mul_i32 s6, s10, s3
	v_lshl_add_u64 v[92:93], s[12:13], 0, v[4:5]
	v_lshl_add_u64 v[94:95], s[14:15], 0, v[4:5]
	v_lshlrev_b64 v[4:5], 3, v[16:17]
	v_mbcnt_lo_u32_b32 v3, -1, 0
	v_and_b32_e32 v110, 0x3ff, v0
	s_lshl_b64 s[6:7], s[6:7], 3
	v_lshl_add_u64 v[96:97], s[12:13], 0, v[4:5]
	v_lshl_add_u64 v[98:99], s[14:15], 0, v[4:5]
	v_lshlrev_b64 v[4:5], 3, v[18:19]
	v_mbcnt_hi_u32_b32 v3, -1, v3
	v_add_u32_e32 v20, s33, v110
	v_mov_b32_e32 v21, v2
	s_add_u32 s22, s20, 63
	v_lshl_add_u64 v[100:101], s[12:13], 0, v[4:5]
	v_lshl_add_u64 v[102:103], s[14:15], 0, v[4:5]
	s_movk_i32 s12, 0xffc1
	s_movk_i32 s14, 0xffc2
	;; [unrolled: 1-line block ×8, first 2 shown]
	v_lshlrev_b32_e32 v3, 2, v3
	v_lshlrev_b64 v[70:71], 3, v[20:21]
	s_addc_u32 s23, 0, 0
	s_mov_b32 s13, -1
	s_mov_b32 s15, -1
	;; [unrolled: 1-line block ×8, first 2 shown]
	v_and_b32_e32 v111, 0x100, v3
	v_mov_b64_e32 v[38:39], 0
	v_mov_b64_e32 v[36:37], 0
	s_branch .LBB42_56
.LBB42_53:                              ;   in Loop: Header=BB42_56 Depth=1
	s_or_b64 exec, exec, s[40:41]
.LBB42_54:                              ;   in Loop: Header=BB42_56 Depth=1
	s_or_b64 exec, exec, s[38:39]
	v_lshl_add_u64 v[10:11], v[52:53], 0, v[70:71]
	v_lshl_add_u64 v[8:9], v[74:75], 0, v[70:71]
	global_load_dwordx2 v[10:11], v[10:11], off
	v_lshl_add_u64 v[18:19], v[72:73], 0, v[70:71]
	global_load_dwordx2 v[8:9], v[8:9], off
	;; [unrolled: 2-line block ×7, first 2 shown]
	global_load_dwordx2 v[26:27], v[22:23], off
	v_lshl_add_u64 v[30:31], v[64:65], 0, v[70:71]
	s_waitcnt vmcnt(9)
	ds_bpermute_b32 v104, v111, v6 offset:4
	ds_bpermute_b32 v105, v111, v7 offset:4
	global_load_dwordx2 v[30:31], v[30:31], off
	ds_bpermute_b32 v34, v111, v6
	ds_bpermute_b32 v35, v111, v7
	v_lshl_add_u64 v[20:21], v[46:47], 0, v[70:71]
	global_load_dwordx2 v[20:21], v[20:21], off
	v_lshl_add_u64 v[118:119], v[66:67], 0, v[70:71]
	v_lshl_add_u64 v[22:23], v[48:49], 0, v[70:71]
	global_load_dwordx2 v[118:119], v[118:119], off
	v_lshl_add_u64 v[28:29], v[50:51], 0, v[70:71]
	v_lshl_add_u64 v[32:33], v[54:55], 0, v[70:71]
	global_load_dwordx2 v[120:121], v[22:23], off
	global_load_dwordx2 v[122:123], v[28:29], off
	;; [unrolled: 1-line block ×3, first 2 shown]
	ds_bpermute_b32 v106, v111, v6 offset:8
	ds_bpermute_b32 v107, v111, v7 offset:8
	;; [unrolled: 1-line block ×12, first 2 shown]
	s_waitcnt vmcnt(13) lgkmcnt(14)
	v_add_f64 v[10:11], v[10:11], -v[104:105]
	v_lshl_add_u64 v[104:105], v[68:69], 0, v[70:71]
	s_waitcnt vmcnt(12) lgkmcnt(12)
	v_add_f64 v[8:9], v[8:9], -v[34:35]
	v_lshl_add_u64 v[34:35], v[58:59], 0, v[70:71]
	global_load_dwordx2 v[22:23], v[104:105], off
	s_waitcnt vmcnt(12)
	v_add_f64 v[28:29], v[36:37], v[18:19]
	v_mul_f64 v[8:9], v[18:19], v[8:9]
	global_load_dwordx2 v[18:19], v[34:35], off
	s_waitcnt vmcnt(12) lgkmcnt(10)
	v_add_f64 v[12:13], v[12:13], -v[106:107]
	ds_bpermute_b32 v106, v111, v4
	ds_bpermute_b32 v107, v111, v5
	s_waitcnt vmcnt(11) lgkmcnt(10)
	v_add_f64 v[14:15], v[14:15], -v[108:109]
	ds_bpermute_b32 v108, v111, v4 offset:4
	ds_bpermute_b32 v109, v111, v5 offset:4
	s_waitcnt vmcnt(10) lgkmcnt(10)
	v_add_f64 v[16:17], v[16:17], -v[112:113]
	ds_bpermute_b32 v112, v111, v4 offset:8
	ds_bpermute_b32 v113, v111, v5 offset:8
	s_waitcnt vmcnt(9)
	v_mul_f64 v[10:11], v[24:25], v[10:11]
	s_waitcnt lgkmcnt(4)
	v_fmac_f64_e32 v[38:39], v[8:9], v[106:107]
	s_waitcnt lgkmcnt(2)
	v_fmac_f64_e32 v[38:39], v[10:11], v[108:109]
	ds_bpermute_b32 v10, v111, v4 offset:12
	ds_bpermute_b32 v11, v111, v5 offset:12
	s_waitcnt vmcnt(7)
	v_add_f64 v[8:9], v[30:31], -v[114:115]
	ds_bpermute_b32 v30, v111, v4 offset:16
	ds_bpermute_b32 v31, v111, v5 offset:16
	v_add_f64 v[24:25], v[28:29], v[24:25]
	ds_bpermute_b32 v28, v111, v4 offset:20
	ds_bpermute_b32 v29, v111, v5 offset:20
	v_mul_f64 v[12:13], v[26:27], v[12:13]
	v_add_f64 v[24:25], v[24:25], v[26:27]
	ds_bpermute_b32 v26, v111, v4 offset:24
	ds_bpermute_b32 v27, v111, v5 offset:24
	s_waitcnt lgkmcnt(8)
	v_fmac_f64_e32 v[38:39], v[12:13], v[112:113]
	s_waitcnt vmcnt(6)
	v_mul_f64 v[14:15], v[20:21], v[14:15]
	v_add_f64 v[20:21], v[24:25], v[20:21]
	ds_bpermute_b32 v24, v111, v4 offset:28
	ds_bpermute_b32 v25, v111, v5 offset:28
	s_waitcnt vmcnt(4)
	v_mul_f64 v[16:17], v[120:121], v[16:17]
	s_waitcnt lgkmcnt(8)
	v_fmac_f64_e32 v[38:39], v[14:15], v[10:11]
	v_add_f64 v[12:13], v[118:119], -v[116:117]
	s_waitcnt vmcnt(3)
	v_mul_f64 v[8:9], v[122:123], v[8:9]
	s_waitcnt lgkmcnt(6)
	v_fmac_f64_e32 v[38:39], v[16:17], v[30:31]
	s_waitcnt vmcnt(2)
	v_mul_f64 v[12:13], v[124:125], v[12:13]
	v_add_f64 v[20:21], v[20:21], v[120:121]
	s_waitcnt lgkmcnt(4)
	v_fmac_f64_e32 v[38:39], v[8:9], v[28:29]
	v_add_f64 v[10:11], v[20:21], v[122:123]
	s_waitcnt lgkmcnt(2)
	v_fmac_f64_e32 v[38:39], v[12:13], v[26:27]
	v_add_f64 v[4:5], v[10:11], v[124:125]
	v_mov_b64_e32 v[20:21], v[38:39]
	s_waitcnt vmcnt(1)
	v_add_f64 v[6:7], v[22:23], -v[6:7]
	s_waitcnt vmcnt(0)
	v_mul_f64 v[6:7], v[18:19], v[6:7]
	s_waitcnt lgkmcnt(0)
	v_mul_f64 v[6:7], v[6:7], v[24:25]
.LBB42_55:                              ;   in Loop: Header=BB42_56 Depth=1
	s_add_u32 s20, s20, s3
	v_add_f64 v[36:37], v[4:5], v[18:19]
	s_addc_u32 s21, s21, 0
	v_mov_b64_e32 v[4:5], s[8:9]
	s_add_u32 s22, s22, s3
	v_cmp_ge_i64_e32 vcc, s[20:21], v[4:5]
	v_add_f64 v[38:39], v[20:21], v[6:7]
	v_lshl_add_u64 v[72:73], v[72:73], 0, s[6:7]
	v_lshl_add_u64 v[74:75], v[74:75], 0, s[6:7]
	s_addc_u32 s23, s23, 0
	v_lshl_add_u64 v[42:43], v[42:43], 0, s[6:7]
	v_lshl_add_u64 v[44:45], v[44:45], 0, s[6:7]
	;; [unrolled: 1-line block ×28, first 2 shown]
	s_cbranch_vccnz .LBB42_82
.LBB42_56:                              ; =>This Inner Loop Header: Depth=1
	v_mov_b64_e32 v[4:5], s[8:9]
	v_cmp_ge_i64_e32 vcc, s[22:23], v[4:5]
	v_lshl_add_u64 v[104:105], v[40:41], 0, s[22:23]
	s_mov_b64 s[38:39], -1
	s_and_b64 vcc, exec, vcc
                                        ; implicit-def: $vgpr18_vgpr19
                                        ; implicit-def: $vgpr6_vgpr7
                                        ; implicit-def: $vgpr4_vgpr5
                                        ; implicit-def: $vgpr20_vgpr21
	s_cbranch_vccz .LBB42_78
; %bb.57:                               ;   in Loop: Header=BB42_56 Depth=1
	s_load_dword s33, s[4:5], 0xc
	v_mov_b64_e32 v[106:107], 0
	v_mov_b64_e32 v[108:109], 0
	s_waitcnt lgkmcnt(0)
	s_and_b32 s33, s33, 0xffff
	v_mad_u32_u24 v3, v1, s33, v110
	v_and_b32_e32 v4, 63, v3
	v_cmp_gt_u32_e32 vcc, 8, v4
	s_and_saveexec_b64 s[38:39], vcc
	s_cbranch_execz .LBB42_61
; %bb.58:                               ;   in Loop: Header=BB42_56 Depth=1
	v_mov_b32_e32 v5, v2
	v_lshl_add_u64 v[4:5], v[104:105], 0, v[4:5]
	v_lshl_add_u64 v[4:5], v[4:5], 0, s[12:13]
	v_cmp_gt_i64_e32 vcc, s[8:9], v[4:5]
	v_mov_b64_e32 v[108:109], 0
	v_mov_b64_e32 v[106:107], 0
	s_and_saveexec_b64 s[40:41], vcc
	s_cbranch_execz .LBB42_60
; %bb.59:                               ;   in Loop: Header=BB42_56 Depth=1
	v_lshlrev_b64 v[4:5], 3, v[4:5]
	v_lshl_add_u64 v[6:7], s[18:19], 0, v[4:5]
	v_lshl_add_u64 v[4:5], s[16:17], 0, v[4:5]
	global_load_dwordx2 v[108:109], v[4:5], off
	global_load_dwordx2 v[106:107], v[6:7], off
.LBB42_60:                              ;   in Loop: Header=BB42_56 Depth=1
	s_or_b64 exec, exec, s[40:41]
.LBB42_61:                              ;   in Loop: Header=BB42_56 Depth=1
	s_or_b64 exec, exec, s[38:39]
	v_lshl_add_u64 v[4:5], v[104:105], 0, s[12:13]
	v_mov_b32_e32 v16, v2
	v_mov_b32_e32 v17, v2
	v_cmp_gt_i64_e32 vcc, s[8:9], v[4:5]
	v_mov_b32_e32 v3, v2
	v_mov_b32_e32 v4, v2
	;; [unrolled: 1-line block ×13, first 2 shown]
	v_mov_b64_e32 v[34:35], v[16:17]
	v_mov_b64_e32 v[32:33], v[14:15]
	;; [unrolled: 1-line block ×16, first 2 shown]
	s_and_saveexec_b64 s[38:39], vcc
	s_cbranch_execz .LBB42_63
; %bb.62:                               ;   in Loop: Header=BB42_56 Depth=1
	v_lshl_add_u64 v[4:5], v[72:73], 0, v[70:71]
	v_lshl_add_u64 v[6:7], v[74:75], 0, v[70:71]
	global_load_dwordx2 v[4:5], v[4:5], off
	v_mov_b32_e32 v8, v2
	global_load_dwordx2 v[20:21], v[6:7], off
	v_mov_b32_e32 v6, v2
	v_mov_b32_e32 v7, v2
	;; [unrolled: 1-line block ×27, first 2 shown]
.LBB42_63:                              ;   in Loop: Header=BB42_56 Depth=1
	s_or_b64 exec, exec, s[38:39]
	v_lshl_add_u64 v[112:113], v[104:105], 0, s[14:15]
	v_cmp_gt_i64_e32 vcc, s[8:9], v[112:113]
	s_and_saveexec_b64 s[38:39], vcc
	s_cbranch_execz .LBB42_65
; %bb.64:                               ;   in Loop: Header=BB42_56 Depth=1
	v_lshl_add_u64 v[6:7], v[100:101], 0, v[70:71]
	v_lshl_add_u64 v[22:23], v[102:103], 0, v[70:71]
	global_load_dwordx2 v[6:7], v[6:7], off
	s_nop 0
	global_load_dwordx2 v[22:23], v[22:23], off
.LBB42_65:                              ;   in Loop: Header=BB42_56 Depth=1
	s_or_b64 exec, exec, s[38:39]
	v_lshl_add_u64 v[112:113], v[104:105], 0, s[24:25]
	v_cmp_gt_i64_e32 vcc, s[8:9], v[112:113]
	s_and_saveexec_b64 s[38:39], vcc
	s_cbranch_execz .LBB42_67
; %bb.66:                               ;   in Loop: Header=BB42_56 Depth=1
	v_lshl_add_u64 v[8:9], v[96:97], 0, v[70:71]
	v_lshl_add_u64 v[24:25], v[98:99], 0, v[70:71]
	global_load_dwordx2 v[8:9], v[8:9], off
	s_nop 0
	global_load_dwordx2 v[24:25], v[24:25], off
.LBB42_67:                              ;   in Loop: Header=BB42_56 Depth=1
	;; [unrolled: 12-line block ×7, first 2 shown]
	s_or_b64 exec, exec, s[38:39]
	s_waitcnt vmcnt(1)
	ds_bpermute_b32 v112, v111, v108
	ds_bpermute_b32 v113, v111, v109
	s_waitcnt vmcnt(0)
	ds_bpermute_b32 v114, v111, v106
	ds_bpermute_b32 v115, v111, v107
	ds_bpermute_b32 v116, v111, v108 offset:4
	ds_bpermute_b32 v117, v111, v109 offset:4
	s_waitcnt lgkmcnt(4)
	v_add_f64 v[20:21], v[20:21], -v[112:113]
	v_mul_f64 v[20:21], v[4:5], v[20:21]
	s_waitcnt lgkmcnt(2)
	v_fma_f64 v[20:21], v[20:21], v[114:115], v[38:39]
	ds_bpermute_b32 v112, v111, v106 offset:4
	ds_bpermute_b32 v113, v111, v107 offset:4
	ds_bpermute_b32 v114, v111, v108 offset:8
	ds_bpermute_b32 v115, v111, v109 offset:8
	v_add_f64 v[4:5], v[36:37], v[4:5]
	s_waitcnt lgkmcnt(4)
	v_add_f64 v[22:23], v[22:23], -v[116:117]
	v_mul_f64 v[22:23], v[6:7], v[22:23]
	v_add_f64 v[4:5], v[6:7], v[4:5]
	ds_bpermute_b32 v6, v111, v106 offset:8
	ds_bpermute_b32 v7, v111, v107 offset:8
	s_waitcnt lgkmcnt(4)
	v_fmac_f64_e32 v[20:21], v[22:23], v[112:113]
	s_waitcnt lgkmcnt(2)
	v_add_f64 v[22:23], v[24:25], -v[114:115]
	ds_bpermute_b32 v24, v111, v108 offset:12
	ds_bpermute_b32 v25, v111, v109 offset:12
	v_mul_f64 v[22:23], v[8:9], v[22:23]
	s_waitcnt lgkmcnt(2)
	v_fmac_f64_e32 v[20:21], v[22:23], v[6:7]
	ds_bpermute_b32 v6, v111, v106 offset:12
	ds_bpermute_b32 v7, v111, v107 offset:12
	v_add_f64 v[4:5], v[8:9], v[4:5]
	s_waitcnt lgkmcnt(2)
	v_add_f64 v[8:9], v[26:27], -v[24:25]
	ds_bpermute_b32 v22, v111, v108 offset:16
	ds_bpermute_b32 v23, v111, v109 offset:16
	v_mul_f64 v[8:9], v[10:11], v[8:9]
	s_waitcnt lgkmcnt(2)
	v_fmac_f64_e32 v[20:21], v[8:9], v[6:7]
	v_add_f64 v[4:5], v[10:11], v[4:5]
	ds_bpermute_b32 v6, v111, v106 offset:16
	ds_bpermute_b32 v7, v111, v107 offset:16
	;; [unrolled: 1-line block ×4, first 2 shown]
	s_waitcnt lgkmcnt(4)
	v_add_f64 v[8:9], v[28:29], -v[22:23]
	v_mul_f64 v[8:9], v[12:13], v[8:9]
	s_waitcnt lgkmcnt(2)
	v_fmac_f64_e32 v[20:21], v[8:9], v[6:7]
	ds_bpermute_b32 v6, v111, v106 offset:20
	ds_bpermute_b32 v7, v111, v107 offset:20
	s_waitcnt lgkmcnt(2)
	v_add_f64 v[8:9], v[30:31], -v[10:11]
	ds_bpermute_b32 v10, v111, v108 offset:24
	ds_bpermute_b32 v11, v111, v109 offset:24
	v_mul_f64 v[8:9], v[14:15], v[8:9]
	s_waitcnt lgkmcnt(2)
	v_fmac_f64_e32 v[20:21], v[8:9], v[6:7]
	ds_bpermute_b32 v6, v111, v106 offset:24
	ds_bpermute_b32 v7, v111, v107 offset:24
	s_waitcnt lgkmcnt(2)
	v_add_f64 v[8:9], v[32:33], -v[10:11]
	ds_bpermute_b32 v10, v111, v108 offset:28
	ds_bpermute_b32 v11, v111, v109 offset:28
	v_add_f64 v[4:5], v[12:13], v[4:5]
	ds_bpermute_b32 v12, v111, v106 offset:28
	ds_bpermute_b32 v13, v111, v107 offset:28
	v_mul_f64 v[8:9], v[16:17], v[8:9]
	s_waitcnt lgkmcnt(4)
	v_fmac_f64_e32 v[20:21], v[8:9], v[6:7]
	s_waitcnt lgkmcnt(2)
	v_add_f64 v[6:7], v[34:35], -v[10:11]
	v_add_f64 v[4:5], v[14:15], v[4:5]
	v_mul_f64 v[6:7], v[18:19], v[6:7]
	v_add_f64 v[4:5], v[16:17], v[4:5]
	s_waitcnt lgkmcnt(0)
	v_mul_f64 v[6:7], v[6:7], v[12:13]
	s_mov_b64 s[38:39], 0
.LBB42_78:                              ;   in Loop: Header=BB42_56 Depth=1
	s_and_b64 vcc, exec, s[38:39]
	s_cbranch_vccz .LBB42_55
; %bb.79:                               ;   in Loop: Header=BB42_56 Depth=1
	s_load_dword s33, s[4:5], 0x0
	v_mov_b64_e32 v[4:5], 0
	v_mov_b64_e32 v[6:7], 0
	s_waitcnt lgkmcnt(0)
	s_cmp_lt_u32 s2, s33
	s_cselect_b32 s33, 12, 18
	s_add_u32 s38, s4, s33
	s_addc_u32 s39, s5, 0
	global_load_ushort v3, v2, s[38:39]
	s_waitcnt vmcnt(0)
	v_mad_u32_u24 v3, v1, v3, v110
	v_and_b32_e32 v8, 63, v3
	v_cmp_gt_u32_e32 vcc, 8, v8
	s_and_saveexec_b64 s[38:39], vcc
	s_cbranch_execz .LBB42_54
; %bb.80:                               ;   in Loop: Header=BB42_56 Depth=1
	v_mov_b32_e32 v9, v2
	v_lshl_add_u64 v[4:5], v[104:105], 0, v[8:9]
	v_lshl_add_u64 v[8:9], v[4:5], 0, s[12:13]
	v_cmp_gt_i64_e32 vcc, s[8:9], v[8:9]
	v_mov_b64_e32 v[6:7], 0
	v_mov_b64_e32 v[4:5], 0
	s_and_saveexec_b64 s[40:41], vcc
	s_cbranch_execz .LBB42_53
; %bb.81:                               ;   in Loop: Header=BB42_56 Depth=1
	v_lshlrev_b64 v[4:5], 3, v[8:9]
	v_lshl_add_u64 v[10:11], s[16:17], 0, v[4:5]
	v_lshl_add_u64 v[8:9], s[18:19], 0, v[4:5]
	global_load_dwordx2 v[6:7], v[10:11], off
	global_load_dwordx2 v[4:5], v[8:9], off
	s_branch .LBB42_53
.LBB42_82:
	v_and_b32_e32 v1, 0x3ff, v0
	v_bfe_u32 v0, v0, 10, 10
	v_mad_u32_u24 v2, v0, 33, v1
	v_sub_u32_e32 v9, v2, v0
	s_movk_i32 s3, 0x800
	v_lshl_add_u32 v3, v2, 3, 0
	v_cmp_gt_u32_e32 vcc, s3, v9
	ds_write_b64 v3, v[38:39]
	ds_write_b64 v3, v[36:37] offset:2112
	s_waitcnt lgkmcnt(0)
	s_barrier
	s_and_saveexec_b64 s[4:5], vcc
	s_cbranch_execz .LBB42_146
; %bb.83:
	s_load_dwordx4 s[4:7], s[0:1], 0x30
	v_and_b32_e32 v2, 63, v9
	v_lshrrev_b32_e32 v0, 6, v9
	v_cmp_gt_u32_e64 s[0:1], 8, v2
	v_mul_u32_u24_e32 v8, 33, v2
                                        ; implicit-def: $vgpr2_vgpr3
                                        ; implicit-def: $vgpr4_vgpr5
	s_and_saveexec_b64 s[8:9], s[0:1]
	s_cbranch_execz .LBB42_85
; %bb.84:
	v_add_u32_e32 v2, v0, v8
	v_lshl_add_u32 v2, v2, 3, 0
	ds_read_b64 v[4:5], v2
	ds_read_b64 v[2:3], v2 offset:2112
.LBB42_85:
	s_or_b64 exec, exec, s[8:9]
	v_mbcnt_lo_u32_b32 v6, -1, 0
	v_mbcnt_hi_u32_b32 v14, -1, v6
	v_and_b32_e32 v6, 64, v14
	v_add_u32_e32 v15, 64, v6
	v_xor_b32_e32 v6, 4, v14
	v_cmp_lt_i32_e32 vcc, v6, v15
	s_mov_b32 s3, 0
	s_lshl_b64 s[8:9], s[2:3], 5
	v_cndmask_b32_e32 v6, v14, v6, vcc
	v_lshlrev_b32_e32 v10, 2, v6
	s_waitcnt lgkmcnt(0)
	ds_bpermute_b32 v6, v10, v4
	ds_bpermute_b32 v7, v10, v5
	;; [unrolled: 1-line block ×4, first 2 shown]
	v_cmp_eq_u32_e64 s[2:3], 0, v1
	v_xor_b32_e32 v1, 1, v14
	s_waitcnt lgkmcnt(2)
	v_add_f64 v[4:5], v[4:5], v[6:7]
	v_xor_b32_e32 v6, 2, v14
	v_cmp_lt_i32_e32 vcc, v6, v15
	s_waitcnt lgkmcnt(0)
	v_add_f64 v[2:3], v[2:3], v[12:13]
	s_cmp_lg_u64 s[4:5], 0
	v_cndmask_b32_e32 v6, v14, v6, vcc
	v_lshlrev_b32_e32 v11, 2, v6
	ds_bpermute_b32 v6, v11, v4
	ds_bpermute_b32 v7, v11, v5
	;; [unrolled: 1-line block ×4, first 2 shown]
	v_cmp_lt_i32_e32 vcc, v1, v15
	s_cselect_b64 s[14:15], -1, 0
	s_waitcnt lgkmcnt(2)
	v_add_f64 v[4:5], v[4:5], v[6:7]
	v_cndmask_b32_e32 v1, v14, v1, vcc
	s_waitcnt lgkmcnt(0)
	v_add_f64 v[6:7], v[2:3], v[12:13]
	v_lshlrev_b32_e32 v12, 2, v1
	ds_bpermute_b32 v2, v12, v4
	ds_bpermute_b32 v3, v12, v5
	;; [unrolled: 1-line block ×4, first 2 shown]
	s_cmp_lg_u64 s[6:7], 0
	s_cselect_b64 s[12:13], -1, 0
	s_waitcnt lgkmcnt(2)
	v_add_f64 v[2:3], v[4:5], v[2:3]
	v_mov_b32_e32 v1, 0
	s_waitcnt lgkmcnt(0)
	v_add_f64 v[4:5], v[6:7], v[14:15]
	v_or_b32_e32 v6, s8, v0
	v_mov_b32_e32 v7, s9
	v_cmp_gt_i64_e32 vcc, s[10:11], v[6:7]
	s_and_b64 s[18:19], s[2:3], vcc
	s_and_saveexec_b64 s[16:17], s[18:19]
	s_cbranch_execz .LBB42_90
; %bb.86:
	s_andn2_b64 vcc, exec, s[14:15]
	s_cbranch_vccnz .LBB42_88
; %bb.87:
	v_lshl_add_u64 v[14:15], v[6:7], 3, s[4:5]
	global_store_dwordx2 v[14:15], v[2:3], off
.LBB42_88:
	s_andn2_b64 vcc, exec, s[12:13]
	s_cbranch_vccnz .LBB42_90
; %bb.89:
	v_lshl_add_u64 v[6:7], v[6:7], 3, s[6:7]
	global_store_dwordx2 v[6:7], v[4:5], off
.LBB42_90:
	s_or_b64 exec, exec, s[16:17]
	s_movk_i32 s16, 0x700
	v_cmp_gt_u32_e32 vcc, s16, v9
	s_and_b64 exec, exec, vcc
	s_cbranch_execz .LBB42_146
; %bb.91:
	s_and_saveexec_b64 s[16:17], s[0:1]
	s_cbranch_execz .LBB42_93
; %bb.92:
	v_add_u32_e32 v2, v0, v8
	v_lshl_add_u32 v4, v2, 3, 0
	ds_read_b64 v[2:3], v4 offset:32
	ds_read_b64 v[4:5], v4 offset:2144
.LBB42_93:
	s_or_b64 exec, exec, s[16:17]
	s_waitcnt lgkmcnt(1)
	ds_bpermute_b32 v6, v10, v2
	ds_bpermute_b32 v7, v10, v3
	s_waitcnt lgkmcnt(2)
	ds_bpermute_b32 v14, v10, v4
	ds_bpermute_b32 v15, v10, v5
	v_add_u32_e32 v16, 4, v0
	v_mov_b32_e32 v17, 0
	s_waitcnt lgkmcnt(2)
	v_add_f64 v[2:3], v[2:3], v[6:7]
	ds_bpermute_b32 v6, v11, v2
	ds_bpermute_b32 v7, v11, v3
	s_waitcnt lgkmcnt(2)
	v_add_f64 v[4:5], v[4:5], v[14:15]
	ds_bpermute_b32 v14, v11, v4
	ds_bpermute_b32 v15, v11, v5
	s_waitcnt lgkmcnt(2)
	v_add_f64 v[2:3], v[2:3], v[6:7]
	ds_bpermute_b32 v6, v12, v2
	ds_bpermute_b32 v7, v12, v3
	s_waitcnt lgkmcnt(2)
	v_add_f64 v[4:5], v[4:5], v[14:15]
	ds_bpermute_b32 v14, v12, v4
	ds_bpermute_b32 v15, v12, v5
	s_waitcnt lgkmcnt(2)
	v_add_f64 v[2:3], v[2:3], v[6:7]
	v_lshl_add_u64 v[6:7], s[8:9], 0, v[16:17]
	v_cmp_gt_i64_e32 vcc, s[10:11], v[6:7]
	s_waitcnt lgkmcnt(0)
	v_add_f64 v[4:5], v[4:5], v[14:15]
	s_and_b64 s[18:19], s[2:3], vcc
	s_and_saveexec_b64 s[16:17], s[18:19]
	s_cbranch_execz .LBB42_98
; %bb.94:
	s_andn2_b64 vcc, exec, s[14:15]
	s_cbranch_vccnz .LBB42_96
; %bb.95:
	v_lshl_add_u64 v[6:7], s[8:9], 0, v[0:1]
	v_lshl_add_u64 v[6:7], v[6:7], 3, s[4:5]
	global_store_dwordx2 v[6:7], v[2:3], off offset:32
.LBB42_96:
	s_andn2_b64 vcc, exec, s[12:13]
	s_cbranch_vccnz .LBB42_98
; %bb.97:
	v_lshl_add_u64 v[6:7], s[8:9], 0, v[0:1]
	v_lshl_add_u64 v[6:7], v[6:7], 3, s[6:7]
	global_store_dwordx2 v[6:7], v[4:5], off offset:32
.LBB42_98:
	s_or_b64 exec, exec, s[16:17]
	s_movk_i32 s16, 0x600
	v_cmp_gt_u32_e32 vcc, s16, v9
	s_and_b64 exec, exec, vcc
	s_cbranch_execz .LBB42_146
; %bb.99:
	s_and_saveexec_b64 s[16:17], s[0:1]
	s_cbranch_execz .LBB42_101
; %bb.100:
	v_add_u32_e32 v2, v0, v8
	v_lshl_add_u32 v4, v2, 3, 0
	ds_read_b64 v[2:3], v4 offset:64
	ds_read_b64 v[4:5], v4 offset:2176
.LBB42_101:
	s_or_b64 exec, exec, s[16:17]
	s_waitcnt lgkmcnt(1)
	ds_bpermute_b32 v6, v10, v2
	ds_bpermute_b32 v7, v10, v3
	s_waitcnt lgkmcnt(2)
	ds_bpermute_b32 v14, v10, v4
	ds_bpermute_b32 v15, v10, v5
	v_add_u32_e32 v16, 8, v0
	v_mov_b32_e32 v17, 0
	s_waitcnt lgkmcnt(2)
	v_add_f64 v[2:3], v[2:3], v[6:7]
	ds_bpermute_b32 v6, v11, v2
	ds_bpermute_b32 v7, v11, v3
	s_waitcnt lgkmcnt(2)
	v_add_f64 v[4:5], v[4:5], v[14:15]
	ds_bpermute_b32 v14, v11, v4
	ds_bpermute_b32 v15, v11, v5
	s_waitcnt lgkmcnt(2)
	v_add_f64 v[2:3], v[2:3], v[6:7]
	ds_bpermute_b32 v6, v12, v2
	ds_bpermute_b32 v7, v12, v3
	s_waitcnt lgkmcnt(2)
	v_add_f64 v[4:5], v[4:5], v[14:15]
	ds_bpermute_b32 v14, v12, v4
	ds_bpermute_b32 v15, v12, v5
	s_waitcnt lgkmcnt(2)
	v_add_f64 v[2:3], v[2:3], v[6:7]
	v_lshl_add_u64 v[6:7], s[8:9], 0, v[16:17]
	v_cmp_gt_i64_e32 vcc, s[10:11], v[6:7]
	s_waitcnt lgkmcnt(0)
	v_add_f64 v[4:5], v[4:5], v[14:15]
	s_and_b64 s[18:19], s[2:3], vcc
	s_and_saveexec_b64 s[16:17], s[18:19]
	s_cbranch_execz .LBB42_106
; %bb.102:
	s_andn2_b64 vcc, exec, s[14:15]
	s_cbranch_vccnz .LBB42_104
; %bb.103:
	v_lshl_add_u64 v[6:7], s[8:9], 0, v[0:1]
	v_lshl_add_u64 v[6:7], v[6:7], 3, s[4:5]
	global_store_dwordx2 v[6:7], v[2:3], off offset:64
.LBB42_104:
	s_andn2_b64 vcc, exec, s[12:13]
	s_cbranch_vccnz .LBB42_106
; %bb.105:
	v_lshl_add_u64 v[6:7], s[8:9], 0, v[0:1]
	v_lshl_add_u64 v[6:7], v[6:7], 3, s[6:7]
	global_store_dwordx2 v[6:7], v[4:5], off offset:64
.LBB42_106:
	s_or_b64 exec, exec, s[16:17]
	s_movk_i32 s16, 0x500
	v_cmp_gt_u32_e32 vcc, s16, v9
	s_and_b64 exec, exec, vcc
	s_cbranch_execz .LBB42_146
; %bb.107:
	s_and_saveexec_b64 s[16:17], s[0:1]
	s_cbranch_execz .LBB42_109
; %bb.108:
	v_add_u32_e32 v2, v0, v8
	v_lshl_add_u32 v4, v2, 3, 0
	ds_read_b64 v[2:3], v4 offset:96
	ds_read_b64 v[4:5], v4 offset:2208
.LBB42_109:
	s_or_b64 exec, exec, s[16:17]
	s_waitcnt lgkmcnt(1)
	ds_bpermute_b32 v6, v10, v2
	ds_bpermute_b32 v7, v10, v3
	s_waitcnt lgkmcnt(2)
	ds_bpermute_b32 v14, v10, v4
	ds_bpermute_b32 v15, v10, v5
	v_add_u32_e32 v16, 12, v0
	v_mov_b32_e32 v17, 0
	s_waitcnt lgkmcnt(2)
	v_add_f64 v[2:3], v[2:3], v[6:7]
	ds_bpermute_b32 v6, v11, v2
	ds_bpermute_b32 v7, v11, v3
	s_waitcnt lgkmcnt(2)
	v_add_f64 v[4:5], v[4:5], v[14:15]
	ds_bpermute_b32 v14, v11, v4
	ds_bpermute_b32 v15, v11, v5
	s_waitcnt lgkmcnt(2)
	v_add_f64 v[2:3], v[2:3], v[6:7]
	ds_bpermute_b32 v6, v12, v2
	ds_bpermute_b32 v7, v12, v3
	s_waitcnt lgkmcnt(2)
	v_add_f64 v[4:5], v[4:5], v[14:15]
	ds_bpermute_b32 v14, v12, v4
	ds_bpermute_b32 v15, v12, v5
	s_waitcnt lgkmcnt(2)
	v_add_f64 v[2:3], v[2:3], v[6:7]
	v_lshl_add_u64 v[6:7], s[8:9], 0, v[16:17]
	v_cmp_gt_i64_e32 vcc, s[10:11], v[6:7]
	s_waitcnt lgkmcnt(0)
	v_add_f64 v[4:5], v[4:5], v[14:15]
	s_and_b64 s[18:19], s[2:3], vcc
	s_and_saveexec_b64 s[16:17], s[18:19]
	s_cbranch_execz .LBB42_114
; %bb.110:
	s_andn2_b64 vcc, exec, s[14:15]
	s_cbranch_vccnz .LBB42_112
; %bb.111:
	v_lshl_add_u64 v[6:7], s[8:9], 0, v[0:1]
	v_lshl_add_u64 v[6:7], v[6:7], 3, s[4:5]
	global_store_dwordx2 v[6:7], v[2:3], off offset:96
.LBB42_112:
	s_andn2_b64 vcc, exec, s[12:13]
	s_cbranch_vccnz .LBB42_114
; %bb.113:
	v_lshl_add_u64 v[6:7], s[8:9], 0, v[0:1]
	v_lshl_add_u64 v[6:7], v[6:7], 3, s[6:7]
	global_store_dwordx2 v[6:7], v[4:5], off offset:96
.LBB42_114:
	s_or_b64 exec, exec, s[16:17]
	s_movk_i32 s16, 0x400
	v_cmp_gt_u32_e32 vcc, s16, v9
	s_and_b64 exec, exec, vcc
	s_cbranch_execz .LBB42_146
; %bb.115:
	s_and_saveexec_b64 s[16:17], s[0:1]
	s_cbranch_execz .LBB42_117
; %bb.116:
	v_add_u32_e32 v2, v0, v8
	v_lshl_add_u32 v4, v2, 3, 0
	ds_read_b64 v[2:3], v4 offset:128
	ds_read_b64 v[4:5], v4 offset:2240
.LBB42_117:
	s_or_b64 exec, exec, s[16:17]
	s_waitcnt lgkmcnt(1)
	ds_bpermute_b32 v6, v10, v2
	ds_bpermute_b32 v7, v10, v3
	s_waitcnt lgkmcnt(2)
	ds_bpermute_b32 v14, v10, v4
	ds_bpermute_b32 v15, v10, v5
	v_add_u32_e32 v13, 16, v0
	s_waitcnt lgkmcnt(2)
	v_add_f64 v[2:3], v[2:3], v[6:7]
	ds_bpermute_b32 v6, v11, v2
	ds_bpermute_b32 v7, v11, v3
	s_waitcnt lgkmcnt(2)
	v_add_f64 v[4:5], v[4:5], v[14:15]
	ds_bpermute_b32 v14, v11, v4
	ds_bpermute_b32 v15, v11, v5
	;; [unrolled: 4-line block ×4, first 2 shown]
	s_waitcnt lgkmcnt(2)
	v_add_f64 v[2:3], v[2:3], v[6:7]
	v_or_b32_e32 v6, s8, v13
	v_mov_b32_e32 v7, s9
	v_cmp_gt_i64_e32 vcc, s[10:11], v[6:7]
	s_waitcnt lgkmcnt(0)
	v_add_f64 v[4:5], v[4:5], v[14:15]
	s_and_b64 s[18:19], s[2:3], vcc
	s_and_saveexec_b64 s[16:17], s[18:19]
	s_cbranch_execz .LBB42_122
; %bb.118:
	s_andn2_b64 vcc, exec, s[14:15]
	s_cbranch_vccnz .LBB42_120
; %bb.119:
	v_lshl_add_u64 v[6:7], s[8:9], 0, v[0:1]
	v_lshl_add_u64 v[6:7], v[6:7], 3, s[4:5]
	global_store_dwordx2 v[6:7], v[2:3], off offset:128
.LBB42_120:
	s_andn2_b64 vcc, exec, s[12:13]
	s_cbranch_vccnz .LBB42_122
; %bb.121:
	v_lshl_add_u64 v[6:7], s[8:9], 0, v[0:1]
	v_lshl_add_u64 v[6:7], v[6:7], 3, s[6:7]
	global_store_dwordx2 v[6:7], v[4:5], off offset:128
.LBB42_122:
	s_or_b64 exec, exec, s[16:17]
	s_movk_i32 s16, 0x300
	v_cmp_gt_u32_e32 vcc, s16, v9
	s_and_b64 exec, exec, vcc
	s_cbranch_execz .LBB42_146
; %bb.123:
	s_and_saveexec_b64 s[16:17], s[0:1]
	s_cbranch_execz .LBB42_125
; %bb.124:
	v_add_u32_e32 v2, v0, v8
	v_lshl_add_u32 v4, v2, 3, 0
	ds_read_b64 v[2:3], v4 offset:160
	ds_read_b64 v[4:5], v4 offset:2272
.LBB42_125:
	s_or_b64 exec, exec, s[16:17]
	s_waitcnt lgkmcnt(1)
	ds_bpermute_b32 v6, v10, v2
	ds_bpermute_b32 v7, v10, v3
	s_waitcnt lgkmcnt(2)
	ds_bpermute_b32 v14, v10, v4
	ds_bpermute_b32 v15, v10, v5
	v_add_u32_e32 v16, 20, v0
	v_mov_b32_e32 v17, 0
	s_waitcnt lgkmcnt(2)
	v_add_f64 v[2:3], v[2:3], v[6:7]
	ds_bpermute_b32 v6, v11, v2
	ds_bpermute_b32 v7, v11, v3
	s_waitcnt lgkmcnt(2)
	v_add_f64 v[4:5], v[4:5], v[14:15]
	ds_bpermute_b32 v14, v11, v4
	ds_bpermute_b32 v15, v11, v5
	;; [unrolled: 4-line block ×4, first 2 shown]
	s_waitcnt lgkmcnt(2)
	v_add_f64 v[2:3], v[2:3], v[6:7]
	v_lshl_add_u64 v[6:7], s[8:9], 0, v[16:17]
	v_cmp_gt_i64_e32 vcc, s[10:11], v[6:7]
	s_waitcnt lgkmcnt(0)
	v_add_f64 v[4:5], v[4:5], v[14:15]
	s_and_b64 s[18:19], s[2:3], vcc
	s_and_saveexec_b64 s[16:17], s[18:19]
	s_cbranch_execz .LBB42_130
; %bb.126:
	s_andn2_b64 vcc, exec, s[14:15]
	s_cbranch_vccnz .LBB42_128
; %bb.127:
	v_lshl_add_u64 v[6:7], s[8:9], 0, v[0:1]
	v_lshl_add_u64 v[6:7], v[6:7], 3, s[4:5]
	global_store_dwordx2 v[6:7], v[2:3], off offset:160
.LBB42_128:
	s_andn2_b64 vcc, exec, s[12:13]
	s_cbranch_vccnz .LBB42_130
; %bb.129:
	v_lshl_add_u64 v[6:7], s[8:9], 0, v[0:1]
	v_lshl_add_u64 v[6:7], v[6:7], 3, s[6:7]
	global_store_dwordx2 v[6:7], v[4:5], off offset:160
.LBB42_130:
	s_or_b64 exec, exec, s[16:17]
	s_movk_i32 s16, 0x200
	v_cmp_gt_u32_e32 vcc, s16, v9
	s_and_b64 exec, exec, vcc
	s_cbranch_execz .LBB42_146
; %bb.131:
	s_and_saveexec_b64 s[16:17], s[0:1]
	s_cbranch_execz .LBB42_133
; %bb.132:
	v_add_u32_e32 v2, v0, v8
	v_lshl_add_u32 v4, v2, 3, 0
	ds_read_b64 v[2:3], v4 offset:192
	ds_read_b64 v[4:5], v4 offset:2304
.LBB42_133:
	s_or_b64 exec, exec, s[16:17]
	s_waitcnt lgkmcnt(1)
	ds_bpermute_b32 v6, v10, v2
	ds_bpermute_b32 v7, v10, v3
	s_waitcnt lgkmcnt(2)
	ds_bpermute_b32 v14, v10, v4
	ds_bpermute_b32 v15, v10, v5
	v_add_u32_e32 v13, 24, v0
	s_waitcnt lgkmcnt(2)
	v_add_f64 v[2:3], v[2:3], v[6:7]
	ds_bpermute_b32 v6, v11, v2
	ds_bpermute_b32 v7, v11, v3
	s_waitcnt lgkmcnt(2)
	v_add_f64 v[4:5], v[4:5], v[14:15]
	ds_bpermute_b32 v14, v11, v4
	ds_bpermute_b32 v15, v11, v5
	;; [unrolled: 4-line block ×4, first 2 shown]
	s_waitcnt lgkmcnt(2)
	v_add_f64 v[2:3], v[2:3], v[6:7]
	v_or_b32_e32 v6, s8, v13
	v_mov_b32_e32 v7, s9
	v_cmp_gt_i64_e32 vcc, s[10:11], v[6:7]
	s_waitcnt lgkmcnt(0)
	v_add_f64 v[4:5], v[4:5], v[14:15]
	s_and_b64 s[18:19], s[2:3], vcc
	s_and_saveexec_b64 s[16:17], s[18:19]
	s_cbranch_execz .LBB42_138
; %bb.134:
	s_andn2_b64 vcc, exec, s[14:15]
	s_cbranch_vccnz .LBB42_136
; %bb.135:
	v_lshl_add_u64 v[6:7], s[8:9], 0, v[0:1]
	v_lshl_add_u64 v[6:7], v[6:7], 3, s[4:5]
	global_store_dwordx2 v[6:7], v[2:3], off offset:192
.LBB42_136:
	s_andn2_b64 vcc, exec, s[12:13]
	s_cbranch_vccnz .LBB42_138
; %bb.137:
	v_lshl_add_u64 v[6:7], s[8:9], 0, v[0:1]
	v_lshl_add_u64 v[6:7], v[6:7], 3, s[6:7]
	global_store_dwordx2 v[6:7], v[4:5], off offset:192
.LBB42_138:
	s_or_b64 exec, exec, s[16:17]
	s_movk_i32 s16, 0x100
	v_cmp_gt_u32_e32 vcc, s16, v9
	s_and_b64 exec, exec, vcc
	s_cbranch_execz .LBB42_146
; %bb.139:
	s_and_saveexec_b64 s[16:17], s[0:1]
	s_cbranch_execz .LBB42_141
; %bb.140:
	v_add_u32_e32 v2, v0, v8
	v_lshl_add_u32 v4, v2, 3, 0
	ds_read_b64 v[2:3], v4 offset:224
	ds_read_b64 v[4:5], v4 offset:2336
.LBB42_141:
	s_or_b64 exec, exec, s[16:17]
	s_waitcnt lgkmcnt(1)
	ds_bpermute_b32 v6, v10, v2
	ds_bpermute_b32 v7, v10, v3
	s_waitcnt lgkmcnt(2)
	ds_bpermute_b32 v8, v10, v4
	ds_bpermute_b32 v9, v10, v5
	v_add_u32_e32 v10, 28, v0
	v_or_b32_e32 v10, s8, v10
	s_waitcnt lgkmcnt(2)
	v_add_f64 v[2:3], v[2:3], v[6:7]
	ds_bpermute_b32 v6, v11, v2
	s_waitcnt lgkmcnt(1)
	v_add_f64 v[4:5], v[4:5], v[8:9]
	ds_bpermute_b32 v7, v11, v3
	ds_bpermute_b32 v8, v11, v4
	;; [unrolled: 1-line block ×3, first 2 shown]
	v_mov_b32_e32 v11, s9
	v_cmp_gt_i64_e32 vcc, s[10:11], v[10:11]
	s_waitcnt lgkmcnt(2)
	v_add_f64 v[6:7], v[2:3], v[6:7]
	s_and_b64 s[0:1], s[2:3], vcc
	s_waitcnt lgkmcnt(0)
	v_add_f64 v[2:3], v[4:5], v[8:9]
	ds_bpermute_b32 v8, v12, v6
	ds_bpermute_b32 v9, v12, v7
	;; [unrolled: 1-line block ×4, first 2 shown]
	s_and_b64 exec, exec, s[0:1]
	s_cbranch_execz .LBB42_146
; %bb.142:
	s_andn2_b64 vcc, exec, s[14:15]
	v_lshl_add_u64 v[0:1], s[8:9], 0, v[0:1]
	s_cbranch_vccnz .LBB42_144
; %bb.143:
	s_waitcnt lgkmcnt(2)
	v_add_f64 v[6:7], v[6:7], v[8:9]
	v_lshl_add_u64 v[8:9], v[0:1], 3, s[4:5]
	global_store_dwordx2 v[8:9], v[6:7], off offset:224
.LBB42_144:
	s_andn2_b64 vcc, exec, s[12:13]
	s_cbranch_vccnz .LBB42_146
; %bb.145:
	s_waitcnt lgkmcnt(0)
	v_add_f64 v[2:3], v[2:3], v[4:5]
	v_lshl_add_u64 v[0:1], v[0:1], 3, s[6:7]
	global_store_dwordx2 v[0:1], v[2:3], off offset:224
.LBB42_146:
	s_endpgm
	.section	.rodata,"a",@progbits
	.p2align	6, 0x0
	.amdhsa_kernel _ZN2at6native12_GLOBAL__N_135GammaBetaBackwardCUDAKernelTemplateIddLj32ELj8ELj64ELb0ELb0ELb0EEEvllPKT_S5_PKT0_S8_PS3_S9_
		.amdhsa_group_segment_fixed_size 0
		.amdhsa_private_segment_fixed_size 0
		.amdhsa_kernarg_size 320
		.amdhsa_user_sgpr_count 2
		.amdhsa_user_sgpr_dispatch_ptr 0
		.amdhsa_user_sgpr_queue_ptr 0
		.amdhsa_user_sgpr_kernarg_segment_ptr 1
		.amdhsa_user_sgpr_dispatch_id 0
		.amdhsa_user_sgpr_kernarg_preload_length 0
		.amdhsa_user_sgpr_kernarg_preload_offset 0
		.amdhsa_user_sgpr_private_segment_size 0
		.amdhsa_uses_dynamic_stack 0
		.amdhsa_enable_private_segment 0
		.amdhsa_system_sgpr_workgroup_id_x 1
		.amdhsa_system_sgpr_workgroup_id_y 1
		.amdhsa_system_sgpr_workgroup_id_z 0
		.amdhsa_system_sgpr_workgroup_info 0
		.amdhsa_system_vgpr_workitem_id 1
		.amdhsa_next_free_vgpr 126
		.amdhsa_next_free_sgpr 52
		.amdhsa_accum_offset 128
		.amdhsa_reserve_vcc 1
		.amdhsa_float_round_mode_32 0
		.amdhsa_float_round_mode_16_64 0
		.amdhsa_float_denorm_mode_32 3
		.amdhsa_float_denorm_mode_16_64 3
		.amdhsa_dx10_clamp 1
		.amdhsa_ieee_mode 1
		.amdhsa_fp16_overflow 0
		.amdhsa_tg_split 0
		.amdhsa_exception_fp_ieee_invalid_op 0
		.amdhsa_exception_fp_denorm_src 0
		.amdhsa_exception_fp_ieee_div_zero 0
		.amdhsa_exception_fp_ieee_overflow 0
		.amdhsa_exception_fp_ieee_underflow 0
		.amdhsa_exception_fp_ieee_inexact 0
		.amdhsa_exception_int_div_zero 0
	.end_amdhsa_kernel
	.section	.text._ZN2at6native12_GLOBAL__N_135GammaBetaBackwardCUDAKernelTemplateIddLj32ELj8ELj64ELb0ELb0ELb0EEEvllPKT_S5_PKT0_S8_PS3_S9_,"axG",@progbits,_ZN2at6native12_GLOBAL__N_135GammaBetaBackwardCUDAKernelTemplateIddLj32ELj8ELj64ELb0ELb0ELb0EEEvllPKT_S5_PKT0_S8_PS3_S9_,comdat
.Lfunc_end42:
	.size	_ZN2at6native12_GLOBAL__N_135GammaBetaBackwardCUDAKernelTemplateIddLj32ELj8ELj64ELb0ELb0ELb0EEEvllPKT_S5_PKT0_S8_PS3_S9_, .Lfunc_end42-_ZN2at6native12_GLOBAL__N_135GammaBetaBackwardCUDAKernelTemplateIddLj32ELj8ELj64ELb0ELb0ELb0EEEvllPKT_S5_PKT0_S8_PS3_S9_
                                        ; -- End function
	.set _ZN2at6native12_GLOBAL__N_135GammaBetaBackwardCUDAKernelTemplateIddLj32ELj8ELj64ELb0ELb0ELb0EEEvllPKT_S5_PKT0_S8_PS3_S9_.num_vgpr, 126
	.set _ZN2at6native12_GLOBAL__N_135GammaBetaBackwardCUDAKernelTemplateIddLj32ELj8ELj64ELb0ELb0ELb0EEEvllPKT_S5_PKT0_S8_PS3_S9_.num_agpr, 0
	.set _ZN2at6native12_GLOBAL__N_135GammaBetaBackwardCUDAKernelTemplateIddLj32ELj8ELj64ELb0ELb0ELb0EEEvllPKT_S5_PKT0_S8_PS3_S9_.numbered_sgpr, 52
	.set _ZN2at6native12_GLOBAL__N_135GammaBetaBackwardCUDAKernelTemplateIddLj32ELj8ELj64ELb0ELb0ELb0EEEvllPKT_S5_PKT0_S8_PS3_S9_.num_named_barrier, 0
	.set _ZN2at6native12_GLOBAL__N_135GammaBetaBackwardCUDAKernelTemplateIddLj32ELj8ELj64ELb0ELb0ELb0EEEvllPKT_S5_PKT0_S8_PS3_S9_.private_seg_size, 0
	.set _ZN2at6native12_GLOBAL__N_135GammaBetaBackwardCUDAKernelTemplateIddLj32ELj8ELj64ELb0ELb0ELb0EEEvllPKT_S5_PKT0_S8_PS3_S9_.uses_vcc, 1
	.set _ZN2at6native12_GLOBAL__N_135GammaBetaBackwardCUDAKernelTemplateIddLj32ELj8ELj64ELb0ELb0ELb0EEEvllPKT_S5_PKT0_S8_PS3_S9_.uses_flat_scratch, 0
	.set _ZN2at6native12_GLOBAL__N_135GammaBetaBackwardCUDAKernelTemplateIddLj32ELj8ELj64ELb0ELb0ELb0EEEvllPKT_S5_PKT0_S8_PS3_S9_.has_dyn_sized_stack, 0
	.set _ZN2at6native12_GLOBAL__N_135GammaBetaBackwardCUDAKernelTemplateIddLj32ELj8ELj64ELb0ELb0ELb0EEEvllPKT_S5_PKT0_S8_PS3_S9_.has_recursion, 0
	.set _ZN2at6native12_GLOBAL__N_135GammaBetaBackwardCUDAKernelTemplateIddLj32ELj8ELj64ELb0ELb0ELb0EEEvllPKT_S5_PKT0_S8_PS3_S9_.has_indirect_call, 0
	.section	.AMDGPU.csdata,"",@progbits
; Kernel info:
; codeLenInByte = 10480
; TotalNumSgprs: 58
; NumVgprs: 126
; NumAgprs: 0
; TotalNumVgprs: 126
; ScratchSize: 0
; MemoryBound: 1
; FloatMode: 240
; IeeeMode: 1
; LDSByteSize: 0 bytes/workgroup (compile time only)
; SGPRBlocks: 7
; VGPRBlocks: 15
; NumSGPRsForWavesPerEU: 58
; NumVGPRsForWavesPerEU: 126
; AccumOffset: 128
; Occupancy: 4
; WaveLimiterHint : 0
; COMPUTE_PGM_RSRC2:SCRATCH_EN: 0
; COMPUTE_PGM_RSRC2:USER_SGPR: 2
; COMPUTE_PGM_RSRC2:TRAP_HANDLER: 0
; COMPUTE_PGM_RSRC2:TGID_X_EN: 1
; COMPUTE_PGM_RSRC2:TGID_Y_EN: 1
; COMPUTE_PGM_RSRC2:TGID_Z_EN: 0
; COMPUTE_PGM_RSRC2:TIDIG_COMP_CNT: 1
; COMPUTE_PGM_RSRC3_GFX90A:ACCUM_OFFSET: 31
; COMPUTE_PGM_RSRC3_GFX90A:TG_SPLIT: 0
	.section	.text._ZN2at6native12_GLOBAL__N_135GammaBetaBackwardCUDAKernelTemplateIddLj32ELj16ELj128ELb0ELb1ELb0EEEvllPKT_S5_PKT0_S8_PS3_S9_,"axG",@progbits,_ZN2at6native12_GLOBAL__N_135GammaBetaBackwardCUDAKernelTemplateIddLj32ELj16ELj128ELb0ELb1ELb0EEEvllPKT_S5_PKT0_S8_PS3_S9_,comdat
	.globl	_ZN2at6native12_GLOBAL__N_135GammaBetaBackwardCUDAKernelTemplateIddLj32ELj16ELj128ELb0ELb1ELb0EEEvllPKT_S5_PKT0_S8_PS3_S9_ ; -- Begin function _ZN2at6native12_GLOBAL__N_135GammaBetaBackwardCUDAKernelTemplateIddLj32ELj16ELj128ELb0ELb1ELb0EEEvllPKT_S5_PKT0_S8_PS3_S9_
	.p2align	8
	.type	_ZN2at6native12_GLOBAL__N_135GammaBetaBackwardCUDAKernelTemplateIddLj32ELj16ELj128ELb0ELb1ELb0EEEvllPKT_S5_PKT0_S8_PS3_S9_,@function
_ZN2at6native12_GLOBAL__N_135GammaBetaBackwardCUDAKernelTemplateIddLj32ELj16ELj128ELb0ELb1ELb0EEEvllPKT_S5_PKT0_S8_PS3_S9_: ; @_ZN2at6native12_GLOBAL__N_135GammaBetaBackwardCUDAKernelTemplateIddLj32ELj16ELj128ELb0ELb1ELb0EEEvllPKT_S5_PKT0_S8_PS3_S9_
; %bb.0:
	s_load_dwordx4 s[16:19], s[0:1], 0x0
	s_lshl_b32 s20, s3, 7
	s_mov_b32 s21, 0
	v_mov_b64_e32 v[2:3], s[20:21]
	v_bfe_u32 v18, v0, 10, 10
	s_waitcnt lgkmcnt(0)
	v_cmp_gt_i64_e32 vcc, s[16:17], v[2:3]
	s_cbranch_vccnz .LBB43_2
; %bb.1:
	s_mov_b64 s[4:5], 0
	v_bfe_u32 v1, v0, 10, 10
	s_branch .LBB43_3
.LBB43_2:
	s_mov_b64 s[4:5], -1
                                        ; implicit-def: $vgpr1
.LBB43_3:
	s_load_dwordx4 s[12:15], s[0:1], 0x30
	v_and_b32_e32 v16, 0x3ff, v0
	v_mov_b64_e32 v[12:13], 0
	s_andn2_b64 vcc, exec, s[4:5]
	v_mbcnt_lo_u32_b32 v17, -1, 0
	v_mov_b64_e32 v[4:5], 0
	s_cbranch_vccnz .LBB43_11
; %bb.4:
	s_load_dword s3, s[0:1], 0x4c
	s_load_dword s22, s[0:1], 0x44
	s_load_dwordx8 s[4:11], s[0:1], 0x10
	v_mbcnt_hi_u32_b32 v6, -1, v17
	v_lshlrev_b32_e32 v0, 3, v18
	s_waitcnt lgkmcnt(0)
	s_and_b32 s0, s3, 0xffff
	v_mad_u32_u24 v1, v18, s0, v16
	v_and_b32_e32 v2, 63, v1
	v_mov_b32_e32 v1, 0
	v_lshlrev_b32_e32 v6, 2, v6
	v_mov_b32_e32 v3, v1
	v_and_b32_e32 v19, 0x100, v6
	v_lshl_add_u64 v[6:7], v[0:1], 0, s[20:21]
	v_mov_b32_e32 v5, v1
	s_lshl_b32 s22, s22, 7
	v_lshl_add_u64 v[0:1], v[6:7], 0, v[2:3]
	v_mul_lo_u32 v8, s19, v6
	v_mul_lo_u32 v9, s18, v7
	v_mad_u64_u32 v[6:7], s[26:27], s18, v6, 0
	v_lshl_add_u32 v4, s2, 5, v16
	s_mul_i32 s3, s19, s22
	s_mul_hi_u32 s26, s18, s22
	s_mov_b32 s23, 0
	v_add3_u32 v7, v7, v9, v8
	v_lshlrev_b64 v[4:5], 3, v[4:5]
	s_add_i32 s27, s26, s3
	s_mul_i32 s26, s18, s22
	v_cmp_gt_u32_e64 s[0:1], 8, v2
	v_or_b32_e32 v20, 4, v19
	v_or_b32_e32 v21, 8, v19
	;; [unrolled: 1-line block ×7, first 2 shown]
	v_lshlrev_b64 v[2:3], 3, v[0:1]
	s_lshl_b64 s[24:25], s[22:23], 3
	v_lshl_add_u64 v[6:7], v[6:7], 3, v[4:5]
	s_lshl_b64 s[26:27], s[26:27], 3
	s_lshl_b64 s[18:19], s[18:19], 3
	v_mov_b64_e32 v[4:5], 0
	v_mov_b64_e32 v[8:9], s[16:17]
	;; [unrolled: 1-line block ×3, first 2 shown]
	s_branch .LBB43_7
.LBB43_5:                               ;   in Loop: Header=BB43_7 Depth=1
	s_or_b64 exec, exec, s[30:31]
.LBB43_6:                               ;   in Loop: Header=BB43_7 Depth=1
	s_or_b64 exec, exec, s[28:29]
	v_lshl_add_u64 v[28:29], s[6:7], 0, v[6:7]
	global_load_dwordx2 v[30:31], v[28:29], off
	v_lshl_add_u64 v[32:33], s[4:5], 0, v[6:7]
	global_load_dwordx2 v[34:35], v[32:33], off
	;; [unrolled: 2-line block ×6, first 2 shown]
	v_lshl_add_u64 v[28:29], v[28:29], 0, s[18:19]
	v_lshl_add_u64 v[32:33], v[32:33], 0, s[18:19]
	global_load_dwordx2 v[44:45], v[28:29], off
	global_load_dwordx2 v[46:47], v[32:33], off
	v_lshl_add_u64 v[28:29], v[28:29], 0, s[18:19]
	v_lshl_add_u64 v[32:33], v[32:33], 0, s[18:19]
	global_load_dwordx2 v[48:49], v[28:29], off
	global_load_dwordx2 v[50:51], v[32:33], off
	;; [unrolled: 4-line block ×3, first 2 shown]
	v_lshl_add_u64 v[28:29], v[28:29], 0, s[18:19]
	global_load_dwordx2 v[56:57], v[28:29], off
	v_lshl_add_u64 v[32:33], v[32:33], 0, s[18:19]
	global_load_dwordx2 v[58:59], v[32:33], off
	v_lshl_add_u64 v[28:29], v[28:29], 0, s[18:19]
	v_lshl_add_u64 v[32:33], v[32:33], 0, s[18:19]
	global_load_dwordx2 v[60:61], v[28:29], off
	global_load_dwordx2 v[62:63], v[32:33], off
	s_waitcnt vmcnt(17)
	ds_bpermute_b32 v28, v19, v14
	ds_bpermute_b32 v29, v19, v15
	s_waitcnt vmcnt(16)
	ds_bpermute_b32 v32, v19, v10
	ds_bpermute_b32 v33, v19, v11
	s_add_u32 s20, s20, s22
	s_addc_u32 s21, s21, 0
	v_cmp_lt_i64_e32 vcc, s[20:21], v[8:9]
	v_lshl_add_u64 v[2:3], v[2:3], 0, s[24:25]
	v_lshl_add_u64 v[0:1], v[0:1], 0, s[22:23]
	;; [unrolled: 1-line block ×3, first 2 shown]
	s_and_b64 vcc, exec, vcc
	s_waitcnt vmcnt(15) lgkmcnt(2)
	v_add_f64 v[28:29], v[30:31], -v[28:29]
	ds_bpermute_b32 v30, v20, v14
	ds_bpermute_b32 v31, v20, v15
	s_waitcnt vmcnt(14)
	v_mul_f64 v[28:29], v[34:35], v[28:29]
	s_waitcnt lgkmcnt(2)
	v_fmac_f64_e32 v[4:5], v[28:29], v[32:33]
	ds_bpermute_b32 v28, v20, v10
	ds_bpermute_b32 v29, v20, v11
	s_waitcnt vmcnt(13) lgkmcnt(2)
	v_add_f64 v[30:31], v[36:37], -v[30:31]
	ds_bpermute_b32 v36, v21, v14
	ds_bpermute_b32 v37, v21, v15
	;; [unrolled: 1-line block ×4, first 2 shown]
	s_waitcnt vmcnt(12)
	v_mul_f64 v[30:31], v[38:39], v[30:31]
	s_waitcnt lgkmcnt(4)
	v_fmac_f64_e32 v[4:5], v[30:31], v[28:29]
	ds_bpermute_b32 v28, v22, v14
	ds_bpermute_b32 v29, v22, v15
	s_waitcnt vmcnt(11) lgkmcnt(4)
	v_add_f64 v[36:37], v[40:41], -v[36:37]
	ds_bpermute_b32 v30, v23, v14
	ds_bpermute_b32 v31, v23, v15
	s_waitcnt vmcnt(10)
	v_mul_f64 v[36:37], v[42:43], v[36:37]
	ds_bpermute_b32 v40, v24, v14
	ds_bpermute_b32 v41, v24, v15
	s_waitcnt lgkmcnt(6)
	v_fmac_f64_e32 v[4:5], v[36:37], v[32:33]
	ds_bpermute_b32 v36, v22, v10
	ds_bpermute_b32 v37, v22, v11
	;; [unrolled: 1-line block ×4, first 2 shown]
	v_add_f64 v[12:13], v[12:13], v[34:35]
	ds_bpermute_b32 v34, v23, v10
	ds_bpermute_b32 v35, v23, v11
	;; [unrolled: 1-line block ×4, first 2 shown]
	v_add_f64 v[12:13], v[12:13], v[38:39]
	ds_bpermute_b32 v38, v24, v10
	ds_bpermute_b32 v39, v24, v11
	v_add_f64 v[12:13], v[12:13], v[42:43]
	ds_bpermute_b32 v42, v25, v10
	ds_bpermute_b32 v43, v25, v11
	s_waitcnt vmcnt(9) lgkmcnt(14)
	v_add_f64 v[28:29], v[44:45], -v[28:29]
	ds_bpermute_b32 v10, v26, v10
	s_waitcnt vmcnt(8)
	v_mul_f64 v[28:29], v[46:47], v[28:29]
	s_waitcnt vmcnt(7)
	v_add_f64 v[30:31], v[48:49], -v[30:31]
	ds_bpermute_b32 v11, v26, v11
	v_add_f64 v[12:13], v[12:13], v[46:47]
	s_waitcnt lgkmcnt(12)
	v_fmac_f64_e32 v[4:5], v[28:29], v[36:37]
	s_waitcnt vmcnt(6)
	v_mul_f64 v[28:29], v[50:51], v[30:31]
	s_waitcnt vmcnt(5)
	v_add_f64 v[30:31], v[52:53], -v[40:41]
	v_add_f64 v[12:13], v[12:13], v[50:51]
	s_waitcnt lgkmcnt(8)
	v_fmac_f64_e32 v[4:5], v[28:29], v[34:35]
	s_waitcnt vmcnt(4)
	v_mul_f64 v[28:29], v[54:55], v[30:31]
	s_waitcnt vmcnt(3)
	v_add_f64 v[30:31], v[56:57], -v[32:33]
	;; [unrolled: 7-line block ×3, first 2 shown]
	s_waitcnt lgkmcnt(2)
	v_fmac_f64_e32 v[4:5], v[28:29], v[42:43]
	v_add_f64 v[12:13], v[12:13], v[58:59]
	s_waitcnt vmcnt(0)
	v_mul_f64 v[14:15], v[62:63], v[14:15]
	s_waitcnt lgkmcnt(0)
	v_fmac_f64_e32 v[4:5], v[14:15], v[10:11]
	v_add_f64 v[12:13], v[12:13], v[62:63]
	s_cbranch_vccz .LBB43_10
.LBB43_7:                               ; =>This Inner Loop Header: Depth=1
	v_mov_b64_e32 v[10:11], 0
	v_mov_b64_e32 v[14:15], 0
	s_and_saveexec_b64 s[28:29], s[0:1]
	s_cbranch_execz .LBB43_6
; %bb.8:                                ;   in Loop: Header=BB43_7 Depth=1
	v_cmp_gt_i64_e32 vcc, s[16:17], v[0:1]
	v_mov_b64_e32 v[14:15], 0
	v_mov_b64_e32 v[10:11], 0
	s_and_saveexec_b64 s[30:31], vcc
	s_cbranch_execz .LBB43_5
; %bb.9:                                ;   in Loop: Header=BB43_7 Depth=1
	v_lshl_add_u64 v[30:31], s[8:9], 0, v[2:3]
	v_lshl_add_u64 v[28:29], s[10:11], 0, v[2:3]
	global_load_dwordx2 v[14:15], v[30:31], off
	global_load_dwordx2 v[10:11], v[28:29], off
	s_branch .LBB43_5
.LBB43_10:
	v_mov_b32_e32 v1, v18
.LBB43_11:
	v_mad_u32_u24 v0, v1, 33, v16
	v_sub_u32_e32 v9, v0, v1
	s_movk_i32 s0, 0x800
	v_lshl_add_u32 v2, v0, 3, 0
	v_cmp_gt_u32_e32 vcc, s0, v9
	ds_write_b64 v2, v[4:5]
	ds_write_b64 v2, v[12:13] offset:4224
	s_waitcnt lgkmcnt(0)
	s_barrier
	s_and_saveexec_b64 s[0:1], vcc
	s_cbranch_execz .LBB43_43
; %bb.12:
	v_and_b32_e32 v1, 63, v9
	v_lshrrev_b32_e32 v0, 6, v9
	v_cmp_gt_u32_e64 s[0:1], 16, v1
	v_mul_u32_u24_e32 v8, 33, v1
                                        ; implicit-def: $vgpr2_vgpr3
                                        ; implicit-def: $vgpr4_vgpr5
	s_and_saveexec_b64 s[4:5], s[0:1]
	s_cbranch_execz .LBB43_14
; %bb.13:
	v_add_u32_e32 v1, v0, v8
	v_lshl_add_u32 v1, v1, 3, 0
	ds_read_b64 v[4:5], v1
	ds_read_b64 v[2:3], v1 offset:4224
.LBB43_14:
	s_or_b64 exec, exec, s[4:5]
	v_mbcnt_hi_u32_b32 v1, -1, v17
	v_and_b32_e32 v6, 64, v1
	v_add_u32_e32 v17, 64, v6
	v_xor_b32_e32 v6, 8, v1
	v_cmp_lt_i32_e32 vcc, v6, v17
	s_mov_b32 s3, 0
	s_lshl_b64 s[4:5], s[2:3], 5
	v_cndmask_b32_e32 v6, v1, v6, vcc
	v_lshlrev_b32_e32 v10, 2, v6
	s_waitcnt lgkmcnt(1)
	ds_bpermute_b32 v6, v10, v4
	ds_bpermute_b32 v7, v10, v5
	s_waitcnt lgkmcnt(2)
	ds_bpermute_b32 v12, v10, v2
	ds_bpermute_b32 v13, v10, v3
	s_cmp_lg_u64 s[12:13], 0
	s_cselect_b64 s[8:9], -1, 0
	s_waitcnt lgkmcnt(2)
	v_add_f64 v[4:5], v[4:5], v[6:7]
	v_xor_b32_e32 v6, 4, v1
	v_cmp_lt_i32_e32 vcc, v6, v17
	s_waitcnt lgkmcnt(0)
	v_add_f64 v[2:3], v[2:3], v[12:13]
	s_cmp_lg_u64 s[14:15], 0
	v_cndmask_b32_e32 v6, v1, v6, vcc
	v_lshlrev_b32_e32 v11, 2, v6
	ds_bpermute_b32 v6, v11, v4
	ds_bpermute_b32 v7, v11, v5
	;; [unrolled: 1-line block ×4, first 2 shown]
	v_cmp_eq_u32_e64 s[2:3], 0, v16
	s_cselect_b64 s[6:7], -1, 0
	s_waitcnt lgkmcnt(2)
	v_add_f64 v[4:5], v[4:5], v[6:7]
	v_xor_b32_e32 v6, 2, v1
	v_cmp_lt_i32_e32 vcc, v6, v17
	s_waitcnt lgkmcnt(0)
	v_add_f64 v[2:3], v[2:3], v[12:13]
	v_cndmask_b32_e32 v6, v1, v6, vcc
	v_lshlrev_b32_e32 v12, 2, v6
	ds_bpermute_b32 v6, v12, v4
	ds_bpermute_b32 v7, v12, v5
	;; [unrolled: 1-line block ×4, first 2 shown]
	s_waitcnt lgkmcnt(2)
	v_add_f64 v[4:5], v[4:5], v[6:7]
	s_waitcnt lgkmcnt(0)
	v_add_f64 v[6:7], v[2:3], v[14:15]
	v_xor_b32_e32 v2, 1, v1
	v_cmp_lt_i32_e32 vcc, v2, v17
	s_nop 1
	v_cndmask_b32_e32 v1, v1, v2, vcc
	v_lshlrev_b32_e32 v13, 2, v1
	ds_bpermute_b32 v2, v13, v4
	ds_bpermute_b32 v3, v13, v5
	;; [unrolled: 1-line block ×4, first 2 shown]
	v_mov_b32_e32 v1, 0
	s_waitcnt lgkmcnt(2)
	v_add_f64 v[2:3], v[4:5], v[2:3]
	s_waitcnt lgkmcnt(0)
	v_add_f64 v[4:5], v[6:7], v[14:15]
	s_and_saveexec_b64 s[10:11], s[2:3]
	s_cbranch_execz .LBB43_19
; %bb.15:
	v_mov_b32_e32 v7, s5
	s_andn2_b64 vcc, exec, s[8:9]
	v_or_b32_e32 v6, s4, v0
	s_cbranch_vccnz .LBB43_17
; %bb.16:
	v_lshl_add_u64 v[14:15], v[6:7], 3, s[12:13]
	global_store_dwordx2 v[14:15], v[2:3], off
.LBB43_17:
	s_andn2_b64 vcc, exec, s[6:7]
	s_cbranch_vccnz .LBB43_19
; %bb.18:
	v_lshl_add_u64 v[6:7], v[6:7], 3, s[14:15]
	global_store_dwordx2 v[6:7], v[4:5], off
.LBB43_19:
	s_or_b64 exec, exec, s[10:11]
	s_movk_i32 s10, 0x600
	v_cmp_gt_u32_e32 vcc, s10, v9
	s_and_b64 exec, exec, vcc
	s_cbranch_execz .LBB43_43
; %bb.20:
	s_and_saveexec_b64 s[10:11], s[0:1]
	s_cbranch_execz .LBB43_22
; %bb.21:
	v_add_u32_e32 v2, v0, v8
	v_lshl_add_u32 v4, v2, 3, 0
	ds_read_b64 v[2:3], v4 offset:64
	ds_read_b64 v[4:5], v4 offset:4288
.LBB43_22:
	s_or_b64 exec, exec, s[10:11]
	s_waitcnt lgkmcnt(1)
	ds_bpermute_b32 v6, v10, v2
	ds_bpermute_b32 v7, v10, v3
	s_waitcnt lgkmcnt(2)
	ds_bpermute_b32 v14, v10, v4
	ds_bpermute_b32 v15, v10, v5
	s_waitcnt lgkmcnt(2)
	v_add_f64 v[2:3], v[2:3], v[6:7]
	ds_bpermute_b32 v6, v11, v2
	s_waitcnt lgkmcnt(1)
	v_add_f64 v[4:5], v[4:5], v[14:15]
	ds_bpermute_b32 v7, v11, v3
	ds_bpermute_b32 v14, v11, v4
	ds_bpermute_b32 v15, v11, v5
	s_waitcnt lgkmcnt(2)
	v_add_f64 v[2:3], v[2:3], v[6:7]
	ds_bpermute_b32 v6, v12, v2
	s_waitcnt lgkmcnt(1)
	v_add_f64 v[4:5], v[4:5], v[14:15]
	ds_bpermute_b32 v7, v12, v3
	;; [unrolled: 8-line block ×3, first 2 shown]
	ds_bpermute_b32 v14, v13, v4
	ds_bpermute_b32 v15, v13, v5
	s_waitcnt lgkmcnt(2)
	v_add_f64 v[2:3], v[2:3], v[6:7]
	s_waitcnt lgkmcnt(0)
	v_add_f64 v[4:5], v[4:5], v[14:15]
	s_and_saveexec_b64 s[10:11], s[2:3]
	s_cbranch_execz .LBB43_27
; %bb.23:
	s_andn2_b64 vcc, exec, s[8:9]
	s_cbranch_vccnz .LBB43_25
; %bb.24:
	v_lshl_add_u64 v[6:7], s[4:5], 0, v[0:1]
	v_lshl_add_u64 v[6:7], v[6:7], 3, s[12:13]
	global_store_dwordx2 v[6:7], v[2:3], off offset:64
.LBB43_25:
	s_andn2_b64 vcc, exec, s[6:7]
	s_cbranch_vccnz .LBB43_27
; %bb.26:
	v_lshl_add_u64 v[6:7], s[4:5], 0, v[0:1]
	v_lshl_add_u64 v[6:7], v[6:7], 3, s[14:15]
	global_store_dwordx2 v[6:7], v[4:5], off offset:64
.LBB43_27:
	s_or_b64 exec, exec, s[10:11]
	s_movk_i32 s10, 0x400
	v_cmp_gt_u32_e32 vcc, s10, v9
	s_and_b64 exec, exec, vcc
	s_cbranch_execz .LBB43_43
; %bb.28:
	s_and_saveexec_b64 s[10:11], s[0:1]
	s_cbranch_execz .LBB43_30
; %bb.29:
	v_add_u32_e32 v2, v0, v8
	v_lshl_add_u32 v4, v2, 3, 0
	ds_read_b64 v[2:3], v4 offset:128
	ds_read_b64 v[4:5], v4 offset:4352
.LBB43_30:
	s_or_b64 exec, exec, s[10:11]
	s_waitcnt lgkmcnt(1)
	ds_bpermute_b32 v6, v10, v2
	ds_bpermute_b32 v7, v10, v3
	s_waitcnt lgkmcnt(2)
	ds_bpermute_b32 v14, v10, v4
	ds_bpermute_b32 v15, v10, v5
	s_waitcnt lgkmcnt(2)
	v_add_f64 v[2:3], v[2:3], v[6:7]
	ds_bpermute_b32 v6, v11, v2
	s_waitcnt lgkmcnt(1)
	v_add_f64 v[4:5], v[4:5], v[14:15]
	ds_bpermute_b32 v7, v11, v3
	ds_bpermute_b32 v14, v11, v4
	ds_bpermute_b32 v15, v11, v5
	s_waitcnt lgkmcnt(2)
	v_add_f64 v[2:3], v[2:3], v[6:7]
	ds_bpermute_b32 v6, v12, v2
	s_waitcnt lgkmcnt(1)
	v_add_f64 v[4:5], v[4:5], v[14:15]
	ds_bpermute_b32 v7, v12, v3
	;; [unrolled: 8-line block ×3, first 2 shown]
	ds_bpermute_b32 v14, v13, v4
	ds_bpermute_b32 v15, v13, v5
	s_waitcnt lgkmcnt(2)
	v_add_f64 v[2:3], v[2:3], v[6:7]
	s_waitcnt lgkmcnt(0)
	v_add_f64 v[4:5], v[4:5], v[14:15]
	s_and_saveexec_b64 s[10:11], s[2:3]
	s_cbranch_execz .LBB43_35
; %bb.31:
	s_andn2_b64 vcc, exec, s[8:9]
	s_cbranch_vccnz .LBB43_33
; %bb.32:
	v_lshl_add_u64 v[6:7], s[4:5], 0, v[0:1]
	v_lshl_add_u64 v[6:7], v[6:7], 3, s[12:13]
	global_store_dwordx2 v[6:7], v[2:3], off offset:128
.LBB43_33:
	s_andn2_b64 vcc, exec, s[6:7]
	s_cbranch_vccnz .LBB43_35
; %bb.34:
	v_lshl_add_u64 v[6:7], s[4:5], 0, v[0:1]
	v_lshl_add_u64 v[6:7], v[6:7], 3, s[14:15]
	global_store_dwordx2 v[6:7], v[4:5], off offset:128
.LBB43_35:
	s_or_b64 exec, exec, s[10:11]
	s_movk_i32 s10, 0x200
	v_cmp_gt_u32_e32 vcc, s10, v9
	s_and_b64 exec, exec, vcc
	s_cbranch_execz .LBB43_43
; %bb.36:
	s_and_saveexec_b64 s[10:11], s[0:1]
	s_cbranch_execz .LBB43_38
; %bb.37:
	v_add_u32_e32 v2, v0, v8
	v_lshl_add_u32 v4, v2, 3, 0
	ds_read_b64 v[2:3], v4 offset:192
	ds_read_b64 v[4:5], v4 offset:4416
.LBB43_38:
	s_or_b64 exec, exec, s[10:11]
	s_waitcnt lgkmcnt(1)
	ds_bpermute_b32 v6, v10, v2
	ds_bpermute_b32 v7, v10, v3
	s_waitcnt lgkmcnt(2)
	ds_bpermute_b32 v8, v10, v4
	ds_bpermute_b32 v9, v10, v5
	s_waitcnt lgkmcnt(2)
	v_add_f64 v[2:3], v[2:3], v[6:7]
	ds_bpermute_b32 v6, v11, v2
	s_waitcnt lgkmcnt(1)
	v_add_f64 v[4:5], v[4:5], v[8:9]
	ds_bpermute_b32 v7, v11, v3
	ds_bpermute_b32 v8, v11, v4
	;; [unrolled: 1-line block ×3, first 2 shown]
	s_waitcnt lgkmcnt(2)
	v_add_f64 v[2:3], v[2:3], v[6:7]
	ds_bpermute_b32 v6, v12, v2
	s_waitcnt lgkmcnt(1)
	v_add_f64 v[4:5], v[4:5], v[8:9]
	ds_bpermute_b32 v7, v12, v3
	ds_bpermute_b32 v8, v12, v4
	;; [unrolled: 1-line block ×3, first 2 shown]
	s_waitcnt lgkmcnt(2)
	v_add_f64 v[6:7], v[2:3], v[6:7]
	s_waitcnt lgkmcnt(0)
	v_add_f64 v[2:3], v[4:5], v[8:9]
	ds_bpermute_b32 v8, v13, v6
	ds_bpermute_b32 v9, v13, v7
	;; [unrolled: 1-line block ×4, first 2 shown]
	s_and_b64 exec, exec, s[2:3]
	s_cbranch_execz .LBB43_43
; %bb.39:
	s_andn2_b64 vcc, exec, s[8:9]
	v_lshl_add_u64 v[0:1], s[4:5], 0, v[0:1]
	s_cbranch_vccnz .LBB43_41
; %bb.40:
	s_waitcnt lgkmcnt(2)
	v_add_f64 v[6:7], v[6:7], v[8:9]
	v_lshl_add_u64 v[8:9], v[0:1], 3, s[12:13]
	global_store_dwordx2 v[8:9], v[6:7], off offset:192
.LBB43_41:
	s_andn2_b64 vcc, exec, s[6:7]
	s_cbranch_vccnz .LBB43_43
; %bb.42:
	s_waitcnt lgkmcnt(0)
	v_add_f64 v[2:3], v[2:3], v[4:5]
	v_lshl_add_u64 v[0:1], v[0:1], 3, s[14:15]
	global_store_dwordx2 v[0:1], v[2:3], off offset:192
.LBB43_43:
	s_endpgm
	.section	.rodata,"a",@progbits
	.p2align	6, 0x0
	.amdhsa_kernel _ZN2at6native12_GLOBAL__N_135GammaBetaBackwardCUDAKernelTemplateIddLj32ELj16ELj128ELb0ELb1ELb0EEEvllPKT_S5_PKT0_S8_PS3_S9_
		.amdhsa_group_segment_fixed_size 0
		.amdhsa_private_segment_fixed_size 0
		.amdhsa_kernarg_size 320
		.amdhsa_user_sgpr_count 2
		.amdhsa_user_sgpr_dispatch_ptr 0
		.amdhsa_user_sgpr_queue_ptr 0
		.amdhsa_user_sgpr_kernarg_segment_ptr 1
		.amdhsa_user_sgpr_dispatch_id 0
		.amdhsa_user_sgpr_kernarg_preload_length 0
		.amdhsa_user_sgpr_kernarg_preload_offset 0
		.amdhsa_user_sgpr_private_segment_size 0
		.amdhsa_uses_dynamic_stack 0
		.amdhsa_enable_private_segment 0
		.amdhsa_system_sgpr_workgroup_id_x 1
		.amdhsa_system_sgpr_workgroup_id_y 1
		.amdhsa_system_sgpr_workgroup_id_z 0
		.amdhsa_system_sgpr_workgroup_info 0
		.amdhsa_system_vgpr_workitem_id 1
		.amdhsa_next_free_vgpr 64
		.amdhsa_next_free_sgpr 32
		.amdhsa_accum_offset 64
		.amdhsa_reserve_vcc 1
		.amdhsa_float_round_mode_32 0
		.amdhsa_float_round_mode_16_64 0
		.amdhsa_float_denorm_mode_32 3
		.amdhsa_float_denorm_mode_16_64 3
		.amdhsa_dx10_clamp 1
		.amdhsa_ieee_mode 1
		.amdhsa_fp16_overflow 0
		.amdhsa_tg_split 0
		.amdhsa_exception_fp_ieee_invalid_op 0
		.amdhsa_exception_fp_denorm_src 0
		.amdhsa_exception_fp_ieee_div_zero 0
		.amdhsa_exception_fp_ieee_overflow 0
		.amdhsa_exception_fp_ieee_underflow 0
		.amdhsa_exception_fp_ieee_inexact 0
		.amdhsa_exception_int_div_zero 0
	.end_amdhsa_kernel
	.section	.text._ZN2at6native12_GLOBAL__N_135GammaBetaBackwardCUDAKernelTemplateIddLj32ELj16ELj128ELb0ELb1ELb0EEEvllPKT_S5_PKT0_S8_PS3_S9_,"axG",@progbits,_ZN2at6native12_GLOBAL__N_135GammaBetaBackwardCUDAKernelTemplateIddLj32ELj16ELj128ELb0ELb1ELb0EEEvllPKT_S5_PKT0_S8_PS3_S9_,comdat
.Lfunc_end43:
	.size	_ZN2at6native12_GLOBAL__N_135GammaBetaBackwardCUDAKernelTemplateIddLj32ELj16ELj128ELb0ELb1ELb0EEEvllPKT_S5_PKT0_S8_PS3_S9_, .Lfunc_end43-_ZN2at6native12_GLOBAL__N_135GammaBetaBackwardCUDAKernelTemplateIddLj32ELj16ELj128ELb0ELb1ELb0EEEvllPKT_S5_PKT0_S8_PS3_S9_
                                        ; -- End function
	.set _ZN2at6native12_GLOBAL__N_135GammaBetaBackwardCUDAKernelTemplateIddLj32ELj16ELj128ELb0ELb1ELb0EEEvllPKT_S5_PKT0_S8_PS3_S9_.num_vgpr, 64
	.set _ZN2at6native12_GLOBAL__N_135GammaBetaBackwardCUDAKernelTemplateIddLj32ELj16ELj128ELb0ELb1ELb0EEEvllPKT_S5_PKT0_S8_PS3_S9_.num_agpr, 0
	.set _ZN2at6native12_GLOBAL__N_135GammaBetaBackwardCUDAKernelTemplateIddLj32ELj16ELj128ELb0ELb1ELb0EEEvllPKT_S5_PKT0_S8_PS3_S9_.numbered_sgpr, 32
	.set _ZN2at6native12_GLOBAL__N_135GammaBetaBackwardCUDAKernelTemplateIddLj32ELj16ELj128ELb0ELb1ELb0EEEvllPKT_S5_PKT0_S8_PS3_S9_.num_named_barrier, 0
	.set _ZN2at6native12_GLOBAL__N_135GammaBetaBackwardCUDAKernelTemplateIddLj32ELj16ELj128ELb0ELb1ELb0EEEvllPKT_S5_PKT0_S8_PS3_S9_.private_seg_size, 0
	.set _ZN2at6native12_GLOBAL__N_135GammaBetaBackwardCUDAKernelTemplateIddLj32ELj16ELj128ELb0ELb1ELb0EEEvllPKT_S5_PKT0_S8_PS3_S9_.uses_vcc, 1
	.set _ZN2at6native12_GLOBAL__N_135GammaBetaBackwardCUDAKernelTemplateIddLj32ELj16ELj128ELb0ELb1ELb0EEEvllPKT_S5_PKT0_S8_PS3_S9_.uses_flat_scratch, 0
	.set _ZN2at6native12_GLOBAL__N_135GammaBetaBackwardCUDAKernelTemplateIddLj32ELj16ELj128ELb0ELb1ELb0EEEvllPKT_S5_PKT0_S8_PS3_S9_.has_dyn_sized_stack, 0
	.set _ZN2at6native12_GLOBAL__N_135GammaBetaBackwardCUDAKernelTemplateIddLj32ELj16ELj128ELb0ELb1ELb0EEEvllPKT_S5_PKT0_S8_PS3_S9_.has_recursion, 0
	.set _ZN2at6native12_GLOBAL__N_135GammaBetaBackwardCUDAKernelTemplateIddLj32ELj16ELj128ELb0ELb1ELb0EEEvllPKT_S5_PKT0_S8_PS3_S9_.has_indirect_call, 0
	.section	.AMDGPU.csdata,"",@progbits
; Kernel info:
; codeLenInByte = 2944
; TotalNumSgprs: 38
; NumVgprs: 64
; NumAgprs: 0
; TotalNumVgprs: 64
; ScratchSize: 0
; MemoryBound: 0
; FloatMode: 240
; IeeeMode: 1
; LDSByteSize: 0 bytes/workgroup (compile time only)
; SGPRBlocks: 4
; VGPRBlocks: 7
; NumSGPRsForWavesPerEU: 38
; NumVGPRsForWavesPerEU: 64
; AccumOffset: 64
; Occupancy: 8
; WaveLimiterHint : 0
; COMPUTE_PGM_RSRC2:SCRATCH_EN: 0
; COMPUTE_PGM_RSRC2:USER_SGPR: 2
; COMPUTE_PGM_RSRC2:TRAP_HANDLER: 0
; COMPUTE_PGM_RSRC2:TGID_X_EN: 1
; COMPUTE_PGM_RSRC2:TGID_Y_EN: 1
; COMPUTE_PGM_RSRC2:TGID_Z_EN: 0
; COMPUTE_PGM_RSRC2:TIDIG_COMP_CNT: 1
; COMPUTE_PGM_RSRC3_GFX90A:ACCUM_OFFSET: 15
; COMPUTE_PGM_RSRC3_GFX90A:TG_SPLIT: 0
	.section	.text._ZN2at6native12_GLOBAL__N_135GammaBetaBackwardCUDAKernelTemplateIddLj32ELj16ELj128ELb0ELb0ELb0EEEvllPKT_S5_PKT0_S8_PS3_S9_,"axG",@progbits,_ZN2at6native12_GLOBAL__N_135GammaBetaBackwardCUDAKernelTemplateIddLj32ELj16ELj128ELb0ELb0ELb0EEEvllPKT_S5_PKT0_S8_PS3_S9_,comdat
	.globl	_ZN2at6native12_GLOBAL__N_135GammaBetaBackwardCUDAKernelTemplateIddLj32ELj16ELj128ELb0ELb0ELb0EEEvllPKT_S5_PKT0_S8_PS3_S9_ ; -- Begin function _ZN2at6native12_GLOBAL__N_135GammaBetaBackwardCUDAKernelTemplateIddLj32ELj16ELj128ELb0ELb0ELb0EEEvllPKT_S5_PKT0_S8_PS3_S9_
	.p2align	8
	.type	_ZN2at6native12_GLOBAL__N_135GammaBetaBackwardCUDAKernelTemplateIddLj32ELj16ELj128ELb0ELb0ELb0EEEvllPKT_S5_PKT0_S8_PS3_S9_,@function
_ZN2at6native12_GLOBAL__N_135GammaBetaBackwardCUDAKernelTemplateIddLj32ELj16ELj128ELb0ELb0ELb0EEEvllPKT_S5_PKT0_S8_PS3_S9_: ; @_ZN2at6native12_GLOBAL__N_135GammaBetaBackwardCUDAKernelTemplateIddLj32ELj16ELj128ELb0ELb0ELb0EEEvllPKT_S5_PKT0_S8_PS3_S9_
; %bb.0:
	s_load_dwordx8 s[8:15], s[0:1], 0x0
	s_load_dwordx4 s[16:19], s[0:1], 0x20
	s_lshl_b32 s33, s2, 5
	s_or_b32 s4, s33, 31
	s_mov_b32 s21, 0
	v_mov_b32_e32 v2, s4
	v_mov_b32_e32 v3, 0
	s_lshl_b32 s20, s3, 7
	s_waitcnt lgkmcnt(0)
	v_cmp_le_i64_e32 vcc, s[10:11], v[2:3]
	v_mov_b64_e32 v[2:3], s[20:21]
	v_cmp_gt_i64_e64 s[4:5], s[8:9], v[2:3]
	s_nop 1
	v_cndmask_b32_e64 v1, 0, 1, s[4:5]
	v_cmp_ne_u32_e64 s[4:5], 1, v1
	s_cbranch_vccz .LBB44_49
; %bb.1:
	v_mov_b64_e32 v[36:37], 0
	s_and_b64 vcc, exec, s[4:5]
	v_mov_b64_e32 v[38:39], 0
	s_cbranch_vccnz .LBB44_50
; %bb.2:
	v_and_b32_e32 v1, 0x3ff, v0
	v_mov_b32_e32 v2, 0
	v_bfe_u32 v84, v0, 10, 10
	v_add_u32_e32 v4, s33, v1
	v_mov_b32_e32 v5, v2
	v_lshlrev_b32_e32 v40, 3, v84
	v_mov_b32_e32 v41, v2
	v_cmp_gt_i64_e64 s[6:7], s[10:11], v[4:5]
	v_lshlrev_b64 v[42:43], 3, v[4:5]
	v_lshl_add_u64 v[4:5], v[40:41], 0, s[20:21]
	v_mul_lo_u32 v3, s11, v4
	v_mul_lo_u32 v8, s10, v5
	v_mad_u64_u32 v[6:7], s[24:25], s10, v4, 0
	v_add3_u32 v7, v7, v8, v3
	v_lshlrev_b64 v[6:7], 3, v[6:7]
	v_lshl_add_u64 v[44:45], s[12:13], 0, v[6:7]
	v_lshl_add_u64 v[46:47], s[14:15], 0, v[6:7]
	v_lshl_add_u64 v[6:7], v[4:5], 0, 7
	v_mul_lo_u32 v9, s11, v6
	v_mul_lo_u32 v10, s10, v7
	v_mad_u64_u32 v[6:7], s[26:27], s10, v6, 0
	v_add3_u32 v7, v7, v10, v9
	v_lshlrev_b64 v[6:7], 3, v[6:7]
	v_lshl_add_u64 v[48:49], s[12:13], 0, v[6:7]
	v_lshl_add_u64 v[50:51], s[14:15], 0, v[6:7]
	;; [unrolled: 8-line block ×5, first 2 shown]
	v_lshl_add_u64 v[6:7], v[4:5], 0, 3
	v_mul_lo_u32 v9, s11, v6
	v_mul_lo_u32 v10, s10, v7
	v_mad_u64_u32 v[6:7], s[26:27], s10, v6, 0
	v_add3_u32 v7, v7, v10, v9
	s_load_dword s3, s[0:1], 0x44
	v_lshlrev_b64 v[6:7], 3, v[6:7]
	v_lshl_add_u64 v[64:65], s[12:13], 0, v[6:7]
	v_lshl_add_u64 v[66:67], s[14:15], 0, v[6:7]
	;; [unrolled: 1-line block ×3, first 2 shown]
	v_mul_lo_u32 v5, s11, v6
	v_mul_lo_u32 v9, s10, v7
	v_mad_u64_u32 v[6:7], s[26:27], s10, v6, 0
	v_add3_u32 v7, v7, v9, v5
	s_add_u32 s22, s0, 64
	v_lshlrev_b64 v[6:7], 3, v[6:7]
	s_addc_u32 s23, s1, 0
	s_waitcnt lgkmcnt(0)
	s_lshl_b32 s3, s3, 7
	v_lshl_add_u64 v[68:69], s[12:13], 0, v[6:7]
	v_lshl_add_u64 v[70:71], s[14:15], 0, v[6:7]
	v_mov_b64_e32 v[6:7], s[10:11]
	s_mul_i32 s24, s11, s3
	s_mul_hi_u32 s25, s10, s3
	v_mad_u64_u32 v[4:5], s[26:27], s10, v4, v[6:7]
	s_add_i32 s25, s25, s24
	s_mul_i32 s24, s10, s3
	v_add3_u32 v5, v3, v5, v8
	v_mbcnt_lo_u32_b32 v3, -1, 0
	s_lshl_b64 s[24:25], s[24:25], 3
	v_mbcnt_hi_u32_b32 v3, -1, v3
	v_lshlrev_b64 v[4:5], 3, v[4:5]
	s_add_u32 s26, s20, 0x7f
	s_movk_i32 s28, 0xff81
	s_movk_i32 s30, 0xff82
	;; [unrolled: 1-line block ×8, first 2 shown]
	v_lshlrev_b32_e32 v3, 2, v3
	v_lshl_add_u64 v[72:73], s[12:13], 0, v[4:5]
	v_lshl_add_u64 v[74:75], s[14:15], 0, v[4:5]
	s_addc_u32 s27, 0, 0
	v_mov_b64_e32 v[76:77], 0
	s_mov_b32 s29, -1
	s_mov_b32 s31, -1
	;; [unrolled: 1-line block ×8, first 2 shown]
	v_and_b32_e32 v85, 0x100, v3
	v_mov_b64_e32 v[36:37], 0
	s_mov_b64 s[46:47], s[20:21]
.LBB44_3:                               ; =>This Inner Loop Header: Depth=1
	v_mov_b64_e32 v[4:5], s[8:9]
	v_cmp_ge_i64_e32 vcc, s[26:27], v[4:5]
	v_lshl_add_u64 v[78:79], v[40:41], 0, s[26:27]
	s_mov_b64 s[48:49], -1
	s_and_b64 vcc, exec, vcc
                                        ; implicit-def: $vgpr4_vgpr5_vgpr6_vgpr7_vgpr8_vgpr9_vgpr10_vgpr11_vgpr12_vgpr13_vgpr14_vgpr15_vgpr16_vgpr17_vgpr18_vgpr19
                                        ; implicit-def: $vgpr82_vgpr83
                                        ; implicit-def: $vgpr20_vgpr21_vgpr22_vgpr23_vgpr24_vgpr25_vgpr26_vgpr27_vgpr28_vgpr29_vgpr30_vgpr31_vgpr32_vgpr33_vgpr34_vgpr35
                                        ; implicit-def: $vgpr4
                                        ; implicit-def: $vgpr6_vgpr7
                                        ; implicit-def: $vgpr38_vgpr39
	s_cbranch_vccz .LBB44_25
; %bb.4:                                ;   in Loop: Header=BB44_3 Depth=1
	s_load_dword s48, s[22:23], 0xc
	v_mov_b64_e32 v[82:83], 0
	v_mov_b64_e32 v[80:81], 0
	s_waitcnt lgkmcnt(0)
	s_and_b32 s48, s48, 0xffff
	v_mad_u32_u24 v3, v84, s48, v1
	v_and_b32_e32 v4, 63, v3
	v_cmp_gt_u32_e32 vcc, 8, v4
	s_and_saveexec_b64 s[48:49], vcc
	s_cbranch_execz .LBB44_8
; %bb.5:                                ;   in Loop: Header=BB44_3 Depth=1
	v_mov_b32_e32 v5, v2
	v_lshl_add_u64 v[4:5], v[78:79], 0, v[4:5]
	v_lshl_add_u64 v[4:5], v[4:5], 0, s[28:29]
	v_cmp_gt_i64_e32 vcc, s[8:9], v[4:5]
	v_mov_b64_e32 v[80:81], 0
	v_mov_b64_e32 v[82:83], 0
	s_and_saveexec_b64 s[50:51], vcc
	s_cbranch_execz .LBB44_7
; %bb.6:                                ;   in Loop: Header=BB44_3 Depth=1
	v_lshlrev_b64 v[4:5], 3, v[4:5]
	v_lshl_add_u64 v[6:7], s[18:19], 0, v[4:5]
	v_lshl_add_u64 v[4:5], s[16:17], 0, v[4:5]
	global_load_dwordx2 v[80:81], v[4:5], off
	global_load_dwordx2 v[82:83], v[6:7], off
.LBB44_7:                               ;   in Loop: Header=BB44_3 Depth=1
	s_or_b64 exec, exec, s[50:51]
.LBB44_8:                               ;   in Loop: Header=BB44_3 Depth=1
	s_or_b64 exec, exec, s[48:49]
	v_lshl_add_u64 v[4:5], v[78:79], 0, s[28:29]
	v_mov_b32_e32 v16, v2
	v_mov_b32_e32 v17, v2
	v_cmp_gt_i64_e32 vcc, s[8:9], v[4:5]
	v_mov_b32_e32 v3, v2
	v_mov_b32_e32 v4, v2
	;; [unrolled: 1-line block ×13, first 2 shown]
	v_mov_b64_e32 v[34:35], v[16:17]
	v_mov_b64_e32 v[32:33], v[14:15]
	;; [unrolled: 1-line block ×9, first 2 shown]
	s_and_b64 s[50:51], s[6:7], vcc
	v_mov_b64_e32 v[16:17], v[14:15]
	v_mov_b64_e32 v[14:15], v[12:13]
	;; [unrolled: 1-line block ×7, first 2 shown]
	s_and_saveexec_b64 s[48:49], s[50:51]
	s_cbranch_execz .LBB44_10
; %bb.9:                                ;   in Loop: Header=BB44_3 Depth=1
	v_lshl_add_u64 v[4:5], v[44:45], 0, v[42:43]
	v_lshl_add_u64 v[6:7], v[46:47], 0, v[42:43]
	global_load_dwordx2 v[4:5], v[4:5], off
	v_mov_b32_e32 v8, v2
	global_load_dwordx2 v[20:21], v[6:7], off
	v_mov_b32_e32 v6, v2
	v_mov_b32_e32 v7, v2
	;; [unrolled: 1-line block ×27, first 2 shown]
.LBB44_10:                              ;   in Loop: Header=BB44_3 Depth=1
	s_or_b64 exec, exec, s[48:49]
	v_lshl_add_u64 v[38:39], v[78:79], 0, s[30:31]
	v_cmp_gt_i64_e32 vcc, s[8:9], v[38:39]
	s_and_b64 s[50:51], s[6:7], vcc
	s_and_saveexec_b64 s[48:49], s[50:51]
	s_cbranch_execz .LBB44_12
; %bb.11:                               ;   in Loop: Header=BB44_3 Depth=1
	v_lshl_add_u64 v[6:7], v[72:73], 0, v[42:43]
	v_lshl_add_u64 v[22:23], v[74:75], 0, v[42:43]
	global_load_dwordx2 v[6:7], v[6:7], off
	s_nop 0
	global_load_dwordx2 v[22:23], v[22:23], off
.LBB44_12:                              ;   in Loop: Header=BB44_3 Depth=1
	s_or_b64 exec, exec, s[48:49]
	v_lshl_add_u64 v[38:39], v[78:79], 0, s[34:35]
	v_cmp_gt_i64_e32 vcc, s[8:9], v[38:39]
	s_and_b64 s[50:51], s[6:7], vcc
	s_and_saveexec_b64 s[48:49], s[50:51]
	s_cbranch_execz .LBB44_14
; %bb.13:                               ;   in Loop: Header=BB44_3 Depth=1
	v_lshl_add_u64 v[8:9], v[68:69], 0, v[42:43]
	v_lshl_add_u64 v[24:25], v[70:71], 0, v[42:43]
	global_load_dwordx2 v[8:9], v[8:9], off
	s_nop 0
	global_load_dwordx2 v[24:25], v[24:25], off
.LBB44_14:                              ;   in Loop: Header=BB44_3 Depth=1
	;; [unrolled: 13-line block ×7, first 2 shown]
	s_or_b64 exec, exec, s[48:49]
	s_waitcnt vmcnt(1)
	ds_bpermute_b32 v38, v85, v80
	ds_bpermute_b32 v39, v85, v81
	s_waitcnt vmcnt(0)
	ds_bpermute_b32 v86, v85, v82
	ds_bpermute_b32 v87, v85, v83
	ds_bpermute_b32 v88, v85, v80 offset:4
	ds_bpermute_b32 v89, v85, v81 offset:4
	s_waitcnt lgkmcnt(4)
	v_add_f64 v[20:21], v[20:21], -v[38:39]
	v_mul_f64 v[20:21], v[4:5], v[20:21]
	s_waitcnt lgkmcnt(2)
	v_fma_f64 v[38:39], v[20:21], v[86:87], v[76:77]
	ds_bpermute_b32 v20, v85, v82 offset:4
	ds_bpermute_b32 v21, v85, v83 offset:4
	;; [unrolled: 1-line block ×4, first 2 shown]
	v_add_f64 v[4:5], v[36:37], v[4:5]
	s_waitcnt lgkmcnt(4)
	v_add_f64 v[22:23], v[22:23], -v[88:89]
	v_mul_f64 v[22:23], v[6:7], v[22:23]
	v_add_f64 v[4:5], v[6:7], v[4:5]
	ds_bpermute_b32 v6, v85, v82 offset:8
	ds_bpermute_b32 v7, v85, v83 offset:8
	s_waitcnt lgkmcnt(4)
	v_fmac_f64_e32 v[38:39], v[22:23], v[20:21]
	s_waitcnt lgkmcnt(2)
	v_add_f64 v[20:21], v[24:25], -v[86:87]
	ds_bpermute_b32 v22, v85, v80 offset:12
	ds_bpermute_b32 v23, v85, v81 offset:12
	v_mul_f64 v[20:21], v[8:9], v[20:21]
	s_waitcnt lgkmcnt(2)
	v_fmac_f64_e32 v[38:39], v[20:21], v[6:7]
	ds_bpermute_b32 v6, v85, v82 offset:12
	ds_bpermute_b32 v7, v85, v83 offset:12
	v_add_f64 v[4:5], v[8:9], v[4:5]
	s_waitcnt lgkmcnt(2)
	v_add_f64 v[8:9], v[26:27], -v[22:23]
	ds_bpermute_b32 v20, v85, v80 offset:16
	ds_bpermute_b32 v21, v85, v81 offset:16
	v_mul_f64 v[8:9], v[10:11], v[8:9]
	s_waitcnt lgkmcnt(2)
	v_fmac_f64_e32 v[38:39], v[8:9], v[6:7]
	ds_bpermute_b32 v6, v85, v82 offset:16
	ds_bpermute_b32 v7, v85, v83 offset:16
	v_add_f64 v[4:5], v[10:11], v[4:5]
	s_waitcnt lgkmcnt(2)
	v_add_f64 v[8:9], v[28:29], -v[20:21]
	ds_bpermute_b32 v10, v85, v80 offset:20
	ds_bpermute_b32 v11, v85, v81 offset:20
	v_mul_f64 v[8:9], v[12:13], v[8:9]
	s_waitcnt lgkmcnt(2)
	v_fmac_f64_e32 v[38:39], v[8:9], v[6:7]
	ds_bpermute_b32 v6, v85, v82 offset:20
	ds_bpermute_b32 v7, v85, v83 offset:20
	s_waitcnt lgkmcnt(2)
	v_add_f64 v[8:9], v[30:31], -v[10:11]
	ds_bpermute_b32 v10, v85, v80 offset:24
	ds_bpermute_b32 v11, v85, v81 offset:24
	v_mul_f64 v[8:9], v[14:15], v[8:9]
	v_add_f64 v[4:5], v[12:13], v[4:5]
	s_waitcnt lgkmcnt(2)
	v_fmac_f64_e32 v[38:39], v[8:9], v[6:7]
	ds_bpermute_b32 v8, v85, v82 offset:24
	ds_bpermute_b32 v9, v85, v83 offset:24
	v_add_f64 v[6:7], v[14:15], v[4:5]
	ds_bpermute_b32 v82, v85, v82 offset:28
	ds_bpermute_b32 v83, v85, v83 offset:28
	;; [unrolled: 1-line block ×4, first 2 shown]
	s_waitcnt lgkmcnt(6)
	v_add_f64 v[10:11], v[32:33], -v[10:11]
	v_mul_f64 v[10:11], v[16:17], v[10:11]
	s_waitcnt lgkmcnt(4)
	v_fmac_f64_e32 v[38:39], v[10:11], v[8:9]
	v_add_f64 v[6:7], v[16:17], v[6:7]
	s_mov_b64 s[48:49], 0
.LBB44_25:                              ;   in Loop: Header=BB44_3 Depth=1
	s_and_b64 vcc, exec, s[48:49]
	s_cbranch_vccz .LBB44_40
; %bb.26:                               ;   in Loop: Header=BB44_3 Depth=1
	s_load_dword s48, s[22:23], 0x0
	v_mov_b64_e32 v[80:81], 0
	v_mov_b64_e32 v[38:39], 0
	s_waitcnt lgkmcnt(0)
	s_cmp_lt_u32 s2, s48
	s_cselect_b32 s48, 12, 18
	s_add_u32 s48, s22, s48
	s_addc_u32 s49, s23, 0
	global_load_ushort v3, v2, s[48:49]
	s_waitcnt vmcnt(0)
	v_mad_u32_u24 v3, v84, v3, v1
	v_and_b32_e32 v4, 63, v3
	v_cmp_gt_u32_e32 vcc, 8, v4
	s_and_saveexec_b64 s[48:49], vcc
	s_cbranch_execz .LBB44_30
; %bb.27:                               ;   in Loop: Header=BB44_3 Depth=1
	v_mov_b32_e32 v5, v2
	v_lshl_add_u64 v[4:5], v[78:79], 0, v[4:5]
	v_lshl_add_u64 v[4:5], v[4:5], 0, s[28:29]
	v_cmp_gt_i64_e32 vcc, s[8:9], v[4:5]
	v_mov_b64_e32 v[38:39], 0
	v_mov_b64_e32 v[80:81], 0
	s_and_saveexec_b64 s[50:51], vcc
	s_cbranch_execz .LBB44_29
; %bb.28:                               ;   in Loop: Header=BB44_3 Depth=1
	v_lshlrev_b64 v[4:5], 3, v[4:5]
	v_lshl_add_u64 v[6:7], s[18:19], 0, v[4:5]
	v_lshl_add_u64 v[4:5], s[16:17], 0, v[4:5]
	global_load_dwordx2 v[38:39], v[4:5], off
	global_load_dwordx2 v[80:81], v[6:7], off
.LBB44_29:                              ;   in Loop: Header=BB44_3 Depth=1
	s_or_b64 exec, exec, s[50:51]
.LBB44_30:                              ;   in Loop: Header=BB44_3 Depth=1
	s_or_b64 exec, exec, s[48:49]
	v_mov_b32_e32 v16, v2
	v_mov_b32_e32 v17, v2
	;; [unrolled: 1-line block ×15, first 2 shown]
	v_mov_b64_e32 v[34:35], v[16:17]
	v_mov_b64_e32 v[32:33], v[14:15]
	;; [unrolled: 1-line block ×16, first 2 shown]
	s_and_saveexec_b64 s[48:49], s[6:7]
	s_cbranch_execnz .LBB44_42
; %bb.31:                               ;   in Loop: Header=BB44_3 Depth=1
	s_or_b64 exec, exec, s[48:49]
	s_and_saveexec_b64 s[48:49], s[6:7]
	s_cbranch_execnz .LBB44_43
.LBB44_32:                              ;   in Loop: Header=BB44_3 Depth=1
	s_or_b64 exec, exec, s[48:49]
	s_and_saveexec_b64 s[48:49], s[6:7]
	s_cbranch_execnz .LBB44_44
.LBB44_33:                              ;   in Loop: Header=BB44_3 Depth=1
	s_or_b64 exec, exec, s[48:49]
	s_and_saveexec_b64 s[48:49], s[6:7]
	s_cbranch_execnz .LBB44_45
.LBB44_34:                              ;   in Loop: Header=BB44_3 Depth=1
	s_or_b64 exec, exec, s[48:49]
	s_and_saveexec_b64 s[48:49], s[6:7]
	s_cbranch_execnz .LBB44_46
.LBB44_35:                              ;   in Loop: Header=BB44_3 Depth=1
	s_or_b64 exec, exec, s[48:49]
	s_and_saveexec_b64 s[48:49], s[6:7]
	s_cbranch_execnz .LBB44_47
.LBB44_36:                              ;   in Loop: Header=BB44_3 Depth=1
	s_or_b64 exec, exec, s[48:49]
	s_and_saveexec_b64 s[48:49], s[6:7]
	s_cbranch_execnz .LBB44_48
.LBB44_37:                              ;   in Loop: Header=BB44_3 Depth=1
	s_or_b64 exec, exec, s[48:49]
	s_and_saveexec_b64 s[48:49], s[6:7]
	s_cbranch_execz .LBB44_39
.LBB44_38:                              ;   in Loop: Header=BB44_3 Depth=1
	v_lshl_add_u64 v[18:19], v[48:49], 0, v[42:43]
	v_lshl_add_u64 v[34:35], v[50:51], 0, v[42:43]
	global_load_dwordx2 v[18:19], v[18:19], off
	s_nop 0
	global_load_dwordx2 v[34:35], v[34:35], off
.LBB44_39:                              ;   in Loop: Header=BB44_3 Depth=1
	s_or_b64 exec, exec, s[48:49]
	s_waitcnt vmcnt(1)
	ds_bpermute_b32 v78, v85, v38
	ds_bpermute_b32 v79, v85, v39
	s_waitcnt vmcnt(0)
	ds_bpermute_b32 v82, v85, v80
	ds_bpermute_b32 v83, v85, v81
	ds_bpermute_b32 v86, v85, v38 offset:4
	ds_bpermute_b32 v87, v85, v39 offset:4
	s_waitcnt lgkmcnt(4)
	v_add_f64 v[20:21], v[20:21], -v[78:79]
	v_mul_f64 v[20:21], v[4:5], v[20:21]
	s_waitcnt lgkmcnt(2)
	v_fmac_f64_e32 v[76:77], v[20:21], v[82:83]
	v_add_f64 v[4:5], v[36:37], v[4:5]
	ds_bpermute_b32 v20, v85, v80 offset:4
	ds_bpermute_b32 v21, v85, v81 offset:4
	;; [unrolled: 1-line block ×4, first 2 shown]
	s_waitcnt lgkmcnt(4)
	v_add_f64 v[22:23], v[22:23], -v[86:87]
	v_mul_f64 v[22:23], v[6:7], v[22:23]
	v_add_f64 v[4:5], v[6:7], v[4:5]
	ds_bpermute_b32 v6, v85, v80 offset:8
	ds_bpermute_b32 v7, v85, v81 offset:8
	s_waitcnt lgkmcnt(4)
	v_fmac_f64_e32 v[76:77], v[22:23], v[20:21]
	s_waitcnt lgkmcnt(2)
	v_add_f64 v[20:21], v[24:25], -v[36:37]
	ds_bpermute_b32 v22, v85, v38 offset:12
	ds_bpermute_b32 v23, v85, v39 offset:12
	v_mul_f64 v[20:21], v[8:9], v[20:21]
	s_waitcnt lgkmcnt(2)
	v_fmac_f64_e32 v[76:77], v[20:21], v[6:7]
	ds_bpermute_b32 v6, v85, v80 offset:12
	ds_bpermute_b32 v7, v85, v81 offset:12
	v_add_f64 v[4:5], v[8:9], v[4:5]
	s_waitcnt lgkmcnt(2)
	v_add_f64 v[8:9], v[26:27], -v[22:23]
	ds_bpermute_b32 v20, v85, v38 offset:16
	ds_bpermute_b32 v21, v85, v39 offset:16
	v_mul_f64 v[8:9], v[10:11], v[8:9]
	s_waitcnt lgkmcnt(2)
	v_fmac_f64_e32 v[76:77], v[8:9], v[6:7]
	ds_bpermute_b32 v6, v85, v80 offset:16
	ds_bpermute_b32 v7, v85, v81 offset:16
	v_add_f64 v[4:5], v[10:11], v[4:5]
	s_waitcnt lgkmcnt(2)
	v_add_f64 v[8:9], v[28:29], -v[20:21]
	ds_bpermute_b32 v10, v85, v38 offset:20
	ds_bpermute_b32 v11, v85, v39 offset:20
	v_mul_f64 v[8:9], v[12:13], v[8:9]
	s_waitcnt lgkmcnt(2)
	v_fmac_f64_e32 v[76:77], v[8:9], v[6:7]
	ds_bpermute_b32 v6, v85, v80 offset:20
	ds_bpermute_b32 v7, v85, v81 offset:20
	s_waitcnt lgkmcnt(2)
	v_add_f64 v[8:9], v[30:31], -v[10:11]
	ds_bpermute_b32 v10, v85, v38 offset:24
	ds_bpermute_b32 v11, v85, v39 offset:24
	v_mul_f64 v[8:9], v[14:15], v[8:9]
	s_waitcnt lgkmcnt(2)
	v_fmac_f64_e32 v[76:77], v[8:9], v[6:7]
	ds_bpermute_b32 v8, v85, v80 offset:24
	ds_bpermute_b32 v9, v85, v81 offset:24
	v_add_f64 v[4:5], v[12:13], v[4:5]
	v_add_f64 v[6:7], v[14:15], v[4:5]
	ds_bpermute_b32 v82, v85, v80 offset:28
	ds_bpermute_b32 v83, v85, v81 offset:28
	;; [unrolled: 1-line block ×4, first 2 shown]
	s_waitcnt lgkmcnt(6)
	v_add_f64 v[10:11], v[32:33], -v[10:11]
	v_mul_f64 v[10:11], v[16:17], v[10:11]
	s_waitcnt lgkmcnt(4)
	v_fmac_f64_e32 v[76:77], v[10:11], v[8:9]
	v_add_f64 v[6:7], v[16:17], v[6:7]
	v_mov_b64_e32 v[38:39], v[76:77]
.LBB44_40:                              ;   in Loop: Header=BB44_3 Depth=1
	s_waitcnt lgkmcnt(0)
	v_add_f64 v[4:5], v[34:35], -v[4:5]
	v_mul_f64 v[4:5], v[18:19], v[4:5]
	s_add_u32 s46, s46, s3
	v_fmac_f64_e32 v[38:39], v[4:5], v[82:83]
	s_addc_u32 s47, s47, 0
	v_mov_b64_e32 v[4:5], s[8:9]
	s_add_u32 s26, s26, s3
	v_cmp_lt_i64_e32 vcc, s[46:47], v[4:5]
	v_add_f64 v[36:37], v[6:7], v[18:19]
	v_lshl_add_u64 v[44:45], v[44:45], 0, s[24:25]
	v_lshl_add_u64 v[46:47], v[46:47], 0, s[24:25]
	;; [unrolled: 1-line block ×16, first 2 shown]
	s_addc_u32 s27, s27, 0
	s_cbranch_vccz .LBB44_50
; %bb.41:                               ;   in Loop: Header=BB44_3 Depth=1
	v_mov_b64_e32 v[76:77], v[38:39]
	s_branch .LBB44_3
.LBB44_42:                              ;   in Loop: Header=BB44_3 Depth=1
	v_lshl_add_u64 v[4:5], v[44:45], 0, v[42:43]
	v_lshl_add_u64 v[6:7], v[46:47], 0, v[42:43]
	global_load_dwordx2 v[4:5], v[4:5], off
	v_mov_b32_e32 v8, v2
	global_load_dwordx2 v[20:21], v[6:7], off
	v_mov_b32_e32 v6, v2
	v_mov_b32_e32 v7, v2
	v_mov_b32_e32 v9, v2
	v_mov_b32_e32 v10, v2
	v_mov_b32_e32 v11, v2
	v_mov_b32_e32 v12, v2
	v_mov_b32_e32 v13, v2
	v_mov_b32_e32 v14, v2
	v_mov_b32_e32 v15, v2
	v_mov_b32_e32 v16, v2
	v_mov_b32_e32 v17, v2
	v_mov_b32_e32 v18, v2
	v_mov_b32_e32 v19, v2
	v_mov_b32_e32 v22, v2
	v_mov_b32_e32 v23, v2
	v_mov_b32_e32 v24, v2
	v_mov_b32_e32 v25, v2
	v_mov_b32_e32 v26, v2
	v_mov_b32_e32 v27, v2
	v_mov_b32_e32 v28, v2
	v_mov_b32_e32 v29, v2
	v_mov_b32_e32 v30, v2
	v_mov_b32_e32 v31, v2
	v_mov_b32_e32 v32, v2
	v_mov_b32_e32 v33, v2
	v_mov_b32_e32 v34, v2
	v_mov_b32_e32 v35, v2
	s_or_b64 exec, exec, s[48:49]
	s_and_saveexec_b64 s[48:49], s[6:7]
	s_cbranch_execz .LBB44_32
.LBB44_43:                              ;   in Loop: Header=BB44_3 Depth=1
	v_lshl_add_u64 v[6:7], v[72:73], 0, v[42:43]
	v_lshl_add_u64 v[22:23], v[74:75], 0, v[42:43]
	global_load_dwordx2 v[6:7], v[6:7], off
	s_nop 0
	global_load_dwordx2 v[22:23], v[22:23], off
	s_or_b64 exec, exec, s[48:49]
	s_and_saveexec_b64 s[48:49], s[6:7]
	s_cbranch_execz .LBB44_33
.LBB44_44:                              ;   in Loop: Header=BB44_3 Depth=1
	v_lshl_add_u64 v[8:9], v[68:69], 0, v[42:43]
	v_lshl_add_u64 v[24:25], v[70:71], 0, v[42:43]
	global_load_dwordx2 v[8:9], v[8:9], off
	s_nop 0
	global_load_dwordx2 v[24:25], v[24:25], off
	s_or_b64 exec, exec, s[48:49]
	s_and_saveexec_b64 s[48:49], s[6:7]
	s_cbranch_execz .LBB44_34
.LBB44_45:                              ;   in Loop: Header=BB44_3 Depth=1
	v_lshl_add_u64 v[10:11], v[64:65], 0, v[42:43]
	v_lshl_add_u64 v[26:27], v[66:67], 0, v[42:43]
	global_load_dwordx2 v[10:11], v[10:11], off
	s_nop 0
	global_load_dwordx2 v[26:27], v[26:27], off
	s_or_b64 exec, exec, s[48:49]
	s_and_saveexec_b64 s[48:49], s[6:7]
	s_cbranch_execz .LBB44_35
.LBB44_46:                              ;   in Loop: Header=BB44_3 Depth=1
	v_lshl_add_u64 v[12:13], v[60:61], 0, v[42:43]
	v_lshl_add_u64 v[28:29], v[62:63], 0, v[42:43]
	global_load_dwordx2 v[12:13], v[12:13], off
	s_nop 0
	global_load_dwordx2 v[28:29], v[28:29], off
	s_or_b64 exec, exec, s[48:49]
	s_and_saveexec_b64 s[48:49], s[6:7]
	s_cbranch_execz .LBB44_36
.LBB44_47:                              ;   in Loop: Header=BB44_3 Depth=1
	v_lshl_add_u64 v[14:15], v[56:57], 0, v[42:43]
	v_lshl_add_u64 v[30:31], v[58:59], 0, v[42:43]
	global_load_dwordx2 v[14:15], v[14:15], off
	s_nop 0
	global_load_dwordx2 v[30:31], v[30:31], off
	s_or_b64 exec, exec, s[48:49]
	s_and_saveexec_b64 s[48:49], s[6:7]
	s_cbranch_execz .LBB44_37
.LBB44_48:                              ;   in Loop: Header=BB44_3 Depth=1
	v_lshl_add_u64 v[16:17], v[52:53], 0, v[42:43]
	v_lshl_add_u64 v[32:33], v[54:55], 0, v[42:43]
	global_load_dwordx2 v[16:17], v[16:17], off
	s_nop 0
	global_load_dwordx2 v[32:33], v[32:33], off
	s_or_b64 exec, exec, s[48:49]
	s_and_saveexec_b64 s[48:49], s[6:7]
	s_cbranch_execnz .LBB44_38
	s_branch .LBB44_39
.LBB44_49:
                                        ; implicit-def: $vgpr36_vgpr37
                                        ; implicit-def: $vgpr38_vgpr39
	s_branch .LBB44_51
.LBB44_50:
	s_cbranch_execnz .LBB44_82
.LBB44_51:
	v_mov_b64_e32 v[36:37], 0
	s_and_b64 vcc, exec, s[4:5]
	v_mov_b64_e32 v[38:39], 0
	s_cbranch_vccnz .LBB44_82
; %bb.52:
	v_mov_b32_e32 v2, 0
	v_bfe_u32 v1, v0, 10, 10
	v_lshlrev_b32_e32 v6, 6, v1
	v_mov_b32_e32 v7, v2
	v_lshl_add_u64 v[6:7], s[20:21], 3, v[6:7]
	v_lshl_add_u64 v[8:9], v[6:7], 0, 8
	v_mov_b64_e32 v[10:11], s[12:13]
	v_mov_b64_e32 v[22:23], s[14:15]
	v_lshlrev_b32_e32 v40, 3, v1
	v_mov_b32_e32 v41, v2
	v_mad_u64_u32 v[42:43], s[4:5], s10, v8, v[10:11]
	v_mul_lo_u32 v3, s10, v9
	v_mul_lo_u32 v9, s11, v8
	v_lshl_add_u64 v[12:13], v[6:7], 0, 16
	v_lshl_add_u64 v[14:15], v[6:7], 0, 24
	;; [unrolled: 1-line block ×5, first 2 shown]
	v_mad_u64_u32 v[52:53], s[4:5], s10, v8, v[22:23]
	v_lshl_add_u64 v[6:7], v[6:7], 0, 56
	v_lshl_add_u64 v[4:5], v[40:41], 0, s[20:21]
	v_add3_u32 v43, v9, v43, v3
	v_add3_u32 v53, v9, v53, v3
	v_mad_u64_u32 v[58:59], s[4:5], s10, v6, v[10:11]
	v_mul_lo_u32 v7, s10, v7
	v_mul_lo_u32 v9, s11, v6
	v_mad_u64_u32 v[68:69], s[4:5], s10, v6, v[22:23]
	v_mad_u64_u32 v[54:55], s[4:5], s10, v20, v[10:11]
	v_mul_lo_u32 v3, s10, v21
	v_mul_lo_u32 v8, s11, v20
	v_add3_u32 v59, v9, v59, v7
	v_mad_u64_u32 v[66:67], s[4:5], s10, v20, v[22:23]
	v_add3_u32 v69, v9, v69, v7
	v_lshl_add_u64 v[6:7], v[4:5], 0, 7
	v_add3_u32 v55, v8, v55, v3
	v_add3_u32 v67, v8, v67, v3
	v_mul_lo_u32 v3, s11, v6
	v_mul_lo_u32 v8, s10, v7
	v_mad_u64_u32 v[6:7], s[4:5], s10, v6, 0
	v_add3_u32 v7, v7, v8, v3
	v_lshl_add_u64 v[8:9], v[4:5], 0, 6
	v_mad_u64_u32 v[44:45], s[4:5], s10, v12, v[10:11]
	v_mad_u64_u32 v[46:47], s[4:5], s10, v14, v[10:11]
	;; [unrolled: 1-line block ×4, first 2 shown]
	v_mul_lo_u32 v3, s11, v8
	v_mul_lo_u32 v10, s10, v9
	v_mad_u64_u32 v[8:9], s[4:5], s10, v8, 0
	v_add3_u32 v9, v9, v10, v3
	v_lshl_add_u64 v[10:11], v[4:5], 0, 5
	v_mul_lo_u32 v13, s10, v13
	v_mul_lo_u32 v24, s11, v12
	v_mad_u64_u32 v[56:57], s[4:5], s10, v12, v[22:23]
	v_mul_lo_u32 v3, s11, v10
	v_mul_lo_u32 v12, s10, v11
	v_mad_u64_u32 v[10:11], s[4:5], s10, v10, 0
	v_add3_u32 v45, v24, v45, v13
	v_add3_u32 v57, v24, v57, v13
	v_add3_u32 v11, v11, v12, v3
	v_lshl_add_u64 v[12:13], v[4:5], 0, 4
	v_mul_lo_u32 v15, s10, v15
	v_mul_lo_u32 v25, s11, v14
	v_mad_u64_u32 v[60:61], s[4:5], s10, v14, v[22:23]
	v_mul_lo_u32 v3, s11, v12
	v_mul_lo_u32 v14, s10, v13
	v_mad_u64_u32 v[12:13], s[4:5], s10, v12, 0
	v_add3_u32 v47, v25, v47, v15
	v_add3_u32 v61, v25, v61, v15
	;; [unrolled: 10-line block ×4, first 2 shown]
	v_add3_u32 v17, v17, v18, v3
	v_mov_b64_e32 v[18:19], s[10:11]
	v_mad_u64_u32 v[18:19], s[4:5], s10, v4, v[18:19]
	v_mul_lo_u32 v3, s11, v4
	v_mul_lo_u32 v20, s10, v5
	v_mad_u64_u32 v[4:5], s[4:5], s10, v4, 0
	v_add3_u32 v5, v5, v20, v3
	s_load_dword s3, s[0:1], 0x44
	v_lshlrev_b64 v[4:5], 3, v[4:5]
	v_lshl_add_u64 v[72:73], s[12:13], 0, v[4:5]
	v_lshl_add_u64 v[74:75], s[14:15], 0, v[4:5]
	v_lshlrev_b64 v[4:5], 3, v[6:7]
	v_lshl_add_u64 v[76:77], s[12:13], 0, v[4:5]
	v_lshl_add_u64 v[78:79], s[14:15], 0, v[4:5]
	v_lshlrev_b64 v[4:5], 3, v[8:9]
	s_add_u32 s4, s0, 64
	v_lshl_add_u64 v[80:81], s[12:13], 0, v[4:5]
	v_lshl_add_u64 v[82:83], s[14:15], 0, v[4:5]
	v_lshlrev_b64 v[4:5], 3, v[10:11]
	s_addc_u32 s5, s1, 0
	s_waitcnt lgkmcnt(0)
	s_lshl_b32 s3, s3, 7
	v_lshl_add_u64 v[84:85], s[12:13], 0, v[4:5]
	v_lshl_add_u64 v[86:87], s[14:15], 0, v[4:5]
	v_lshlrev_b64 v[4:5], 3, v[12:13]
	s_mul_i32 s6, s11, s3
	s_mul_hi_u32 s7, s10, s3
	v_lshl_add_u64 v[88:89], s[12:13], 0, v[4:5]
	v_lshl_add_u64 v[90:91], s[14:15], 0, v[4:5]
	v_lshlrev_b64 v[4:5], 3, v[14:15]
	v_add3_u32 v19, v3, v19, v20
	s_add_i32 s7, s7, s6
	s_mul_i32 s6, s10, s3
	v_lshl_add_u64 v[92:93], s[12:13], 0, v[4:5]
	v_lshl_add_u64 v[94:95], s[14:15], 0, v[4:5]
	v_lshlrev_b64 v[4:5], 3, v[16:17]
	v_mbcnt_lo_u32_b32 v3, -1, 0
	v_and_b32_e32 v110, 0x3ff, v0
	s_lshl_b64 s[6:7], s[6:7], 3
	v_lshl_add_u64 v[96:97], s[12:13], 0, v[4:5]
	v_lshl_add_u64 v[98:99], s[14:15], 0, v[4:5]
	v_lshlrev_b64 v[4:5], 3, v[18:19]
	v_mbcnt_hi_u32_b32 v3, -1, v3
	v_add_u32_e32 v20, s33, v110
	v_mov_b32_e32 v21, v2
	s_add_u32 s22, s20, 0x7f
	v_lshl_add_u64 v[100:101], s[12:13], 0, v[4:5]
	v_lshl_add_u64 v[102:103], s[14:15], 0, v[4:5]
	s_movk_i32 s12, 0xff81
	s_movk_i32 s14, 0xff82
	;; [unrolled: 1-line block ×8, first 2 shown]
	v_lshlrev_b32_e32 v3, 2, v3
	v_lshlrev_b64 v[70:71], 3, v[20:21]
	s_addc_u32 s23, 0, 0
	s_mov_b32 s13, -1
	s_mov_b32 s15, -1
	;; [unrolled: 1-line block ×8, first 2 shown]
	v_and_b32_e32 v111, 0x100, v3
	v_mov_b64_e32 v[38:39], 0
	v_mov_b64_e32 v[36:37], 0
	s_branch .LBB44_56
.LBB44_53:                              ;   in Loop: Header=BB44_56 Depth=1
	s_or_b64 exec, exec, s[40:41]
.LBB44_54:                              ;   in Loop: Header=BB44_56 Depth=1
	s_or_b64 exec, exec, s[38:39]
	v_lshl_add_u64 v[10:11], v[52:53], 0, v[70:71]
	v_lshl_add_u64 v[8:9], v[74:75], 0, v[70:71]
	global_load_dwordx2 v[10:11], v[10:11], off
	v_lshl_add_u64 v[18:19], v[72:73], 0, v[70:71]
	global_load_dwordx2 v[8:9], v[8:9], off
	v_lshl_add_u64 v[12:13], v[56:57], 0, v[70:71]
	global_load_dwordx2 v[18:19], v[18:19], off
	v_lshl_add_u64 v[14:15], v[60:61], 0, v[70:71]
	global_load_dwordx2 v[12:13], v[12:13], off
	v_lshl_add_u64 v[16:17], v[62:63], 0, v[70:71]
	global_load_dwordx2 v[14:15], v[14:15], off
	v_lshl_add_u64 v[20:21], v[42:43], 0, v[70:71]
	global_load_dwordx2 v[16:17], v[16:17], off
	v_lshl_add_u64 v[22:23], v[44:45], 0, v[70:71]
	global_load_dwordx2 v[24:25], v[20:21], off
	global_load_dwordx2 v[26:27], v[22:23], off
	v_lshl_add_u64 v[30:31], v[64:65], 0, v[70:71]
	s_waitcnt vmcnt(9)
	ds_bpermute_b32 v104, v111, v6 offset:4
	ds_bpermute_b32 v105, v111, v7 offset:4
	global_load_dwordx2 v[30:31], v[30:31], off
	ds_bpermute_b32 v34, v111, v6
	ds_bpermute_b32 v35, v111, v7
	v_lshl_add_u64 v[20:21], v[46:47], 0, v[70:71]
	global_load_dwordx2 v[20:21], v[20:21], off
	v_lshl_add_u64 v[118:119], v[66:67], 0, v[70:71]
	v_lshl_add_u64 v[22:23], v[48:49], 0, v[70:71]
	global_load_dwordx2 v[118:119], v[118:119], off
	v_lshl_add_u64 v[28:29], v[50:51], 0, v[70:71]
	v_lshl_add_u64 v[32:33], v[54:55], 0, v[70:71]
	global_load_dwordx2 v[120:121], v[22:23], off
	global_load_dwordx2 v[122:123], v[28:29], off
	;; [unrolled: 1-line block ×3, first 2 shown]
	ds_bpermute_b32 v106, v111, v6 offset:8
	ds_bpermute_b32 v107, v111, v7 offset:8
	;; [unrolled: 1-line block ×12, first 2 shown]
	s_waitcnt vmcnt(13) lgkmcnt(14)
	v_add_f64 v[10:11], v[10:11], -v[104:105]
	v_lshl_add_u64 v[104:105], v[68:69], 0, v[70:71]
	s_waitcnt vmcnt(12) lgkmcnt(12)
	v_add_f64 v[8:9], v[8:9], -v[34:35]
	v_lshl_add_u64 v[34:35], v[58:59], 0, v[70:71]
	global_load_dwordx2 v[22:23], v[104:105], off
	s_waitcnt vmcnt(12)
	v_add_f64 v[28:29], v[36:37], v[18:19]
	v_mul_f64 v[8:9], v[18:19], v[8:9]
	global_load_dwordx2 v[18:19], v[34:35], off
	s_waitcnt vmcnt(12) lgkmcnt(10)
	v_add_f64 v[12:13], v[12:13], -v[106:107]
	ds_bpermute_b32 v106, v111, v4
	ds_bpermute_b32 v107, v111, v5
	s_waitcnt vmcnt(11) lgkmcnt(10)
	v_add_f64 v[14:15], v[14:15], -v[108:109]
	ds_bpermute_b32 v108, v111, v4 offset:4
	ds_bpermute_b32 v109, v111, v5 offset:4
	s_waitcnt vmcnt(10) lgkmcnt(10)
	v_add_f64 v[16:17], v[16:17], -v[112:113]
	ds_bpermute_b32 v112, v111, v4 offset:8
	ds_bpermute_b32 v113, v111, v5 offset:8
	s_waitcnt vmcnt(9)
	v_mul_f64 v[10:11], v[24:25], v[10:11]
	s_waitcnt lgkmcnt(4)
	v_fmac_f64_e32 v[38:39], v[8:9], v[106:107]
	s_waitcnt lgkmcnt(2)
	v_fmac_f64_e32 v[38:39], v[10:11], v[108:109]
	ds_bpermute_b32 v10, v111, v4 offset:12
	ds_bpermute_b32 v11, v111, v5 offset:12
	s_waitcnt vmcnt(7)
	v_add_f64 v[8:9], v[30:31], -v[114:115]
	ds_bpermute_b32 v30, v111, v4 offset:16
	ds_bpermute_b32 v31, v111, v5 offset:16
	v_add_f64 v[24:25], v[28:29], v[24:25]
	ds_bpermute_b32 v28, v111, v4 offset:20
	ds_bpermute_b32 v29, v111, v5 offset:20
	v_mul_f64 v[12:13], v[26:27], v[12:13]
	v_add_f64 v[24:25], v[24:25], v[26:27]
	ds_bpermute_b32 v26, v111, v4 offset:24
	ds_bpermute_b32 v27, v111, v5 offset:24
	s_waitcnt lgkmcnt(8)
	v_fmac_f64_e32 v[38:39], v[12:13], v[112:113]
	s_waitcnt vmcnt(6)
	v_mul_f64 v[14:15], v[20:21], v[14:15]
	v_add_f64 v[20:21], v[24:25], v[20:21]
	ds_bpermute_b32 v24, v111, v4 offset:28
	ds_bpermute_b32 v25, v111, v5 offset:28
	s_waitcnt vmcnt(4)
	v_mul_f64 v[16:17], v[120:121], v[16:17]
	s_waitcnt lgkmcnt(8)
	v_fmac_f64_e32 v[38:39], v[14:15], v[10:11]
	v_add_f64 v[12:13], v[118:119], -v[116:117]
	s_waitcnt vmcnt(3)
	v_mul_f64 v[8:9], v[122:123], v[8:9]
	s_waitcnt lgkmcnt(6)
	v_fmac_f64_e32 v[38:39], v[16:17], v[30:31]
	s_waitcnt vmcnt(2)
	v_mul_f64 v[12:13], v[124:125], v[12:13]
	v_add_f64 v[20:21], v[20:21], v[120:121]
	s_waitcnt lgkmcnt(4)
	v_fmac_f64_e32 v[38:39], v[8:9], v[28:29]
	v_add_f64 v[10:11], v[20:21], v[122:123]
	s_waitcnt lgkmcnt(2)
	v_fmac_f64_e32 v[38:39], v[12:13], v[26:27]
	v_add_f64 v[4:5], v[10:11], v[124:125]
	v_mov_b64_e32 v[20:21], v[38:39]
	s_waitcnt vmcnt(1)
	v_add_f64 v[6:7], v[22:23], -v[6:7]
	s_waitcnt vmcnt(0)
	v_mul_f64 v[6:7], v[18:19], v[6:7]
	s_waitcnt lgkmcnt(0)
	v_mul_f64 v[6:7], v[6:7], v[24:25]
.LBB44_55:                              ;   in Loop: Header=BB44_56 Depth=1
	s_add_u32 s20, s20, s3
	v_add_f64 v[36:37], v[4:5], v[18:19]
	s_addc_u32 s21, s21, 0
	v_mov_b64_e32 v[4:5], s[8:9]
	s_add_u32 s22, s22, s3
	v_cmp_ge_i64_e32 vcc, s[20:21], v[4:5]
	v_add_f64 v[38:39], v[20:21], v[6:7]
	v_lshl_add_u64 v[72:73], v[72:73], 0, s[6:7]
	v_lshl_add_u64 v[74:75], v[74:75], 0, s[6:7]
	s_addc_u32 s23, s23, 0
	v_lshl_add_u64 v[42:43], v[42:43], 0, s[6:7]
	v_lshl_add_u64 v[44:45], v[44:45], 0, s[6:7]
	;; [unrolled: 1-line block ×28, first 2 shown]
	s_cbranch_vccnz .LBB44_82
.LBB44_56:                              ; =>This Inner Loop Header: Depth=1
	v_mov_b64_e32 v[4:5], s[8:9]
	v_cmp_ge_i64_e32 vcc, s[22:23], v[4:5]
	v_lshl_add_u64 v[104:105], v[40:41], 0, s[22:23]
	s_mov_b64 s[38:39], -1
	s_and_b64 vcc, exec, vcc
                                        ; implicit-def: $vgpr18_vgpr19
                                        ; implicit-def: $vgpr6_vgpr7
                                        ; implicit-def: $vgpr4_vgpr5
                                        ; implicit-def: $vgpr20_vgpr21
	s_cbranch_vccz .LBB44_78
; %bb.57:                               ;   in Loop: Header=BB44_56 Depth=1
	s_load_dword s33, s[4:5], 0xc
	v_mov_b64_e32 v[106:107], 0
	v_mov_b64_e32 v[108:109], 0
	s_waitcnt lgkmcnt(0)
	s_and_b32 s33, s33, 0xffff
	v_mad_u32_u24 v3, v1, s33, v110
	v_and_b32_e32 v4, 63, v3
	v_cmp_gt_u32_e32 vcc, 8, v4
	s_and_saveexec_b64 s[38:39], vcc
	s_cbranch_execz .LBB44_61
; %bb.58:                               ;   in Loop: Header=BB44_56 Depth=1
	v_mov_b32_e32 v5, v2
	v_lshl_add_u64 v[4:5], v[104:105], 0, v[4:5]
	v_lshl_add_u64 v[4:5], v[4:5], 0, s[12:13]
	v_cmp_gt_i64_e32 vcc, s[8:9], v[4:5]
	v_mov_b64_e32 v[108:109], 0
	v_mov_b64_e32 v[106:107], 0
	s_and_saveexec_b64 s[40:41], vcc
	s_cbranch_execz .LBB44_60
; %bb.59:                               ;   in Loop: Header=BB44_56 Depth=1
	v_lshlrev_b64 v[4:5], 3, v[4:5]
	v_lshl_add_u64 v[6:7], s[18:19], 0, v[4:5]
	v_lshl_add_u64 v[4:5], s[16:17], 0, v[4:5]
	global_load_dwordx2 v[108:109], v[4:5], off
	global_load_dwordx2 v[106:107], v[6:7], off
.LBB44_60:                              ;   in Loop: Header=BB44_56 Depth=1
	s_or_b64 exec, exec, s[40:41]
.LBB44_61:                              ;   in Loop: Header=BB44_56 Depth=1
	s_or_b64 exec, exec, s[38:39]
	v_lshl_add_u64 v[4:5], v[104:105], 0, s[12:13]
	v_mov_b32_e32 v16, v2
	v_mov_b32_e32 v17, v2
	v_cmp_gt_i64_e32 vcc, s[8:9], v[4:5]
	v_mov_b32_e32 v3, v2
	v_mov_b32_e32 v4, v2
	;; [unrolled: 1-line block ×13, first 2 shown]
	v_mov_b64_e32 v[34:35], v[16:17]
	v_mov_b64_e32 v[32:33], v[14:15]
	;; [unrolled: 1-line block ×16, first 2 shown]
	s_and_saveexec_b64 s[38:39], vcc
	s_cbranch_execz .LBB44_63
; %bb.62:                               ;   in Loop: Header=BB44_56 Depth=1
	v_lshl_add_u64 v[4:5], v[72:73], 0, v[70:71]
	v_lshl_add_u64 v[6:7], v[74:75], 0, v[70:71]
	global_load_dwordx2 v[4:5], v[4:5], off
	v_mov_b32_e32 v8, v2
	global_load_dwordx2 v[20:21], v[6:7], off
	v_mov_b32_e32 v6, v2
	v_mov_b32_e32 v7, v2
	;; [unrolled: 1-line block ×27, first 2 shown]
.LBB44_63:                              ;   in Loop: Header=BB44_56 Depth=1
	s_or_b64 exec, exec, s[38:39]
	v_lshl_add_u64 v[112:113], v[104:105], 0, s[14:15]
	v_cmp_gt_i64_e32 vcc, s[8:9], v[112:113]
	s_and_saveexec_b64 s[38:39], vcc
	s_cbranch_execz .LBB44_65
; %bb.64:                               ;   in Loop: Header=BB44_56 Depth=1
	v_lshl_add_u64 v[6:7], v[100:101], 0, v[70:71]
	v_lshl_add_u64 v[22:23], v[102:103], 0, v[70:71]
	global_load_dwordx2 v[6:7], v[6:7], off
	s_nop 0
	global_load_dwordx2 v[22:23], v[22:23], off
.LBB44_65:                              ;   in Loop: Header=BB44_56 Depth=1
	s_or_b64 exec, exec, s[38:39]
	v_lshl_add_u64 v[112:113], v[104:105], 0, s[24:25]
	v_cmp_gt_i64_e32 vcc, s[8:9], v[112:113]
	s_and_saveexec_b64 s[38:39], vcc
	s_cbranch_execz .LBB44_67
; %bb.66:                               ;   in Loop: Header=BB44_56 Depth=1
	v_lshl_add_u64 v[8:9], v[96:97], 0, v[70:71]
	v_lshl_add_u64 v[24:25], v[98:99], 0, v[70:71]
	global_load_dwordx2 v[8:9], v[8:9], off
	s_nop 0
	global_load_dwordx2 v[24:25], v[24:25], off
.LBB44_67:                              ;   in Loop: Header=BB44_56 Depth=1
	;; [unrolled: 12-line block ×7, first 2 shown]
	s_or_b64 exec, exec, s[38:39]
	s_waitcnt vmcnt(1)
	ds_bpermute_b32 v112, v111, v108
	ds_bpermute_b32 v113, v111, v109
	s_waitcnt vmcnt(0)
	ds_bpermute_b32 v114, v111, v106
	ds_bpermute_b32 v115, v111, v107
	ds_bpermute_b32 v116, v111, v108 offset:4
	ds_bpermute_b32 v117, v111, v109 offset:4
	s_waitcnt lgkmcnt(4)
	v_add_f64 v[20:21], v[20:21], -v[112:113]
	v_mul_f64 v[20:21], v[4:5], v[20:21]
	s_waitcnt lgkmcnt(2)
	v_fma_f64 v[20:21], v[20:21], v[114:115], v[38:39]
	ds_bpermute_b32 v112, v111, v106 offset:4
	ds_bpermute_b32 v113, v111, v107 offset:4
	ds_bpermute_b32 v114, v111, v108 offset:8
	ds_bpermute_b32 v115, v111, v109 offset:8
	v_add_f64 v[4:5], v[36:37], v[4:5]
	s_waitcnt lgkmcnt(4)
	v_add_f64 v[22:23], v[22:23], -v[116:117]
	v_mul_f64 v[22:23], v[6:7], v[22:23]
	v_add_f64 v[4:5], v[6:7], v[4:5]
	ds_bpermute_b32 v6, v111, v106 offset:8
	ds_bpermute_b32 v7, v111, v107 offset:8
	s_waitcnt lgkmcnt(4)
	v_fmac_f64_e32 v[20:21], v[22:23], v[112:113]
	s_waitcnt lgkmcnt(2)
	v_add_f64 v[22:23], v[24:25], -v[114:115]
	ds_bpermute_b32 v24, v111, v108 offset:12
	ds_bpermute_b32 v25, v111, v109 offset:12
	v_mul_f64 v[22:23], v[8:9], v[22:23]
	s_waitcnt lgkmcnt(2)
	v_fmac_f64_e32 v[20:21], v[22:23], v[6:7]
	ds_bpermute_b32 v6, v111, v106 offset:12
	ds_bpermute_b32 v7, v111, v107 offset:12
	v_add_f64 v[4:5], v[8:9], v[4:5]
	s_waitcnt lgkmcnt(2)
	v_add_f64 v[8:9], v[26:27], -v[24:25]
	ds_bpermute_b32 v22, v111, v108 offset:16
	ds_bpermute_b32 v23, v111, v109 offset:16
	v_mul_f64 v[8:9], v[10:11], v[8:9]
	s_waitcnt lgkmcnt(2)
	v_fmac_f64_e32 v[20:21], v[8:9], v[6:7]
	v_add_f64 v[4:5], v[10:11], v[4:5]
	ds_bpermute_b32 v6, v111, v106 offset:16
	ds_bpermute_b32 v7, v111, v107 offset:16
	;; [unrolled: 1-line block ×4, first 2 shown]
	s_waitcnt lgkmcnt(4)
	v_add_f64 v[8:9], v[28:29], -v[22:23]
	v_mul_f64 v[8:9], v[12:13], v[8:9]
	s_waitcnt lgkmcnt(2)
	v_fmac_f64_e32 v[20:21], v[8:9], v[6:7]
	ds_bpermute_b32 v6, v111, v106 offset:20
	ds_bpermute_b32 v7, v111, v107 offset:20
	s_waitcnt lgkmcnt(2)
	v_add_f64 v[8:9], v[30:31], -v[10:11]
	ds_bpermute_b32 v10, v111, v108 offset:24
	ds_bpermute_b32 v11, v111, v109 offset:24
	v_mul_f64 v[8:9], v[14:15], v[8:9]
	s_waitcnt lgkmcnt(2)
	v_fmac_f64_e32 v[20:21], v[8:9], v[6:7]
	ds_bpermute_b32 v6, v111, v106 offset:24
	ds_bpermute_b32 v7, v111, v107 offset:24
	s_waitcnt lgkmcnt(2)
	v_add_f64 v[8:9], v[32:33], -v[10:11]
	ds_bpermute_b32 v10, v111, v108 offset:28
	ds_bpermute_b32 v11, v111, v109 offset:28
	v_add_f64 v[4:5], v[12:13], v[4:5]
	ds_bpermute_b32 v12, v111, v106 offset:28
	ds_bpermute_b32 v13, v111, v107 offset:28
	v_mul_f64 v[8:9], v[16:17], v[8:9]
	s_waitcnt lgkmcnt(4)
	v_fmac_f64_e32 v[20:21], v[8:9], v[6:7]
	s_waitcnt lgkmcnt(2)
	v_add_f64 v[6:7], v[34:35], -v[10:11]
	v_add_f64 v[4:5], v[14:15], v[4:5]
	v_mul_f64 v[6:7], v[18:19], v[6:7]
	v_add_f64 v[4:5], v[16:17], v[4:5]
	s_waitcnt lgkmcnt(0)
	v_mul_f64 v[6:7], v[6:7], v[12:13]
	s_mov_b64 s[38:39], 0
.LBB44_78:                              ;   in Loop: Header=BB44_56 Depth=1
	s_and_b64 vcc, exec, s[38:39]
	s_cbranch_vccz .LBB44_55
; %bb.79:                               ;   in Loop: Header=BB44_56 Depth=1
	s_load_dword s33, s[4:5], 0x0
	v_mov_b64_e32 v[4:5], 0
	v_mov_b64_e32 v[6:7], 0
	s_waitcnt lgkmcnt(0)
	s_cmp_lt_u32 s2, s33
	s_cselect_b32 s33, 12, 18
	s_add_u32 s38, s4, s33
	s_addc_u32 s39, s5, 0
	global_load_ushort v3, v2, s[38:39]
	s_waitcnt vmcnt(0)
	v_mad_u32_u24 v3, v1, v3, v110
	v_and_b32_e32 v8, 63, v3
	v_cmp_gt_u32_e32 vcc, 8, v8
	s_and_saveexec_b64 s[38:39], vcc
	s_cbranch_execz .LBB44_54
; %bb.80:                               ;   in Loop: Header=BB44_56 Depth=1
	v_mov_b32_e32 v9, v2
	v_lshl_add_u64 v[4:5], v[104:105], 0, v[8:9]
	v_lshl_add_u64 v[8:9], v[4:5], 0, s[12:13]
	v_cmp_gt_i64_e32 vcc, s[8:9], v[8:9]
	v_mov_b64_e32 v[6:7], 0
	v_mov_b64_e32 v[4:5], 0
	s_and_saveexec_b64 s[40:41], vcc
	s_cbranch_execz .LBB44_53
; %bb.81:                               ;   in Loop: Header=BB44_56 Depth=1
	v_lshlrev_b64 v[4:5], 3, v[8:9]
	v_lshl_add_u64 v[10:11], s[16:17], 0, v[4:5]
	v_lshl_add_u64 v[8:9], s[18:19], 0, v[4:5]
	global_load_dwordx2 v[6:7], v[10:11], off
	global_load_dwordx2 v[4:5], v[8:9], off
	s_branch .LBB44_53
.LBB44_82:
	v_and_b32_e32 v1, 0x3ff, v0
	v_bfe_u32 v0, v0, 10, 10
	v_mad_u32_u24 v2, v0, 33, v1
	v_sub_u32_e32 v9, v2, v0
	s_movk_i32 s3, 0x800
	v_lshl_add_u32 v3, v2, 3, 0
	v_cmp_gt_u32_e32 vcc, s3, v9
	ds_write_b64 v3, v[38:39]
	ds_write_b64 v3, v[36:37] offset:4224
	s_waitcnt lgkmcnt(0)
	s_barrier
	s_and_saveexec_b64 s[4:5], vcc
	s_cbranch_execz .LBB44_114
; %bb.83:
	s_load_dwordx4 s[4:7], s[0:1], 0x30
	v_and_b32_e32 v2, 63, v9
	v_lshrrev_b32_e32 v0, 6, v9
	v_cmp_gt_u32_e64 s[0:1], 16, v2
	v_mul_u32_u24_e32 v8, 33, v2
                                        ; implicit-def: $vgpr2_vgpr3
                                        ; implicit-def: $vgpr4_vgpr5
	s_and_saveexec_b64 s[8:9], s[0:1]
	s_cbranch_execz .LBB44_85
; %bb.84:
	v_add_u32_e32 v2, v0, v8
	v_lshl_add_u32 v2, v2, 3, 0
	ds_read_b64 v[4:5], v2
	ds_read_b64 v[2:3], v2 offset:4224
.LBB44_85:
	s_or_b64 exec, exec, s[8:9]
	v_mbcnt_lo_u32_b32 v6, -1, 0
	v_mbcnt_hi_u32_b32 v16, -1, v6
	v_and_b32_e32 v6, 64, v16
	v_add_u32_e32 v17, 64, v6
	v_xor_b32_e32 v6, 8, v16
	v_cmp_lt_i32_e32 vcc, v6, v17
	s_mov_b32 s3, 0
	s_lshl_b64 s[8:9], s[2:3], 5
	v_cndmask_b32_e32 v6, v16, v6, vcc
	v_lshlrev_b32_e32 v10, 2, v6
	s_waitcnt lgkmcnt(0)
	ds_bpermute_b32 v6, v10, v4
	ds_bpermute_b32 v7, v10, v5
	;; [unrolled: 1-line block ×4, first 2 shown]
	v_cmp_eq_u32_e64 s[2:3], 0, v1
	v_xor_b32_e32 v1, 1, v16
	s_waitcnt lgkmcnt(2)
	v_add_f64 v[4:5], v[4:5], v[6:7]
	v_xor_b32_e32 v6, 4, v16
	v_cmp_lt_i32_e32 vcc, v6, v17
	s_waitcnt lgkmcnt(0)
	v_add_f64 v[2:3], v[2:3], v[12:13]
	s_cmp_lg_u64 s[4:5], 0
	v_cndmask_b32_e32 v6, v16, v6, vcc
	v_lshlrev_b32_e32 v11, 2, v6
	ds_bpermute_b32 v6, v11, v4
	ds_bpermute_b32 v7, v11, v5
	;; [unrolled: 1-line block ×4, first 2 shown]
	s_cselect_b64 s[14:15], -1, 0
	s_cmp_lg_u64 s[6:7], 0
	s_waitcnt lgkmcnt(2)
	v_add_f64 v[4:5], v[4:5], v[6:7]
	v_xor_b32_e32 v6, 2, v16
	v_cmp_lt_i32_e32 vcc, v6, v17
	s_waitcnt lgkmcnt(0)
	v_add_f64 v[2:3], v[2:3], v[12:13]
	s_cselect_b64 s[12:13], -1, 0
	v_cndmask_b32_e32 v6, v16, v6, vcc
	v_lshlrev_b32_e32 v12, 2, v6
	ds_bpermute_b32 v6, v12, v4
	ds_bpermute_b32 v7, v12, v5
	;; [unrolled: 1-line block ×4, first 2 shown]
	v_cmp_lt_i32_e32 vcc, v1, v17
	s_waitcnt lgkmcnt(2)
	v_add_f64 v[4:5], v[4:5], v[6:7]
	v_cndmask_b32_e32 v1, v16, v1, vcc
	s_waitcnt lgkmcnt(0)
	v_add_f64 v[6:7], v[2:3], v[14:15]
	v_lshlrev_b32_e32 v13, 2, v1
	ds_bpermute_b32 v2, v13, v4
	ds_bpermute_b32 v3, v13, v5
	ds_bpermute_b32 v14, v13, v6
	ds_bpermute_b32 v15, v13, v7
	v_mov_b32_e32 v1, 0
	s_waitcnt lgkmcnt(2)
	v_add_f64 v[2:3], v[4:5], v[2:3]
	s_waitcnt lgkmcnt(0)
	v_add_f64 v[4:5], v[6:7], v[14:15]
	v_or_b32_e32 v6, s8, v0
	v_mov_b32_e32 v7, s9
	v_cmp_gt_i64_e32 vcc, s[10:11], v[6:7]
	s_and_b64 s[18:19], s[2:3], vcc
	s_and_saveexec_b64 s[16:17], s[18:19]
	s_cbranch_execz .LBB44_90
; %bb.86:
	s_andn2_b64 vcc, exec, s[14:15]
	s_cbranch_vccnz .LBB44_88
; %bb.87:
	v_lshl_add_u64 v[14:15], v[6:7], 3, s[4:5]
	global_store_dwordx2 v[14:15], v[2:3], off
.LBB44_88:
	s_andn2_b64 vcc, exec, s[12:13]
	s_cbranch_vccnz .LBB44_90
; %bb.89:
	v_lshl_add_u64 v[6:7], v[6:7], 3, s[6:7]
	global_store_dwordx2 v[6:7], v[4:5], off
.LBB44_90:
	s_or_b64 exec, exec, s[16:17]
	s_movk_i32 s16, 0x600
	v_cmp_gt_u32_e32 vcc, s16, v9
	s_and_b64 exec, exec, vcc
	s_cbranch_execz .LBB44_114
; %bb.91:
	s_and_saveexec_b64 s[16:17], s[0:1]
	s_cbranch_execz .LBB44_93
; %bb.92:
	v_add_u32_e32 v2, v0, v8
	v_lshl_add_u32 v4, v2, 3, 0
	ds_read_b64 v[2:3], v4 offset:64
	ds_read_b64 v[4:5], v4 offset:4288
.LBB44_93:
	s_or_b64 exec, exec, s[16:17]
	s_waitcnt lgkmcnt(1)
	ds_bpermute_b32 v6, v10, v2
	ds_bpermute_b32 v7, v10, v3
	s_waitcnt lgkmcnt(2)
	ds_bpermute_b32 v14, v10, v4
	ds_bpermute_b32 v15, v10, v5
	v_add_u32_e32 v16, 8, v0
	v_mov_b32_e32 v17, 0
	s_waitcnt lgkmcnt(2)
	v_add_f64 v[2:3], v[2:3], v[6:7]
	ds_bpermute_b32 v6, v11, v2
	ds_bpermute_b32 v7, v11, v3
	s_waitcnt lgkmcnt(2)
	v_add_f64 v[4:5], v[4:5], v[14:15]
	ds_bpermute_b32 v14, v11, v4
	ds_bpermute_b32 v15, v11, v5
	;; [unrolled: 4-line block ×6, first 2 shown]
	s_waitcnt lgkmcnt(2)
	v_add_f64 v[2:3], v[2:3], v[6:7]
	v_lshl_add_u64 v[6:7], s[8:9], 0, v[16:17]
	v_cmp_gt_i64_e32 vcc, s[10:11], v[6:7]
	s_waitcnt lgkmcnt(0)
	v_add_f64 v[4:5], v[4:5], v[14:15]
	s_and_b64 s[18:19], s[2:3], vcc
	s_and_saveexec_b64 s[16:17], s[18:19]
	s_cbranch_execz .LBB44_98
; %bb.94:
	s_andn2_b64 vcc, exec, s[14:15]
	s_cbranch_vccnz .LBB44_96
; %bb.95:
	v_lshl_add_u64 v[6:7], s[8:9], 0, v[0:1]
	v_lshl_add_u64 v[6:7], v[6:7], 3, s[4:5]
	global_store_dwordx2 v[6:7], v[2:3], off offset:64
.LBB44_96:
	s_andn2_b64 vcc, exec, s[12:13]
	s_cbranch_vccnz .LBB44_98
; %bb.97:
	v_lshl_add_u64 v[6:7], s[8:9], 0, v[0:1]
	v_lshl_add_u64 v[6:7], v[6:7], 3, s[6:7]
	global_store_dwordx2 v[6:7], v[4:5], off offset:64
.LBB44_98:
	s_or_b64 exec, exec, s[16:17]
	s_movk_i32 s16, 0x400
	v_cmp_gt_u32_e32 vcc, s16, v9
	s_and_b64 exec, exec, vcc
	s_cbranch_execz .LBB44_114
; %bb.99:
	s_and_saveexec_b64 s[16:17], s[0:1]
	s_cbranch_execz .LBB44_101
; %bb.100:
	v_add_u32_e32 v2, v0, v8
	v_lshl_add_u32 v4, v2, 3, 0
	ds_read_b64 v[2:3], v4 offset:128
	ds_read_b64 v[4:5], v4 offset:4352
.LBB44_101:
	s_or_b64 exec, exec, s[16:17]
	s_waitcnt lgkmcnt(1)
	ds_bpermute_b32 v6, v10, v2
	ds_bpermute_b32 v7, v10, v3
	s_waitcnt lgkmcnt(2)
	ds_bpermute_b32 v14, v10, v4
	ds_bpermute_b32 v15, v10, v5
	v_add_u32_e32 v16, 16, v0
	s_waitcnt lgkmcnt(2)
	v_add_f64 v[2:3], v[2:3], v[6:7]
	ds_bpermute_b32 v6, v11, v2
	ds_bpermute_b32 v7, v11, v3
	s_waitcnt lgkmcnt(2)
	v_add_f64 v[4:5], v[4:5], v[14:15]
	ds_bpermute_b32 v14, v11, v4
	ds_bpermute_b32 v15, v11, v5
	;; [unrolled: 4-line block ×6, first 2 shown]
	s_waitcnt lgkmcnt(2)
	v_add_f64 v[2:3], v[2:3], v[6:7]
	v_or_b32_e32 v6, s8, v16
	v_mov_b32_e32 v7, s9
	v_cmp_gt_i64_e32 vcc, s[10:11], v[6:7]
	s_waitcnt lgkmcnt(0)
	v_add_f64 v[4:5], v[4:5], v[14:15]
	s_and_b64 s[18:19], s[2:3], vcc
	s_and_saveexec_b64 s[16:17], s[18:19]
	s_cbranch_execz .LBB44_106
; %bb.102:
	s_andn2_b64 vcc, exec, s[14:15]
	s_cbranch_vccnz .LBB44_104
; %bb.103:
	v_lshl_add_u64 v[6:7], s[8:9], 0, v[0:1]
	v_lshl_add_u64 v[6:7], v[6:7], 3, s[4:5]
	global_store_dwordx2 v[6:7], v[2:3], off offset:128
.LBB44_104:
	s_andn2_b64 vcc, exec, s[12:13]
	s_cbranch_vccnz .LBB44_106
; %bb.105:
	v_lshl_add_u64 v[6:7], s[8:9], 0, v[0:1]
	v_lshl_add_u64 v[6:7], v[6:7], 3, s[6:7]
	global_store_dwordx2 v[6:7], v[4:5], off offset:128
.LBB44_106:
	s_or_b64 exec, exec, s[16:17]
	s_movk_i32 s16, 0x200
	v_cmp_gt_u32_e32 vcc, s16, v9
	s_and_b64 exec, exec, vcc
	s_cbranch_execz .LBB44_114
; %bb.107:
	s_and_saveexec_b64 s[16:17], s[0:1]
	s_cbranch_execz .LBB44_109
; %bb.108:
	v_add_u32_e32 v2, v0, v8
	v_lshl_add_u32 v4, v2, 3, 0
	ds_read_b64 v[2:3], v4 offset:192
	ds_read_b64 v[4:5], v4 offset:4416
.LBB44_109:
	s_or_b64 exec, exec, s[16:17]
	s_waitcnt lgkmcnt(1)
	ds_bpermute_b32 v6, v10, v2
	ds_bpermute_b32 v7, v10, v3
	s_waitcnt lgkmcnt(2)
	ds_bpermute_b32 v8, v10, v4
	ds_bpermute_b32 v9, v10, v5
	v_add_u32_e32 v10, 24, v0
	v_or_b32_e32 v10, s8, v10
	s_waitcnt lgkmcnt(2)
	v_add_f64 v[2:3], v[2:3], v[6:7]
	ds_bpermute_b32 v6, v11, v2
	s_waitcnt lgkmcnt(1)
	v_add_f64 v[4:5], v[4:5], v[8:9]
	ds_bpermute_b32 v7, v11, v3
	ds_bpermute_b32 v8, v11, v4
	;; [unrolled: 1-line block ×3, first 2 shown]
	v_mov_b32_e32 v11, s9
	v_cmp_gt_i64_e32 vcc, s[10:11], v[10:11]
	s_waitcnt lgkmcnt(2)
	v_add_f64 v[2:3], v[2:3], v[6:7]
	ds_bpermute_b32 v6, v12, v2
	s_waitcnt lgkmcnt(1)
	v_add_f64 v[4:5], v[4:5], v[8:9]
	ds_bpermute_b32 v7, v12, v3
	ds_bpermute_b32 v8, v12, v4
	;; [unrolled: 1-line block ×3, first 2 shown]
	s_and_b64 s[0:1], s[2:3], vcc
	s_waitcnt lgkmcnt(2)
	v_add_f64 v[6:7], v[2:3], v[6:7]
	s_waitcnt lgkmcnt(0)
	v_add_f64 v[2:3], v[4:5], v[8:9]
	ds_bpermute_b32 v8, v13, v6
	ds_bpermute_b32 v9, v13, v7
	;; [unrolled: 1-line block ×4, first 2 shown]
	s_and_b64 exec, exec, s[0:1]
	s_cbranch_execz .LBB44_114
; %bb.110:
	s_andn2_b64 vcc, exec, s[14:15]
	v_lshl_add_u64 v[0:1], s[8:9], 0, v[0:1]
	s_cbranch_vccnz .LBB44_112
; %bb.111:
	s_waitcnt lgkmcnt(2)
	v_add_f64 v[6:7], v[6:7], v[8:9]
	v_lshl_add_u64 v[8:9], v[0:1], 3, s[4:5]
	global_store_dwordx2 v[8:9], v[6:7], off offset:192
.LBB44_112:
	s_andn2_b64 vcc, exec, s[12:13]
	s_cbranch_vccnz .LBB44_114
; %bb.113:
	s_waitcnt lgkmcnt(0)
	v_add_f64 v[2:3], v[2:3], v[4:5]
	v_lshl_add_u64 v[0:1], v[0:1], 3, s[6:7]
	global_store_dwordx2 v[0:1], v[2:3], off offset:192
.LBB44_114:
	s_endpgm
	.section	.rodata,"a",@progbits
	.p2align	6, 0x0
	.amdhsa_kernel _ZN2at6native12_GLOBAL__N_135GammaBetaBackwardCUDAKernelTemplateIddLj32ELj16ELj128ELb0ELb0ELb0EEEvllPKT_S5_PKT0_S8_PS3_S9_
		.amdhsa_group_segment_fixed_size 0
		.amdhsa_private_segment_fixed_size 0
		.amdhsa_kernarg_size 320
		.amdhsa_user_sgpr_count 2
		.amdhsa_user_sgpr_dispatch_ptr 0
		.amdhsa_user_sgpr_queue_ptr 0
		.amdhsa_user_sgpr_kernarg_segment_ptr 1
		.amdhsa_user_sgpr_dispatch_id 0
		.amdhsa_user_sgpr_kernarg_preload_length 0
		.amdhsa_user_sgpr_kernarg_preload_offset 0
		.amdhsa_user_sgpr_private_segment_size 0
		.amdhsa_uses_dynamic_stack 0
		.amdhsa_enable_private_segment 0
		.amdhsa_system_sgpr_workgroup_id_x 1
		.amdhsa_system_sgpr_workgroup_id_y 1
		.amdhsa_system_sgpr_workgroup_id_z 0
		.amdhsa_system_sgpr_workgroup_info 0
		.amdhsa_system_vgpr_workitem_id 1
		.amdhsa_next_free_vgpr 126
		.amdhsa_next_free_sgpr 52
		.amdhsa_accum_offset 128
		.amdhsa_reserve_vcc 1
		.amdhsa_float_round_mode_32 0
		.amdhsa_float_round_mode_16_64 0
		.amdhsa_float_denorm_mode_32 3
		.amdhsa_float_denorm_mode_16_64 3
		.amdhsa_dx10_clamp 1
		.amdhsa_ieee_mode 1
		.amdhsa_fp16_overflow 0
		.amdhsa_tg_split 0
		.amdhsa_exception_fp_ieee_invalid_op 0
		.amdhsa_exception_fp_denorm_src 0
		.amdhsa_exception_fp_ieee_div_zero 0
		.amdhsa_exception_fp_ieee_overflow 0
		.amdhsa_exception_fp_ieee_underflow 0
		.amdhsa_exception_fp_ieee_inexact 0
		.amdhsa_exception_int_div_zero 0
	.end_amdhsa_kernel
	.section	.text._ZN2at6native12_GLOBAL__N_135GammaBetaBackwardCUDAKernelTemplateIddLj32ELj16ELj128ELb0ELb0ELb0EEEvllPKT_S5_PKT0_S8_PS3_S9_,"axG",@progbits,_ZN2at6native12_GLOBAL__N_135GammaBetaBackwardCUDAKernelTemplateIddLj32ELj16ELj128ELb0ELb0ELb0EEEvllPKT_S5_PKT0_S8_PS3_S9_,comdat
.Lfunc_end44:
	.size	_ZN2at6native12_GLOBAL__N_135GammaBetaBackwardCUDAKernelTemplateIddLj32ELj16ELj128ELb0ELb0ELb0EEEvllPKT_S5_PKT0_S8_PS3_S9_, .Lfunc_end44-_ZN2at6native12_GLOBAL__N_135GammaBetaBackwardCUDAKernelTemplateIddLj32ELj16ELj128ELb0ELb0ELb0EEEvllPKT_S5_PKT0_S8_PS3_S9_
                                        ; -- End function
	.set _ZN2at6native12_GLOBAL__N_135GammaBetaBackwardCUDAKernelTemplateIddLj32ELj16ELj128ELb0ELb0ELb0EEEvllPKT_S5_PKT0_S8_PS3_S9_.num_vgpr, 126
	.set _ZN2at6native12_GLOBAL__N_135GammaBetaBackwardCUDAKernelTemplateIddLj32ELj16ELj128ELb0ELb0ELb0EEEvllPKT_S5_PKT0_S8_PS3_S9_.num_agpr, 0
	.set _ZN2at6native12_GLOBAL__N_135GammaBetaBackwardCUDAKernelTemplateIddLj32ELj16ELj128ELb0ELb0ELb0EEEvllPKT_S5_PKT0_S8_PS3_S9_.numbered_sgpr, 52
	.set _ZN2at6native12_GLOBAL__N_135GammaBetaBackwardCUDAKernelTemplateIddLj32ELj16ELj128ELb0ELb0ELb0EEEvllPKT_S5_PKT0_S8_PS3_S9_.num_named_barrier, 0
	.set _ZN2at6native12_GLOBAL__N_135GammaBetaBackwardCUDAKernelTemplateIddLj32ELj16ELj128ELb0ELb0ELb0EEEvllPKT_S5_PKT0_S8_PS3_S9_.private_seg_size, 0
	.set _ZN2at6native12_GLOBAL__N_135GammaBetaBackwardCUDAKernelTemplateIddLj32ELj16ELj128ELb0ELb0ELb0EEEvllPKT_S5_PKT0_S8_PS3_S9_.uses_vcc, 1
	.set _ZN2at6native12_GLOBAL__N_135GammaBetaBackwardCUDAKernelTemplateIddLj32ELj16ELj128ELb0ELb0ELb0EEEvllPKT_S5_PKT0_S8_PS3_S9_.uses_flat_scratch, 0
	.set _ZN2at6native12_GLOBAL__N_135GammaBetaBackwardCUDAKernelTemplateIddLj32ELj16ELj128ELb0ELb0ELb0EEEvllPKT_S5_PKT0_S8_PS3_S9_.has_dyn_sized_stack, 0
	.set _ZN2at6native12_GLOBAL__N_135GammaBetaBackwardCUDAKernelTemplateIddLj32ELj16ELj128ELb0ELb0ELb0EEEvllPKT_S5_PKT0_S8_PS3_S9_.has_recursion, 0
	.set _ZN2at6native12_GLOBAL__N_135GammaBetaBackwardCUDAKernelTemplateIddLj32ELj16ELj128ELb0ELb0ELb0EEEvllPKT_S5_PKT0_S8_PS3_S9_.has_indirect_call, 0
	.section	.AMDGPU.csdata,"",@progbits
; Kernel info:
; codeLenInByte = 9404
; TotalNumSgprs: 58
; NumVgprs: 126
; NumAgprs: 0
; TotalNumVgprs: 126
; ScratchSize: 0
; MemoryBound: 1
; FloatMode: 240
; IeeeMode: 1
; LDSByteSize: 0 bytes/workgroup (compile time only)
; SGPRBlocks: 7
; VGPRBlocks: 15
; NumSGPRsForWavesPerEU: 58
; NumVGPRsForWavesPerEU: 126
; AccumOffset: 128
; Occupancy: 4
; WaveLimiterHint : 0
; COMPUTE_PGM_RSRC2:SCRATCH_EN: 0
; COMPUTE_PGM_RSRC2:USER_SGPR: 2
; COMPUTE_PGM_RSRC2:TRAP_HANDLER: 0
; COMPUTE_PGM_RSRC2:TGID_X_EN: 1
; COMPUTE_PGM_RSRC2:TGID_Y_EN: 1
; COMPUTE_PGM_RSRC2:TGID_Z_EN: 0
; COMPUTE_PGM_RSRC2:TIDIG_COMP_CNT: 1
; COMPUTE_PGM_RSRC3_GFX90A:ACCUM_OFFSET: 31
; COMPUTE_PGM_RSRC3_GFX90A:TG_SPLIT: 0
	.section	.text._ZN2at6native12_GLOBAL__N_135GammaBetaBackwardCUDAKernelTemplateIddLj32ELj32ELj256ELb0ELb1ELb0EEEvllPKT_S5_PKT0_S8_PS3_S9_,"axG",@progbits,_ZN2at6native12_GLOBAL__N_135GammaBetaBackwardCUDAKernelTemplateIddLj32ELj32ELj256ELb0ELb1ELb0EEEvllPKT_S5_PKT0_S8_PS3_S9_,comdat
	.globl	_ZN2at6native12_GLOBAL__N_135GammaBetaBackwardCUDAKernelTemplateIddLj32ELj32ELj256ELb0ELb1ELb0EEEvllPKT_S5_PKT0_S8_PS3_S9_ ; -- Begin function _ZN2at6native12_GLOBAL__N_135GammaBetaBackwardCUDAKernelTemplateIddLj32ELj32ELj256ELb0ELb1ELb0EEEvllPKT_S5_PKT0_S8_PS3_S9_
	.p2align	8
	.type	_ZN2at6native12_GLOBAL__N_135GammaBetaBackwardCUDAKernelTemplateIddLj32ELj32ELj256ELb0ELb1ELb0EEEvllPKT_S5_PKT0_S8_PS3_S9_,@function
_ZN2at6native12_GLOBAL__N_135GammaBetaBackwardCUDAKernelTemplateIddLj32ELj32ELj256ELb0ELb1ELb0EEEvllPKT_S5_PKT0_S8_PS3_S9_: ; @_ZN2at6native12_GLOBAL__N_135GammaBetaBackwardCUDAKernelTemplateIddLj32ELj32ELj256ELb0ELb1ELb0EEEvllPKT_S5_PKT0_S8_PS3_S9_
; %bb.0:
	s_load_dwordx4 s[16:19], s[0:1], 0x0
	s_lshl_b32 s20, s3, 8
	s_mov_b32 s21, 0
	v_mov_b64_e32 v[2:3], s[20:21]
	v_bfe_u32 v44, v0, 10, 10
	s_waitcnt lgkmcnt(0)
	v_cmp_gt_i64_e32 vcc, s[16:17], v[2:3]
	s_cbranch_vccnz .LBB45_2
; %bb.1:
	s_mov_b64 s[4:5], 0
	v_bfe_u32 v1, v0, 10, 10
	s_branch .LBB45_3
.LBB45_2:
	s_mov_b64 s[4:5], -1
                                        ; implicit-def: $vgpr1
.LBB45_3:
	s_load_dwordx4 s[12:15], s[0:1], 0x30
	v_and_b32_e32 v42, 0x3ff, v0
	v_mov_b64_e32 v[12:13], 0
	s_andn2_b64 vcc, exec, s[4:5]
	v_mbcnt_lo_u32_b32 v43, -1, 0
	v_mov_b64_e32 v[4:5], 0
	s_cbranch_vccnz .LBB45_11
; %bb.4:
	s_load_dword s3, s[0:1], 0x4c
	s_load_dword s22, s[0:1], 0x44
	s_load_dwordx8 s[4:11], s[0:1], 0x10
	v_mbcnt_hi_u32_b32 v6, -1, v43
	v_lshlrev_b32_e32 v0, 3, v44
	s_waitcnt lgkmcnt(0)
	s_and_b32 s0, s3, 0xffff
	v_mad_u32_u24 v1, v44, s0, v42
	v_and_b32_e32 v2, 63, v1
	v_mov_b32_e32 v1, 0
	v_lshlrev_b32_e32 v6, 2, v6
	v_mov_b32_e32 v3, v1
	v_and_b32_e32 v45, 0x100, v6
	v_lshl_add_u64 v[6:7], v[0:1], 0, s[20:21]
	v_mov_b32_e32 v5, v1
	s_lshl_b32 s22, s22, 8
	v_lshl_add_u64 v[0:1], v[6:7], 0, v[2:3]
	v_mul_lo_u32 v8, s19, v6
	v_mul_lo_u32 v9, s18, v7
	v_mad_u64_u32 v[6:7], s[26:27], s18, v6, 0
	v_lshl_add_u32 v4, s2, 5, v42
	s_mul_i32 s3, s19, s22
	s_mul_hi_u32 s26, s18, s22
	s_mov_b32 s23, 0
	v_add3_u32 v7, v7, v9, v8
	v_lshlrev_b64 v[4:5], 3, v[4:5]
	s_add_i32 s27, s26, s3
	s_mul_i32 s26, s18, s22
	v_cmp_gt_u32_e64 s[0:1], 8, v2
	v_or_b32_e32 v46, 4, v45
	v_or_b32_e32 v47, 8, v45
	v_or_b32_e32 v48, 12, v45
	v_or_b32_e32 v49, 16, v45
	v_or_b32_e32 v50, 20, v45
	v_or_b32_e32 v51, 24, v45
	v_or_b32_e32 v52, 28, v45
	v_lshlrev_b64 v[2:3], 3, v[0:1]
	s_lshl_b64 s[24:25], s[22:23], 3
	v_lshl_add_u64 v[6:7], v[6:7], 3, v[4:5]
	s_lshl_b64 s[26:27], s[26:27], 3
	s_lshl_b64 s[18:19], s[18:19], 3
	v_mov_b64_e32 v[4:5], 0
	v_mov_b64_e32 v[8:9], s[16:17]
	;; [unrolled: 1-line block ×3, first 2 shown]
	s_branch .LBB45_7
.LBB45_5:                               ;   in Loop: Header=BB45_7 Depth=1
	s_or_b64 exec, exec, s[30:31]
.LBB45_6:                               ;   in Loop: Header=BB45_7 Depth=1
	s_or_b64 exec, exec, s[28:29]
	v_lshl_add_u64 v[14:15], s[6:7], 0, v[6:7]
	global_load_dwordx2 v[54:55], v[14:15], off
	v_lshl_add_u64 v[16:17], s[4:5], 0, v[6:7]
	global_load_dwordx2 v[36:37], v[16:17], off
	;; [unrolled: 2-line block ×6, first 2 shown]
	v_lshl_add_u64 v[14:15], v[14:15], 0, s[18:19]
	v_lshl_add_u64 v[16:17], v[16:17], 0, s[18:19]
	global_load_dwordx2 v[34:35], v[14:15], off
	global_load_dwordx2 v[30:31], v[16:17], off
	v_lshl_add_u64 v[14:15], v[14:15], 0, s[18:19]
	v_lshl_add_u64 v[16:17], v[16:17], 0, s[18:19]
	global_load_dwordx2 v[32:33], v[14:15], off
	global_load_dwordx2 v[20:21], v[16:17], off
	;; [unrolled: 4-line block ×3, first 2 shown]
	v_lshl_add_u64 v[14:15], v[14:15], 0, s[18:19]
	global_load_dwordx2 v[24:25], v[14:15], off
	v_lshl_add_u64 v[18:19], v[16:17], 0, s[18:19]
	global_load_dwordx2 v[16:17], v[18:19], off
	v_lshl_add_u64 v[62:63], v[14:15], 0, s[18:19]
	v_lshl_add_u64 v[60:61], v[18:19], 0, s[18:19]
	global_load_dwordx2 v[18:19], v[62:63], off
	global_load_dwordx2 v[14:15], v[60:61], off
	s_waitcnt vmcnt(17)
	ds_bpermute_b32 v60, v45, v28
	ds_bpermute_b32 v61, v45, v29
	s_waitcnt vmcnt(16)
	ds_bpermute_b32 v62, v45, v10
	ds_bpermute_b32 v63, v45, v11
	s_add_u32 s20, s20, s22
	s_addc_u32 s21, s21, 0
	v_cmp_lt_i64_e32 vcc, s[20:21], v[8:9]
	v_lshl_add_u64 v[2:3], v[2:3], 0, s[24:25]
	v_lshl_add_u64 v[0:1], v[0:1], 0, s[22:23]
	;; [unrolled: 1-line block ×3, first 2 shown]
	s_and_b64 vcc, exec, vcc
	s_waitcnt vmcnt(15) lgkmcnt(2)
	v_add_f64 v[54:55], v[54:55], -v[60:61]
	ds_bpermute_b32 v60, v46, v28
	ds_bpermute_b32 v61, v46, v29
	s_waitcnt vmcnt(14)
	v_mul_f64 v[54:55], v[36:37], v[54:55]
	s_waitcnt lgkmcnt(2)
	v_fmac_f64_e32 v[4:5], v[54:55], v[62:63]
	ds_bpermute_b32 v54, v46, v10
	ds_bpermute_b32 v55, v46, v11
	s_waitcnt vmcnt(13) lgkmcnt(2)
	v_add_f64 v[56:57], v[56:57], -v[60:61]
	ds_bpermute_b32 v60, v47, v28
	ds_bpermute_b32 v61, v47, v29
	;; [unrolled: 1-line block ×4, first 2 shown]
	s_waitcnt vmcnt(12)
	v_mul_f64 v[56:57], v[38:39], v[56:57]
	s_waitcnt lgkmcnt(4)
	v_fmac_f64_e32 v[4:5], v[56:57], v[54:55]
	ds_bpermute_b32 v54, v48, v28
	ds_bpermute_b32 v55, v48, v29
	s_waitcnt vmcnt(11) lgkmcnt(4)
	v_add_f64 v[58:59], v[58:59], -v[60:61]
	ds_bpermute_b32 v56, v49, v28
	ds_bpermute_b32 v57, v49, v29
	s_waitcnt vmcnt(10)
	v_mul_f64 v[58:59], v[40:41], v[58:59]
	ds_bpermute_b32 v60, v50, v28
	ds_bpermute_b32 v61, v50, v29
	s_waitcnt lgkmcnt(6)
	v_fmac_f64_e32 v[4:5], v[58:59], v[62:63]
	ds_bpermute_b32 v62, v48, v10
	ds_bpermute_b32 v63, v48, v11
	;; [unrolled: 1-line block ×4, first 2 shown]
	v_add_f64 v[12:13], v[12:13], v[36:37]
	ds_bpermute_b32 v36, v49, v10
	ds_bpermute_b32 v37, v49, v11
	;; [unrolled: 1-line block ×4, first 2 shown]
	v_add_f64 v[12:13], v[12:13], v[38:39]
	ds_bpermute_b32 v38, v50, v10
	ds_bpermute_b32 v39, v50, v11
	v_add_f64 v[12:13], v[12:13], v[40:41]
	ds_bpermute_b32 v40, v51, v10
	ds_bpermute_b32 v41, v51, v11
	s_waitcnt vmcnt(9) lgkmcnt(14)
	v_add_f64 v[34:35], v[34:35], -v[54:55]
	ds_bpermute_b32 v10, v52, v10
	s_waitcnt vmcnt(8)
	v_add_f64 v[12:13], v[12:13], v[30:31]
	v_mul_f64 v[30:31], v[30:31], v[34:35]
	s_waitcnt vmcnt(7)
	v_add_f64 v[32:33], v[32:33], -v[56:57]
	ds_bpermute_b32 v11, v52, v11
	s_waitcnt vmcnt(6)
	v_add_f64 v[12:13], v[12:13], v[20:21]
	s_waitcnt lgkmcnt(12)
	v_fmac_f64_e32 v[4:5], v[30:31], v[62:63]
	v_mul_f64 v[20:21], v[20:21], v[32:33]
	s_waitcnt vmcnt(5)
	v_add_f64 v[26:27], v[26:27], -v[60:61]
	s_waitcnt vmcnt(4)
	v_add_f64 v[12:13], v[12:13], v[22:23]
	s_waitcnt lgkmcnt(8)
	v_fmac_f64_e32 v[4:5], v[20:21], v[36:37]
	v_mul_f64 v[20:21], v[22:23], v[26:27]
	s_waitcnt vmcnt(3)
	v_add_f64 v[22:23], v[24:25], -v[58:59]
	s_waitcnt lgkmcnt(4)
	v_fmac_f64_e32 v[4:5], v[20:21], v[38:39]
	s_waitcnt vmcnt(2)
	v_mul_f64 v[20:21], v[16:17], v[22:23]
	v_add_f64 v[12:13], v[12:13], v[16:17]
	s_waitcnt vmcnt(1)
	v_add_f64 v[16:17], v[18:19], -v[28:29]
	s_waitcnt lgkmcnt(2)
	v_fmac_f64_e32 v[4:5], v[20:21], v[40:41]
	s_waitcnt vmcnt(0)
	v_mul_f64 v[16:17], v[14:15], v[16:17]
	s_waitcnt lgkmcnt(0)
	v_fmac_f64_e32 v[4:5], v[16:17], v[10:11]
	v_add_f64 v[12:13], v[12:13], v[14:15]
	s_cbranch_vccz .LBB45_10
.LBB45_7:                               ; =>This Inner Loop Header: Depth=1
	v_mov_b64_e32 v[10:11], 0
	v_mov_b64_e32 v[28:29], 0
	s_and_saveexec_b64 s[28:29], s[0:1]
	s_cbranch_execz .LBB45_6
; %bb.8:                                ;   in Loop: Header=BB45_7 Depth=1
	v_cmp_gt_i64_e32 vcc, s[16:17], v[0:1]
	v_mov_b64_e32 v[28:29], 0
	v_mov_b64_e32 v[10:11], 0
	s_and_saveexec_b64 s[30:31], vcc
	s_cbranch_execz .LBB45_5
; %bb.9:                                ;   in Loop: Header=BB45_7 Depth=1
	v_lshl_add_u64 v[16:17], s[8:9], 0, v[2:3]
	v_lshl_add_u64 v[14:15], s[10:11], 0, v[2:3]
	global_load_dwordx2 v[28:29], v[16:17], off
	global_load_dwordx2 v[10:11], v[14:15], off
	s_branch .LBB45_5
.LBB45_10:
	v_mov_b32_e32 v1, v44
.LBB45_11:
	v_mad_u32_u24 v0, v1, 33, v42
	v_sub_u32_e32 v9, v0, v1
	s_movk_i32 s0, 0x800
	v_lshl_add_u32 v2, v0, 3, 0
	v_cmp_gt_u32_e32 vcc, s0, v9
	ds_write_b64 v2, v[4:5]
	ds_write_b64 v2, v[12:13] offset:8448
	s_waitcnt lgkmcnt(0)
	s_barrier
	s_and_saveexec_b64 s[0:1], vcc
	s_cbranch_execz .LBB45_27
; %bb.12:
	v_and_b32_e32 v1, 63, v9
	v_lshrrev_b32_e32 v0, 6, v9
	v_cmp_gt_u32_e64 s[0:1], 32, v1
	v_mul_u32_u24_e32 v8, 33, v1
                                        ; implicit-def: $vgpr2_vgpr3
                                        ; implicit-def: $vgpr4_vgpr5
	s_and_saveexec_b64 s[4:5], s[0:1]
	s_cbranch_execz .LBB45_14
; %bb.13:
	v_add_u32_e32 v1, v0, v8
	v_lshl_add_u32 v1, v1, 3, 0
	ds_read_b64 v[4:5], v1
	ds_read_b64 v[2:3], v1 offset:8448
.LBB45_14:
	s_or_b64 exec, exec, s[4:5]
	v_mbcnt_hi_u32_b32 v1, -1, v43
	v_and_b32_e32 v6, 64, v1
	v_add_u32_e32 v16, 64, v6
	v_xor_b32_e32 v6, 16, v1
	v_cmp_lt_i32_e32 vcc, v6, v16
	s_mov_b32 s3, 0
	s_lshl_b64 s[4:5], s[2:3], 5
	v_cndmask_b32_e32 v6, v1, v6, vcc
	v_lshlrev_b32_e32 v10, 2, v6
	s_waitcnt lgkmcnt(1)
	ds_bpermute_b32 v6, v10, v4
	ds_bpermute_b32 v7, v10, v5
	s_waitcnt lgkmcnt(2)
	ds_bpermute_b32 v12, v10, v2
	ds_bpermute_b32 v13, v10, v3
	s_cmp_lg_u64 s[12:13], 0
	s_cselect_b64 s[8:9], -1, 0
	s_waitcnt lgkmcnt(2)
	v_add_f64 v[4:5], v[4:5], v[6:7]
	v_xor_b32_e32 v6, 8, v1
	v_cmp_lt_i32_e32 vcc, v6, v16
	s_waitcnt lgkmcnt(0)
	v_add_f64 v[2:3], v[2:3], v[12:13]
	s_cmp_lg_u64 s[14:15], 0
	v_cndmask_b32_e32 v6, v1, v6, vcc
	v_lshlrev_b32_e32 v11, 2, v6
	ds_bpermute_b32 v6, v11, v4
	ds_bpermute_b32 v7, v11, v5
	ds_bpermute_b32 v12, v11, v2
	ds_bpermute_b32 v13, v11, v3
	v_cmp_eq_u32_e64 s[2:3], 0, v42
	s_cselect_b64 s[6:7], -1, 0
	s_waitcnt lgkmcnt(2)
	v_add_f64 v[4:5], v[4:5], v[6:7]
	v_xor_b32_e32 v6, 4, v1
	v_cmp_lt_i32_e32 vcc, v6, v16
	s_waitcnt lgkmcnt(0)
	v_add_f64 v[2:3], v[2:3], v[12:13]
	v_cndmask_b32_e32 v6, v1, v6, vcc
	v_lshlrev_b32_e32 v12, 2, v6
	ds_bpermute_b32 v6, v12, v4
	ds_bpermute_b32 v7, v12, v5
	;; [unrolled: 1-line block ×4, first 2 shown]
	s_waitcnt lgkmcnt(2)
	v_add_f64 v[4:5], v[4:5], v[6:7]
	v_xor_b32_e32 v6, 2, v1
	v_cmp_lt_i32_e32 vcc, v6, v16
	s_waitcnt lgkmcnt(0)
	v_add_f64 v[2:3], v[2:3], v[14:15]
	v_cndmask_b32_e32 v6, v1, v6, vcc
	v_lshlrev_b32_e32 v13, 2, v6
	ds_bpermute_b32 v6, v13, v4
	ds_bpermute_b32 v7, v13, v5
	ds_bpermute_b32 v14, v13, v2
	ds_bpermute_b32 v15, v13, v3
	s_waitcnt lgkmcnt(2)
	v_add_f64 v[4:5], v[4:5], v[6:7]
	s_waitcnt lgkmcnt(0)
	v_add_f64 v[6:7], v[2:3], v[14:15]
	v_xor_b32_e32 v2, 1, v1
	v_cmp_lt_i32_e32 vcc, v2, v16
	s_nop 1
	v_cndmask_b32_e32 v1, v1, v2, vcc
	v_lshlrev_b32_e32 v14, 2, v1
	ds_bpermute_b32 v2, v14, v4
	ds_bpermute_b32 v3, v14, v5
	;; [unrolled: 1-line block ×4, first 2 shown]
	v_mov_b32_e32 v1, 0
	s_waitcnt lgkmcnt(2)
	v_add_f64 v[2:3], v[4:5], v[2:3]
	s_waitcnt lgkmcnt(0)
	v_add_f64 v[4:5], v[6:7], v[16:17]
	s_and_saveexec_b64 s[10:11], s[2:3]
	s_cbranch_execz .LBB45_19
; %bb.15:
	v_mov_b32_e32 v7, s5
	s_andn2_b64 vcc, exec, s[8:9]
	v_or_b32_e32 v6, s4, v0
	s_cbranch_vccnz .LBB45_17
; %bb.16:
	v_lshl_add_u64 v[16:17], v[6:7], 3, s[12:13]
	global_store_dwordx2 v[16:17], v[2:3], off
.LBB45_17:
	s_andn2_b64 vcc, exec, s[6:7]
	s_cbranch_vccnz .LBB45_19
; %bb.18:
	v_lshl_add_u64 v[6:7], v[6:7], 3, s[14:15]
	global_store_dwordx2 v[6:7], v[4:5], off
.LBB45_19:
	s_or_b64 exec, exec, s[10:11]
	s_movk_i32 s10, 0x400
	v_cmp_gt_u32_e32 vcc, s10, v9
	s_and_b64 exec, exec, vcc
	s_cbranch_execz .LBB45_27
; %bb.20:
	s_and_saveexec_b64 s[10:11], s[0:1]
	s_cbranch_execz .LBB45_22
; %bb.21:
	v_add_u32_e32 v2, v0, v8
	v_lshl_add_u32 v4, v2, 3, 0
	ds_read_b64 v[2:3], v4 offset:128
	ds_read_b64 v[4:5], v4 offset:8576
.LBB45_22:
	s_or_b64 exec, exec, s[10:11]
	s_waitcnt lgkmcnt(1)
	ds_bpermute_b32 v6, v10, v2
	ds_bpermute_b32 v7, v10, v3
	s_waitcnt lgkmcnt(2)
	ds_bpermute_b32 v8, v10, v4
	ds_bpermute_b32 v9, v10, v5
	s_waitcnt lgkmcnt(2)
	v_add_f64 v[2:3], v[2:3], v[6:7]
	ds_bpermute_b32 v6, v11, v2
	s_waitcnt lgkmcnt(1)
	v_add_f64 v[4:5], v[4:5], v[8:9]
	ds_bpermute_b32 v7, v11, v3
	ds_bpermute_b32 v8, v11, v4
	ds_bpermute_b32 v9, v11, v5
	s_waitcnt lgkmcnt(2)
	v_add_f64 v[2:3], v[2:3], v[6:7]
	ds_bpermute_b32 v6, v12, v2
	s_waitcnt lgkmcnt(1)
	v_add_f64 v[4:5], v[4:5], v[8:9]
	ds_bpermute_b32 v7, v12, v3
	;; [unrolled: 8-line block ×3, first 2 shown]
	ds_bpermute_b32 v8, v13, v4
	ds_bpermute_b32 v9, v13, v5
	s_waitcnt lgkmcnt(2)
	v_add_f64 v[6:7], v[2:3], v[6:7]
	s_waitcnt lgkmcnt(0)
	v_add_f64 v[2:3], v[4:5], v[8:9]
	ds_bpermute_b32 v8, v14, v6
	ds_bpermute_b32 v9, v14, v7
	;; [unrolled: 1-line block ×4, first 2 shown]
	s_and_b64 exec, exec, s[2:3]
	s_cbranch_execz .LBB45_27
; %bb.23:
	s_andn2_b64 vcc, exec, s[8:9]
	v_lshl_add_u64 v[0:1], s[4:5], 0, v[0:1]
	s_cbranch_vccnz .LBB45_25
; %bb.24:
	s_waitcnt lgkmcnt(2)
	v_add_f64 v[6:7], v[6:7], v[8:9]
	v_lshl_add_u64 v[8:9], v[0:1], 3, s[12:13]
	global_store_dwordx2 v[8:9], v[6:7], off offset:128
.LBB45_25:
	s_andn2_b64 vcc, exec, s[6:7]
	s_cbranch_vccnz .LBB45_27
; %bb.26:
	s_waitcnt lgkmcnt(0)
	v_add_f64 v[2:3], v[2:3], v[4:5]
	v_lshl_add_u64 v[0:1], v[0:1], 3, s[14:15]
	global_store_dwordx2 v[0:1], v[2:3], off offset:128
.LBB45_27:
	s_endpgm
	.section	.rodata,"a",@progbits
	.p2align	6, 0x0
	.amdhsa_kernel _ZN2at6native12_GLOBAL__N_135GammaBetaBackwardCUDAKernelTemplateIddLj32ELj32ELj256ELb0ELb1ELb0EEEvllPKT_S5_PKT0_S8_PS3_S9_
		.amdhsa_group_segment_fixed_size 0
		.amdhsa_private_segment_fixed_size 0
		.amdhsa_kernarg_size 320
		.amdhsa_user_sgpr_count 2
		.amdhsa_user_sgpr_dispatch_ptr 0
		.amdhsa_user_sgpr_queue_ptr 0
		.amdhsa_user_sgpr_kernarg_segment_ptr 1
		.amdhsa_user_sgpr_dispatch_id 0
		.amdhsa_user_sgpr_kernarg_preload_length 0
		.amdhsa_user_sgpr_kernarg_preload_offset 0
		.amdhsa_user_sgpr_private_segment_size 0
		.amdhsa_uses_dynamic_stack 0
		.amdhsa_enable_private_segment 0
		.amdhsa_system_sgpr_workgroup_id_x 1
		.amdhsa_system_sgpr_workgroup_id_y 1
		.amdhsa_system_sgpr_workgroup_id_z 0
		.amdhsa_system_sgpr_workgroup_info 0
		.amdhsa_system_vgpr_workitem_id 1
		.amdhsa_next_free_vgpr 64
		.amdhsa_next_free_sgpr 32
		.amdhsa_accum_offset 64
		.amdhsa_reserve_vcc 1
		.amdhsa_float_round_mode_32 0
		.amdhsa_float_round_mode_16_64 0
		.amdhsa_float_denorm_mode_32 3
		.amdhsa_float_denorm_mode_16_64 3
		.amdhsa_dx10_clamp 1
		.amdhsa_ieee_mode 1
		.amdhsa_fp16_overflow 0
		.amdhsa_tg_split 0
		.amdhsa_exception_fp_ieee_invalid_op 0
		.amdhsa_exception_fp_denorm_src 0
		.amdhsa_exception_fp_ieee_div_zero 0
		.amdhsa_exception_fp_ieee_overflow 0
		.amdhsa_exception_fp_ieee_underflow 0
		.amdhsa_exception_fp_ieee_inexact 0
		.amdhsa_exception_int_div_zero 0
	.end_amdhsa_kernel
	.section	.text._ZN2at6native12_GLOBAL__N_135GammaBetaBackwardCUDAKernelTemplateIddLj32ELj32ELj256ELb0ELb1ELb0EEEvllPKT_S5_PKT0_S8_PS3_S9_,"axG",@progbits,_ZN2at6native12_GLOBAL__N_135GammaBetaBackwardCUDAKernelTemplateIddLj32ELj32ELj256ELb0ELb1ELb0EEEvllPKT_S5_PKT0_S8_PS3_S9_,comdat
.Lfunc_end45:
	.size	_ZN2at6native12_GLOBAL__N_135GammaBetaBackwardCUDAKernelTemplateIddLj32ELj32ELj256ELb0ELb1ELb0EEEvllPKT_S5_PKT0_S8_PS3_S9_, .Lfunc_end45-_ZN2at6native12_GLOBAL__N_135GammaBetaBackwardCUDAKernelTemplateIddLj32ELj32ELj256ELb0ELb1ELb0EEEvllPKT_S5_PKT0_S8_PS3_S9_
                                        ; -- End function
	.set _ZN2at6native12_GLOBAL__N_135GammaBetaBackwardCUDAKernelTemplateIddLj32ELj32ELj256ELb0ELb1ELb0EEEvllPKT_S5_PKT0_S8_PS3_S9_.num_vgpr, 64
	.set _ZN2at6native12_GLOBAL__N_135GammaBetaBackwardCUDAKernelTemplateIddLj32ELj32ELj256ELb0ELb1ELb0EEEvllPKT_S5_PKT0_S8_PS3_S9_.num_agpr, 0
	.set _ZN2at6native12_GLOBAL__N_135GammaBetaBackwardCUDAKernelTemplateIddLj32ELj32ELj256ELb0ELb1ELb0EEEvllPKT_S5_PKT0_S8_PS3_S9_.numbered_sgpr, 32
	.set _ZN2at6native12_GLOBAL__N_135GammaBetaBackwardCUDAKernelTemplateIddLj32ELj32ELj256ELb0ELb1ELb0EEEvllPKT_S5_PKT0_S8_PS3_S9_.num_named_barrier, 0
	.set _ZN2at6native12_GLOBAL__N_135GammaBetaBackwardCUDAKernelTemplateIddLj32ELj32ELj256ELb0ELb1ELb0EEEvllPKT_S5_PKT0_S8_PS3_S9_.private_seg_size, 0
	.set _ZN2at6native12_GLOBAL__N_135GammaBetaBackwardCUDAKernelTemplateIddLj32ELj32ELj256ELb0ELb1ELb0EEEvllPKT_S5_PKT0_S8_PS3_S9_.uses_vcc, 1
	.set _ZN2at6native12_GLOBAL__N_135GammaBetaBackwardCUDAKernelTemplateIddLj32ELj32ELj256ELb0ELb1ELb0EEEvllPKT_S5_PKT0_S8_PS3_S9_.uses_flat_scratch, 0
	.set _ZN2at6native12_GLOBAL__N_135GammaBetaBackwardCUDAKernelTemplateIddLj32ELj32ELj256ELb0ELb1ELb0EEEvllPKT_S5_PKT0_S8_PS3_S9_.has_dyn_sized_stack, 0
	.set _ZN2at6native12_GLOBAL__N_135GammaBetaBackwardCUDAKernelTemplateIddLj32ELj32ELj256ELb0ELb1ELb0EEEvllPKT_S5_PKT0_S8_PS3_S9_.has_recursion, 0
	.set _ZN2at6native12_GLOBAL__N_135GammaBetaBackwardCUDAKernelTemplateIddLj32ELj32ELj256ELb0ELb1ELb0EEEvllPKT_S5_PKT0_S8_PS3_S9_.has_indirect_call, 0
	.section	.AMDGPU.csdata,"",@progbits
; Kernel info:
; codeLenInByte = 2344
; TotalNumSgprs: 38
; NumVgprs: 64
; NumAgprs: 0
; TotalNumVgprs: 64
; ScratchSize: 0
; MemoryBound: 0
; FloatMode: 240
; IeeeMode: 1
; LDSByteSize: 0 bytes/workgroup (compile time only)
; SGPRBlocks: 4
; VGPRBlocks: 7
; NumSGPRsForWavesPerEU: 38
; NumVGPRsForWavesPerEU: 64
; AccumOffset: 64
; Occupancy: 8
; WaveLimiterHint : 0
; COMPUTE_PGM_RSRC2:SCRATCH_EN: 0
; COMPUTE_PGM_RSRC2:USER_SGPR: 2
; COMPUTE_PGM_RSRC2:TRAP_HANDLER: 0
; COMPUTE_PGM_RSRC2:TGID_X_EN: 1
; COMPUTE_PGM_RSRC2:TGID_Y_EN: 1
; COMPUTE_PGM_RSRC2:TGID_Z_EN: 0
; COMPUTE_PGM_RSRC2:TIDIG_COMP_CNT: 1
; COMPUTE_PGM_RSRC3_GFX90A:ACCUM_OFFSET: 15
; COMPUTE_PGM_RSRC3_GFX90A:TG_SPLIT: 0
	.section	.text._ZN2at6native12_GLOBAL__N_135GammaBetaBackwardCUDAKernelTemplateIddLj32ELj32ELj256ELb0ELb0ELb0EEEvllPKT_S5_PKT0_S8_PS3_S9_,"axG",@progbits,_ZN2at6native12_GLOBAL__N_135GammaBetaBackwardCUDAKernelTemplateIddLj32ELj32ELj256ELb0ELb0ELb0EEEvllPKT_S5_PKT0_S8_PS3_S9_,comdat
	.globl	_ZN2at6native12_GLOBAL__N_135GammaBetaBackwardCUDAKernelTemplateIddLj32ELj32ELj256ELb0ELb0ELb0EEEvllPKT_S5_PKT0_S8_PS3_S9_ ; -- Begin function _ZN2at6native12_GLOBAL__N_135GammaBetaBackwardCUDAKernelTemplateIddLj32ELj32ELj256ELb0ELb0ELb0EEEvllPKT_S5_PKT0_S8_PS3_S9_
	.p2align	8
	.type	_ZN2at6native12_GLOBAL__N_135GammaBetaBackwardCUDAKernelTemplateIddLj32ELj32ELj256ELb0ELb0ELb0EEEvllPKT_S5_PKT0_S8_PS3_S9_,@function
_ZN2at6native12_GLOBAL__N_135GammaBetaBackwardCUDAKernelTemplateIddLj32ELj32ELj256ELb0ELb0ELb0EEEvllPKT_S5_PKT0_S8_PS3_S9_: ; @_ZN2at6native12_GLOBAL__N_135GammaBetaBackwardCUDAKernelTemplateIddLj32ELj32ELj256ELb0ELb0ELb0EEEvllPKT_S5_PKT0_S8_PS3_S9_
; %bb.0:
	s_load_dwordx8 s[8:15], s[0:1], 0x0
	s_load_dwordx4 s[16:19], s[0:1], 0x20
	s_lshl_b32 s33, s2, 5
	s_or_b32 s4, s33, 31
	s_mov_b32 s21, 0
	v_mov_b32_e32 v2, s4
	v_mov_b32_e32 v3, 0
	s_lshl_b32 s20, s3, 8
	s_waitcnt lgkmcnt(0)
	v_cmp_le_i64_e32 vcc, s[10:11], v[2:3]
	v_mov_b64_e32 v[2:3], s[20:21]
	v_cmp_gt_i64_e64 s[4:5], s[8:9], v[2:3]
	s_nop 1
	v_cndmask_b32_e64 v1, 0, 1, s[4:5]
	v_cmp_ne_u32_e64 s[4:5], 1, v1
	s_cbranch_vccz .LBB46_49
; %bb.1:
	v_mov_b64_e32 v[36:37], 0
	s_and_b64 vcc, exec, s[4:5]
	v_mov_b64_e32 v[38:39], 0
	s_cbranch_vccnz .LBB46_50
; %bb.2:
	v_and_b32_e32 v1, 0x3ff, v0
	v_mov_b32_e32 v2, 0
	v_bfe_u32 v84, v0, 10, 10
	v_add_u32_e32 v4, s33, v1
	v_mov_b32_e32 v5, v2
	v_lshlrev_b32_e32 v40, 3, v84
	v_mov_b32_e32 v41, v2
	v_cmp_gt_i64_e64 s[6:7], s[10:11], v[4:5]
	v_lshlrev_b64 v[42:43], 3, v[4:5]
	v_lshl_add_u64 v[4:5], v[40:41], 0, s[20:21]
	v_mul_lo_u32 v3, s11, v4
	v_mul_lo_u32 v8, s10, v5
	v_mad_u64_u32 v[6:7], s[24:25], s10, v4, 0
	v_add3_u32 v7, v7, v8, v3
	v_lshlrev_b64 v[6:7], 3, v[6:7]
	v_lshl_add_u64 v[44:45], s[12:13], 0, v[6:7]
	v_lshl_add_u64 v[46:47], s[14:15], 0, v[6:7]
	v_lshl_add_u64 v[6:7], v[4:5], 0, 7
	v_mul_lo_u32 v9, s11, v6
	v_mul_lo_u32 v10, s10, v7
	v_mad_u64_u32 v[6:7], s[26:27], s10, v6, 0
	v_add3_u32 v7, v7, v10, v9
	v_lshlrev_b64 v[6:7], 3, v[6:7]
	v_lshl_add_u64 v[48:49], s[12:13], 0, v[6:7]
	v_lshl_add_u64 v[50:51], s[14:15], 0, v[6:7]
	;; [unrolled: 8-line block ×5, first 2 shown]
	v_lshl_add_u64 v[6:7], v[4:5], 0, 3
	v_mul_lo_u32 v9, s11, v6
	v_mul_lo_u32 v10, s10, v7
	v_mad_u64_u32 v[6:7], s[26:27], s10, v6, 0
	v_add3_u32 v7, v7, v10, v9
	s_load_dword s3, s[0:1], 0x44
	v_lshlrev_b64 v[6:7], 3, v[6:7]
	v_lshl_add_u64 v[64:65], s[12:13], 0, v[6:7]
	v_lshl_add_u64 v[66:67], s[14:15], 0, v[6:7]
	;; [unrolled: 1-line block ×3, first 2 shown]
	v_mul_lo_u32 v5, s11, v6
	v_mul_lo_u32 v9, s10, v7
	v_mad_u64_u32 v[6:7], s[26:27], s10, v6, 0
	v_add3_u32 v7, v7, v9, v5
	s_add_u32 s22, s0, 64
	v_lshlrev_b64 v[6:7], 3, v[6:7]
	s_addc_u32 s23, s1, 0
	s_waitcnt lgkmcnt(0)
	s_lshl_b32 s3, s3, 8
	v_lshl_add_u64 v[68:69], s[12:13], 0, v[6:7]
	v_lshl_add_u64 v[70:71], s[14:15], 0, v[6:7]
	v_mov_b64_e32 v[6:7], s[10:11]
	s_mul_i32 s24, s11, s3
	s_mul_hi_u32 s25, s10, s3
	v_mad_u64_u32 v[4:5], s[26:27], s10, v4, v[6:7]
	s_add_i32 s25, s25, s24
	s_mul_i32 s24, s10, s3
	v_add3_u32 v5, v3, v5, v8
	v_mbcnt_lo_u32_b32 v3, -1, 0
	s_lshl_b64 s[24:25], s[24:25], 3
	v_mbcnt_hi_u32_b32 v3, -1, v3
	v_lshlrev_b64 v[4:5], 3, v[4:5]
	s_add_u32 s26, s20, 0xff
	s_movk_i32 s28, 0xff01
	s_movk_i32 s30, 0xff02
	;; [unrolled: 1-line block ×8, first 2 shown]
	v_lshlrev_b32_e32 v3, 2, v3
	v_lshl_add_u64 v[72:73], s[12:13], 0, v[4:5]
	v_lshl_add_u64 v[74:75], s[14:15], 0, v[4:5]
	s_addc_u32 s27, 0, 0
	v_mov_b64_e32 v[76:77], 0
	s_mov_b32 s29, -1
	s_mov_b32 s31, -1
	;; [unrolled: 1-line block ×8, first 2 shown]
	v_and_b32_e32 v85, 0x100, v3
	v_mov_b64_e32 v[36:37], 0
	s_mov_b64 s[46:47], s[20:21]
.LBB46_3:                               ; =>This Inner Loop Header: Depth=1
	v_mov_b64_e32 v[4:5], s[8:9]
	v_cmp_ge_i64_e32 vcc, s[26:27], v[4:5]
	v_lshl_add_u64 v[78:79], v[40:41], 0, s[26:27]
	s_mov_b64 s[48:49], -1
	s_and_b64 vcc, exec, vcc
                                        ; implicit-def: $vgpr4_vgpr5_vgpr6_vgpr7_vgpr8_vgpr9_vgpr10_vgpr11_vgpr12_vgpr13_vgpr14_vgpr15_vgpr16_vgpr17_vgpr18_vgpr19
                                        ; implicit-def: $vgpr82_vgpr83
                                        ; implicit-def: $vgpr20_vgpr21_vgpr22_vgpr23_vgpr24_vgpr25_vgpr26_vgpr27_vgpr28_vgpr29_vgpr30_vgpr31_vgpr32_vgpr33_vgpr34_vgpr35
                                        ; implicit-def: $vgpr4
                                        ; implicit-def: $vgpr6_vgpr7
                                        ; implicit-def: $vgpr38_vgpr39
	s_cbranch_vccz .LBB46_25
; %bb.4:                                ;   in Loop: Header=BB46_3 Depth=1
	s_load_dword s48, s[22:23], 0xc
	v_mov_b64_e32 v[82:83], 0
	v_mov_b64_e32 v[80:81], 0
	s_waitcnt lgkmcnt(0)
	s_and_b32 s48, s48, 0xffff
	v_mad_u32_u24 v3, v84, s48, v1
	v_and_b32_e32 v4, 63, v3
	v_cmp_gt_u32_e32 vcc, 8, v4
	s_and_saveexec_b64 s[48:49], vcc
	s_cbranch_execz .LBB46_8
; %bb.5:                                ;   in Loop: Header=BB46_3 Depth=1
	v_mov_b32_e32 v5, v2
	v_lshl_add_u64 v[4:5], v[78:79], 0, v[4:5]
	v_lshl_add_u64 v[4:5], v[4:5], 0, s[28:29]
	v_cmp_gt_i64_e32 vcc, s[8:9], v[4:5]
	v_mov_b64_e32 v[80:81], 0
	v_mov_b64_e32 v[82:83], 0
	s_and_saveexec_b64 s[50:51], vcc
	s_cbranch_execz .LBB46_7
; %bb.6:                                ;   in Loop: Header=BB46_3 Depth=1
	v_lshlrev_b64 v[4:5], 3, v[4:5]
	v_lshl_add_u64 v[6:7], s[18:19], 0, v[4:5]
	v_lshl_add_u64 v[4:5], s[16:17], 0, v[4:5]
	global_load_dwordx2 v[80:81], v[4:5], off
	global_load_dwordx2 v[82:83], v[6:7], off
.LBB46_7:                               ;   in Loop: Header=BB46_3 Depth=1
	s_or_b64 exec, exec, s[50:51]
.LBB46_8:                               ;   in Loop: Header=BB46_3 Depth=1
	s_or_b64 exec, exec, s[48:49]
	v_lshl_add_u64 v[4:5], v[78:79], 0, s[28:29]
	v_mov_b32_e32 v16, v2
	v_mov_b32_e32 v17, v2
	v_cmp_gt_i64_e32 vcc, s[8:9], v[4:5]
	v_mov_b32_e32 v3, v2
	v_mov_b32_e32 v4, v2
	;; [unrolled: 1-line block ×13, first 2 shown]
	v_mov_b64_e32 v[34:35], v[16:17]
	v_mov_b64_e32 v[32:33], v[14:15]
	;; [unrolled: 1-line block ×9, first 2 shown]
	s_and_b64 s[50:51], s[6:7], vcc
	v_mov_b64_e32 v[16:17], v[14:15]
	v_mov_b64_e32 v[14:15], v[12:13]
	;; [unrolled: 1-line block ×7, first 2 shown]
	s_and_saveexec_b64 s[48:49], s[50:51]
	s_cbranch_execz .LBB46_10
; %bb.9:                                ;   in Loop: Header=BB46_3 Depth=1
	v_lshl_add_u64 v[4:5], v[44:45], 0, v[42:43]
	v_lshl_add_u64 v[6:7], v[46:47], 0, v[42:43]
	global_load_dwordx2 v[4:5], v[4:5], off
	v_mov_b32_e32 v8, v2
	global_load_dwordx2 v[20:21], v[6:7], off
	v_mov_b32_e32 v6, v2
	v_mov_b32_e32 v7, v2
	;; [unrolled: 1-line block ×27, first 2 shown]
.LBB46_10:                              ;   in Loop: Header=BB46_3 Depth=1
	s_or_b64 exec, exec, s[48:49]
	v_lshl_add_u64 v[38:39], v[78:79], 0, s[30:31]
	v_cmp_gt_i64_e32 vcc, s[8:9], v[38:39]
	s_and_b64 s[50:51], s[6:7], vcc
	s_and_saveexec_b64 s[48:49], s[50:51]
	s_cbranch_execz .LBB46_12
; %bb.11:                               ;   in Loop: Header=BB46_3 Depth=1
	v_lshl_add_u64 v[6:7], v[72:73], 0, v[42:43]
	v_lshl_add_u64 v[22:23], v[74:75], 0, v[42:43]
	global_load_dwordx2 v[6:7], v[6:7], off
	s_nop 0
	global_load_dwordx2 v[22:23], v[22:23], off
.LBB46_12:                              ;   in Loop: Header=BB46_3 Depth=1
	s_or_b64 exec, exec, s[48:49]
	v_lshl_add_u64 v[38:39], v[78:79], 0, s[34:35]
	v_cmp_gt_i64_e32 vcc, s[8:9], v[38:39]
	s_and_b64 s[50:51], s[6:7], vcc
	s_and_saveexec_b64 s[48:49], s[50:51]
	s_cbranch_execz .LBB46_14
; %bb.13:                               ;   in Loop: Header=BB46_3 Depth=1
	v_lshl_add_u64 v[8:9], v[68:69], 0, v[42:43]
	v_lshl_add_u64 v[24:25], v[70:71], 0, v[42:43]
	global_load_dwordx2 v[8:9], v[8:9], off
	s_nop 0
	global_load_dwordx2 v[24:25], v[24:25], off
.LBB46_14:                              ;   in Loop: Header=BB46_3 Depth=1
	;; [unrolled: 13-line block ×7, first 2 shown]
	s_or_b64 exec, exec, s[48:49]
	s_waitcnt vmcnt(1)
	ds_bpermute_b32 v38, v85, v80
	ds_bpermute_b32 v39, v85, v81
	s_waitcnt vmcnt(0)
	ds_bpermute_b32 v86, v85, v82
	ds_bpermute_b32 v87, v85, v83
	ds_bpermute_b32 v88, v85, v80 offset:4
	ds_bpermute_b32 v89, v85, v81 offset:4
	s_waitcnt lgkmcnt(4)
	v_add_f64 v[20:21], v[20:21], -v[38:39]
	v_mul_f64 v[20:21], v[4:5], v[20:21]
	s_waitcnt lgkmcnt(2)
	v_fma_f64 v[38:39], v[20:21], v[86:87], v[76:77]
	ds_bpermute_b32 v20, v85, v82 offset:4
	ds_bpermute_b32 v21, v85, v83 offset:4
	;; [unrolled: 1-line block ×4, first 2 shown]
	v_add_f64 v[4:5], v[36:37], v[4:5]
	s_waitcnt lgkmcnt(4)
	v_add_f64 v[22:23], v[22:23], -v[88:89]
	v_mul_f64 v[22:23], v[6:7], v[22:23]
	v_add_f64 v[4:5], v[6:7], v[4:5]
	ds_bpermute_b32 v6, v85, v82 offset:8
	ds_bpermute_b32 v7, v85, v83 offset:8
	s_waitcnt lgkmcnt(4)
	v_fmac_f64_e32 v[38:39], v[22:23], v[20:21]
	s_waitcnt lgkmcnt(2)
	v_add_f64 v[20:21], v[24:25], -v[86:87]
	ds_bpermute_b32 v22, v85, v80 offset:12
	ds_bpermute_b32 v23, v85, v81 offset:12
	v_mul_f64 v[20:21], v[8:9], v[20:21]
	s_waitcnt lgkmcnt(2)
	v_fmac_f64_e32 v[38:39], v[20:21], v[6:7]
	ds_bpermute_b32 v6, v85, v82 offset:12
	ds_bpermute_b32 v7, v85, v83 offset:12
	v_add_f64 v[4:5], v[8:9], v[4:5]
	s_waitcnt lgkmcnt(2)
	v_add_f64 v[8:9], v[26:27], -v[22:23]
	ds_bpermute_b32 v20, v85, v80 offset:16
	ds_bpermute_b32 v21, v85, v81 offset:16
	v_mul_f64 v[8:9], v[10:11], v[8:9]
	s_waitcnt lgkmcnt(2)
	v_fmac_f64_e32 v[38:39], v[8:9], v[6:7]
	ds_bpermute_b32 v6, v85, v82 offset:16
	ds_bpermute_b32 v7, v85, v83 offset:16
	v_add_f64 v[4:5], v[10:11], v[4:5]
	s_waitcnt lgkmcnt(2)
	v_add_f64 v[8:9], v[28:29], -v[20:21]
	ds_bpermute_b32 v10, v85, v80 offset:20
	ds_bpermute_b32 v11, v85, v81 offset:20
	v_mul_f64 v[8:9], v[12:13], v[8:9]
	s_waitcnt lgkmcnt(2)
	v_fmac_f64_e32 v[38:39], v[8:9], v[6:7]
	ds_bpermute_b32 v6, v85, v82 offset:20
	ds_bpermute_b32 v7, v85, v83 offset:20
	s_waitcnt lgkmcnt(2)
	v_add_f64 v[8:9], v[30:31], -v[10:11]
	ds_bpermute_b32 v10, v85, v80 offset:24
	ds_bpermute_b32 v11, v85, v81 offset:24
	v_mul_f64 v[8:9], v[14:15], v[8:9]
	v_add_f64 v[4:5], v[12:13], v[4:5]
	s_waitcnt lgkmcnt(2)
	v_fmac_f64_e32 v[38:39], v[8:9], v[6:7]
	ds_bpermute_b32 v8, v85, v82 offset:24
	ds_bpermute_b32 v9, v85, v83 offset:24
	v_add_f64 v[6:7], v[14:15], v[4:5]
	ds_bpermute_b32 v82, v85, v82 offset:28
	ds_bpermute_b32 v83, v85, v83 offset:28
	;; [unrolled: 1-line block ×4, first 2 shown]
	s_waitcnt lgkmcnt(6)
	v_add_f64 v[10:11], v[32:33], -v[10:11]
	v_mul_f64 v[10:11], v[16:17], v[10:11]
	s_waitcnt lgkmcnt(4)
	v_fmac_f64_e32 v[38:39], v[10:11], v[8:9]
	v_add_f64 v[6:7], v[16:17], v[6:7]
	s_mov_b64 s[48:49], 0
.LBB46_25:                              ;   in Loop: Header=BB46_3 Depth=1
	s_and_b64 vcc, exec, s[48:49]
	s_cbranch_vccz .LBB46_40
; %bb.26:                               ;   in Loop: Header=BB46_3 Depth=1
	s_load_dword s48, s[22:23], 0x0
	v_mov_b64_e32 v[80:81], 0
	v_mov_b64_e32 v[38:39], 0
	s_waitcnt lgkmcnt(0)
	s_cmp_lt_u32 s2, s48
	s_cselect_b32 s48, 12, 18
	s_add_u32 s48, s22, s48
	s_addc_u32 s49, s23, 0
	global_load_ushort v3, v2, s[48:49]
	s_waitcnt vmcnt(0)
	v_mad_u32_u24 v3, v84, v3, v1
	v_and_b32_e32 v4, 63, v3
	v_cmp_gt_u32_e32 vcc, 8, v4
	s_and_saveexec_b64 s[48:49], vcc
	s_cbranch_execz .LBB46_30
; %bb.27:                               ;   in Loop: Header=BB46_3 Depth=1
	v_mov_b32_e32 v5, v2
	v_lshl_add_u64 v[4:5], v[78:79], 0, v[4:5]
	v_lshl_add_u64 v[4:5], v[4:5], 0, s[28:29]
	v_cmp_gt_i64_e32 vcc, s[8:9], v[4:5]
	v_mov_b64_e32 v[38:39], 0
	v_mov_b64_e32 v[80:81], 0
	s_and_saveexec_b64 s[50:51], vcc
	s_cbranch_execz .LBB46_29
; %bb.28:                               ;   in Loop: Header=BB46_3 Depth=1
	v_lshlrev_b64 v[4:5], 3, v[4:5]
	v_lshl_add_u64 v[6:7], s[18:19], 0, v[4:5]
	v_lshl_add_u64 v[4:5], s[16:17], 0, v[4:5]
	global_load_dwordx2 v[38:39], v[4:5], off
	global_load_dwordx2 v[80:81], v[6:7], off
.LBB46_29:                              ;   in Loop: Header=BB46_3 Depth=1
	s_or_b64 exec, exec, s[50:51]
.LBB46_30:                              ;   in Loop: Header=BB46_3 Depth=1
	s_or_b64 exec, exec, s[48:49]
	v_mov_b32_e32 v16, v2
	v_mov_b32_e32 v17, v2
	;; [unrolled: 1-line block ×15, first 2 shown]
	v_mov_b64_e32 v[34:35], v[16:17]
	v_mov_b64_e32 v[32:33], v[14:15]
	;; [unrolled: 1-line block ×16, first 2 shown]
	s_and_saveexec_b64 s[48:49], s[6:7]
	s_cbranch_execnz .LBB46_42
; %bb.31:                               ;   in Loop: Header=BB46_3 Depth=1
	s_or_b64 exec, exec, s[48:49]
	s_and_saveexec_b64 s[48:49], s[6:7]
	s_cbranch_execnz .LBB46_43
.LBB46_32:                              ;   in Loop: Header=BB46_3 Depth=1
	s_or_b64 exec, exec, s[48:49]
	s_and_saveexec_b64 s[48:49], s[6:7]
	s_cbranch_execnz .LBB46_44
.LBB46_33:                              ;   in Loop: Header=BB46_3 Depth=1
	s_or_b64 exec, exec, s[48:49]
	s_and_saveexec_b64 s[48:49], s[6:7]
	s_cbranch_execnz .LBB46_45
.LBB46_34:                              ;   in Loop: Header=BB46_3 Depth=1
	s_or_b64 exec, exec, s[48:49]
	s_and_saveexec_b64 s[48:49], s[6:7]
	s_cbranch_execnz .LBB46_46
.LBB46_35:                              ;   in Loop: Header=BB46_3 Depth=1
	s_or_b64 exec, exec, s[48:49]
	s_and_saveexec_b64 s[48:49], s[6:7]
	s_cbranch_execnz .LBB46_47
.LBB46_36:                              ;   in Loop: Header=BB46_3 Depth=1
	s_or_b64 exec, exec, s[48:49]
	s_and_saveexec_b64 s[48:49], s[6:7]
	s_cbranch_execnz .LBB46_48
.LBB46_37:                              ;   in Loop: Header=BB46_3 Depth=1
	s_or_b64 exec, exec, s[48:49]
	s_and_saveexec_b64 s[48:49], s[6:7]
	s_cbranch_execz .LBB46_39
.LBB46_38:                              ;   in Loop: Header=BB46_3 Depth=1
	v_lshl_add_u64 v[18:19], v[48:49], 0, v[42:43]
	v_lshl_add_u64 v[34:35], v[50:51], 0, v[42:43]
	global_load_dwordx2 v[18:19], v[18:19], off
	s_nop 0
	global_load_dwordx2 v[34:35], v[34:35], off
.LBB46_39:                              ;   in Loop: Header=BB46_3 Depth=1
	s_or_b64 exec, exec, s[48:49]
	s_waitcnt vmcnt(1)
	ds_bpermute_b32 v78, v85, v38
	ds_bpermute_b32 v79, v85, v39
	s_waitcnt vmcnt(0)
	ds_bpermute_b32 v82, v85, v80
	ds_bpermute_b32 v83, v85, v81
	ds_bpermute_b32 v86, v85, v38 offset:4
	ds_bpermute_b32 v87, v85, v39 offset:4
	s_waitcnt lgkmcnt(4)
	v_add_f64 v[20:21], v[20:21], -v[78:79]
	v_mul_f64 v[20:21], v[4:5], v[20:21]
	s_waitcnt lgkmcnt(2)
	v_fmac_f64_e32 v[76:77], v[20:21], v[82:83]
	v_add_f64 v[4:5], v[36:37], v[4:5]
	ds_bpermute_b32 v20, v85, v80 offset:4
	ds_bpermute_b32 v21, v85, v81 offset:4
	;; [unrolled: 1-line block ×4, first 2 shown]
	s_waitcnt lgkmcnt(4)
	v_add_f64 v[22:23], v[22:23], -v[86:87]
	v_mul_f64 v[22:23], v[6:7], v[22:23]
	v_add_f64 v[4:5], v[6:7], v[4:5]
	ds_bpermute_b32 v6, v85, v80 offset:8
	ds_bpermute_b32 v7, v85, v81 offset:8
	s_waitcnt lgkmcnt(4)
	v_fmac_f64_e32 v[76:77], v[22:23], v[20:21]
	s_waitcnt lgkmcnt(2)
	v_add_f64 v[20:21], v[24:25], -v[36:37]
	ds_bpermute_b32 v22, v85, v38 offset:12
	ds_bpermute_b32 v23, v85, v39 offset:12
	v_mul_f64 v[20:21], v[8:9], v[20:21]
	s_waitcnt lgkmcnt(2)
	v_fmac_f64_e32 v[76:77], v[20:21], v[6:7]
	ds_bpermute_b32 v6, v85, v80 offset:12
	ds_bpermute_b32 v7, v85, v81 offset:12
	v_add_f64 v[4:5], v[8:9], v[4:5]
	s_waitcnt lgkmcnt(2)
	v_add_f64 v[8:9], v[26:27], -v[22:23]
	ds_bpermute_b32 v20, v85, v38 offset:16
	ds_bpermute_b32 v21, v85, v39 offset:16
	v_mul_f64 v[8:9], v[10:11], v[8:9]
	s_waitcnt lgkmcnt(2)
	v_fmac_f64_e32 v[76:77], v[8:9], v[6:7]
	ds_bpermute_b32 v6, v85, v80 offset:16
	ds_bpermute_b32 v7, v85, v81 offset:16
	v_add_f64 v[4:5], v[10:11], v[4:5]
	s_waitcnt lgkmcnt(2)
	v_add_f64 v[8:9], v[28:29], -v[20:21]
	ds_bpermute_b32 v10, v85, v38 offset:20
	ds_bpermute_b32 v11, v85, v39 offset:20
	v_mul_f64 v[8:9], v[12:13], v[8:9]
	s_waitcnt lgkmcnt(2)
	v_fmac_f64_e32 v[76:77], v[8:9], v[6:7]
	ds_bpermute_b32 v6, v85, v80 offset:20
	ds_bpermute_b32 v7, v85, v81 offset:20
	s_waitcnt lgkmcnt(2)
	v_add_f64 v[8:9], v[30:31], -v[10:11]
	ds_bpermute_b32 v10, v85, v38 offset:24
	ds_bpermute_b32 v11, v85, v39 offset:24
	v_mul_f64 v[8:9], v[14:15], v[8:9]
	s_waitcnt lgkmcnt(2)
	v_fmac_f64_e32 v[76:77], v[8:9], v[6:7]
	ds_bpermute_b32 v8, v85, v80 offset:24
	ds_bpermute_b32 v9, v85, v81 offset:24
	v_add_f64 v[4:5], v[12:13], v[4:5]
	v_add_f64 v[6:7], v[14:15], v[4:5]
	ds_bpermute_b32 v82, v85, v80 offset:28
	ds_bpermute_b32 v83, v85, v81 offset:28
	;; [unrolled: 1-line block ×4, first 2 shown]
	s_waitcnt lgkmcnt(6)
	v_add_f64 v[10:11], v[32:33], -v[10:11]
	v_mul_f64 v[10:11], v[16:17], v[10:11]
	s_waitcnt lgkmcnt(4)
	v_fmac_f64_e32 v[76:77], v[10:11], v[8:9]
	v_add_f64 v[6:7], v[16:17], v[6:7]
	v_mov_b64_e32 v[38:39], v[76:77]
.LBB46_40:                              ;   in Loop: Header=BB46_3 Depth=1
	s_waitcnt lgkmcnt(0)
	v_add_f64 v[4:5], v[34:35], -v[4:5]
	v_mul_f64 v[4:5], v[18:19], v[4:5]
	s_add_u32 s46, s46, s3
	v_fmac_f64_e32 v[38:39], v[4:5], v[82:83]
	s_addc_u32 s47, s47, 0
	v_mov_b64_e32 v[4:5], s[8:9]
	s_add_u32 s26, s26, s3
	v_cmp_lt_i64_e32 vcc, s[46:47], v[4:5]
	v_add_f64 v[36:37], v[6:7], v[18:19]
	v_lshl_add_u64 v[44:45], v[44:45], 0, s[24:25]
	v_lshl_add_u64 v[46:47], v[46:47], 0, s[24:25]
	;; [unrolled: 1-line block ×16, first 2 shown]
	s_addc_u32 s27, s27, 0
	s_cbranch_vccz .LBB46_50
; %bb.41:                               ;   in Loop: Header=BB46_3 Depth=1
	v_mov_b64_e32 v[76:77], v[38:39]
	s_branch .LBB46_3
.LBB46_42:                              ;   in Loop: Header=BB46_3 Depth=1
	v_lshl_add_u64 v[4:5], v[44:45], 0, v[42:43]
	v_lshl_add_u64 v[6:7], v[46:47], 0, v[42:43]
	global_load_dwordx2 v[4:5], v[4:5], off
	v_mov_b32_e32 v8, v2
	global_load_dwordx2 v[20:21], v[6:7], off
	v_mov_b32_e32 v6, v2
	v_mov_b32_e32 v7, v2
	;; [unrolled: 1-line block ×27, first 2 shown]
	s_or_b64 exec, exec, s[48:49]
	s_and_saveexec_b64 s[48:49], s[6:7]
	s_cbranch_execz .LBB46_32
.LBB46_43:                              ;   in Loop: Header=BB46_3 Depth=1
	v_lshl_add_u64 v[6:7], v[72:73], 0, v[42:43]
	v_lshl_add_u64 v[22:23], v[74:75], 0, v[42:43]
	global_load_dwordx2 v[6:7], v[6:7], off
	s_nop 0
	global_load_dwordx2 v[22:23], v[22:23], off
	s_or_b64 exec, exec, s[48:49]
	s_and_saveexec_b64 s[48:49], s[6:7]
	s_cbranch_execz .LBB46_33
.LBB46_44:                              ;   in Loop: Header=BB46_3 Depth=1
	v_lshl_add_u64 v[8:9], v[68:69], 0, v[42:43]
	v_lshl_add_u64 v[24:25], v[70:71], 0, v[42:43]
	global_load_dwordx2 v[8:9], v[8:9], off
	s_nop 0
	global_load_dwordx2 v[24:25], v[24:25], off
	s_or_b64 exec, exec, s[48:49]
	s_and_saveexec_b64 s[48:49], s[6:7]
	s_cbranch_execz .LBB46_34
.LBB46_45:                              ;   in Loop: Header=BB46_3 Depth=1
	v_lshl_add_u64 v[10:11], v[64:65], 0, v[42:43]
	v_lshl_add_u64 v[26:27], v[66:67], 0, v[42:43]
	global_load_dwordx2 v[10:11], v[10:11], off
	s_nop 0
	global_load_dwordx2 v[26:27], v[26:27], off
	s_or_b64 exec, exec, s[48:49]
	s_and_saveexec_b64 s[48:49], s[6:7]
	s_cbranch_execz .LBB46_35
.LBB46_46:                              ;   in Loop: Header=BB46_3 Depth=1
	v_lshl_add_u64 v[12:13], v[60:61], 0, v[42:43]
	v_lshl_add_u64 v[28:29], v[62:63], 0, v[42:43]
	global_load_dwordx2 v[12:13], v[12:13], off
	s_nop 0
	global_load_dwordx2 v[28:29], v[28:29], off
	s_or_b64 exec, exec, s[48:49]
	s_and_saveexec_b64 s[48:49], s[6:7]
	s_cbranch_execz .LBB46_36
.LBB46_47:                              ;   in Loop: Header=BB46_3 Depth=1
	v_lshl_add_u64 v[14:15], v[56:57], 0, v[42:43]
	v_lshl_add_u64 v[30:31], v[58:59], 0, v[42:43]
	global_load_dwordx2 v[14:15], v[14:15], off
	s_nop 0
	global_load_dwordx2 v[30:31], v[30:31], off
	s_or_b64 exec, exec, s[48:49]
	s_and_saveexec_b64 s[48:49], s[6:7]
	s_cbranch_execz .LBB46_37
.LBB46_48:                              ;   in Loop: Header=BB46_3 Depth=1
	v_lshl_add_u64 v[16:17], v[52:53], 0, v[42:43]
	v_lshl_add_u64 v[32:33], v[54:55], 0, v[42:43]
	global_load_dwordx2 v[16:17], v[16:17], off
	s_nop 0
	global_load_dwordx2 v[32:33], v[32:33], off
	s_or_b64 exec, exec, s[48:49]
	s_and_saveexec_b64 s[48:49], s[6:7]
	s_cbranch_execnz .LBB46_38
	s_branch .LBB46_39
.LBB46_49:
                                        ; implicit-def: $vgpr36_vgpr37
                                        ; implicit-def: $vgpr38_vgpr39
	s_branch .LBB46_51
.LBB46_50:
	s_cbranch_execnz .LBB46_82
.LBB46_51:
	v_mov_b64_e32 v[36:37], 0
	s_and_b64 vcc, exec, s[4:5]
	v_mov_b64_e32 v[38:39], 0
	s_cbranch_vccnz .LBB46_82
; %bb.52:
	v_mov_b32_e32 v2, 0
	v_bfe_u32 v1, v0, 10, 10
	v_lshlrev_b32_e32 v6, 6, v1
	v_mov_b32_e32 v7, v2
	v_lshl_add_u64 v[6:7], s[20:21], 3, v[6:7]
	v_lshl_add_u64 v[8:9], v[6:7], 0, 8
	v_mov_b64_e32 v[10:11], s[12:13]
	v_mov_b64_e32 v[22:23], s[14:15]
	v_lshlrev_b32_e32 v40, 3, v1
	v_mov_b32_e32 v41, v2
	v_mad_u64_u32 v[42:43], s[4:5], s10, v8, v[10:11]
	v_mul_lo_u32 v3, s10, v9
	v_mul_lo_u32 v9, s11, v8
	v_lshl_add_u64 v[12:13], v[6:7], 0, 16
	v_lshl_add_u64 v[14:15], v[6:7], 0, 24
	;; [unrolled: 1-line block ×5, first 2 shown]
	v_mad_u64_u32 v[52:53], s[4:5], s10, v8, v[22:23]
	v_lshl_add_u64 v[6:7], v[6:7], 0, 56
	v_lshl_add_u64 v[4:5], v[40:41], 0, s[20:21]
	v_add3_u32 v43, v9, v43, v3
	v_add3_u32 v53, v9, v53, v3
	v_mad_u64_u32 v[58:59], s[4:5], s10, v6, v[10:11]
	v_mul_lo_u32 v7, s10, v7
	v_mul_lo_u32 v9, s11, v6
	v_mad_u64_u32 v[68:69], s[4:5], s10, v6, v[22:23]
	v_mad_u64_u32 v[54:55], s[4:5], s10, v20, v[10:11]
	v_mul_lo_u32 v3, s10, v21
	v_mul_lo_u32 v8, s11, v20
	v_add3_u32 v59, v9, v59, v7
	v_mad_u64_u32 v[66:67], s[4:5], s10, v20, v[22:23]
	v_add3_u32 v69, v9, v69, v7
	v_lshl_add_u64 v[6:7], v[4:5], 0, 7
	v_add3_u32 v55, v8, v55, v3
	v_add3_u32 v67, v8, v67, v3
	v_mul_lo_u32 v3, s11, v6
	v_mul_lo_u32 v8, s10, v7
	v_mad_u64_u32 v[6:7], s[4:5], s10, v6, 0
	v_add3_u32 v7, v7, v8, v3
	v_lshl_add_u64 v[8:9], v[4:5], 0, 6
	v_mad_u64_u32 v[44:45], s[4:5], s10, v12, v[10:11]
	v_mad_u64_u32 v[46:47], s[4:5], s10, v14, v[10:11]
	;; [unrolled: 1-line block ×4, first 2 shown]
	v_mul_lo_u32 v3, s11, v8
	v_mul_lo_u32 v10, s10, v9
	v_mad_u64_u32 v[8:9], s[4:5], s10, v8, 0
	v_add3_u32 v9, v9, v10, v3
	v_lshl_add_u64 v[10:11], v[4:5], 0, 5
	v_mul_lo_u32 v13, s10, v13
	v_mul_lo_u32 v24, s11, v12
	v_mad_u64_u32 v[56:57], s[4:5], s10, v12, v[22:23]
	v_mul_lo_u32 v3, s11, v10
	v_mul_lo_u32 v12, s10, v11
	v_mad_u64_u32 v[10:11], s[4:5], s10, v10, 0
	v_add3_u32 v45, v24, v45, v13
	v_add3_u32 v57, v24, v57, v13
	v_add3_u32 v11, v11, v12, v3
	v_lshl_add_u64 v[12:13], v[4:5], 0, 4
	v_mul_lo_u32 v15, s10, v15
	v_mul_lo_u32 v25, s11, v14
	v_mad_u64_u32 v[60:61], s[4:5], s10, v14, v[22:23]
	v_mul_lo_u32 v3, s11, v12
	v_mul_lo_u32 v14, s10, v13
	v_mad_u64_u32 v[12:13], s[4:5], s10, v12, 0
	v_add3_u32 v47, v25, v47, v15
	v_add3_u32 v61, v25, v61, v15
	;; [unrolled: 10-line block ×4, first 2 shown]
	v_add3_u32 v17, v17, v18, v3
	v_mov_b64_e32 v[18:19], s[10:11]
	v_mad_u64_u32 v[18:19], s[4:5], s10, v4, v[18:19]
	v_mul_lo_u32 v3, s11, v4
	v_mul_lo_u32 v20, s10, v5
	v_mad_u64_u32 v[4:5], s[4:5], s10, v4, 0
	v_add3_u32 v5, v5, v20, v3
	s_load_dword s3, s[0:1], 0x44
	v_lshlrev_b64 v[4:5], 3, v[4:5]
	v_lshl_add_u64 v[72:73], s[12:13], 0, v[4:5]
	v_lshl_add_u64 v[74:75], s[14:15], 0, v[4:5]
	v_lshlrev_b64 v[4:5], 3, v[6:7]
	v_lshl_add_u64 v[76:77], s[12:13], 0, v[4:5]
	v_lshl_add_u64 v[78:79], s[14:15], 0, v[4:5]
	v_lshlrev_b64 v[4:5], 3, v[8:9]
	s_add_u32 s4, s0, 64
	v_lshl_add_u64 v[80:81], s[12:13], 0, v[4:5]
	v_lshl_add_u64 v[82:83], s[14:15], 0, v[4:5]
	v_lshlrev_b64 v[4:5], 3, v[10:11]
	s_addc_u32 s5, s1, 0
	s_waitcnt lgkmcnt(0)
	s_lshl_b32 s3, s3, 8
	v_lshl_add_u64 v[84:85], s[12:13], 0, v[4:5]
	v_lshl_add_u64 v[86:87], s[14:15], 0, v[4:5]
	v_lshlrev_b64 v[4:5], 3, v[12:13]
	s_mul_i32 s6, s11, s3
	s_mul_hi_u32 s7, s10, s3
	v_lshl_add_u64 v[88:89], s[12:13], 0, v[4:5]
	v_lshl_add_u64 v[90:91], s[14:15], 0, v[4:5]
	v_lshlrev_b64 v[4:5], 3, v[14:15]
	v_add3_u32 v19, v3, v19, v20
	s_add_i32 s7, s7, s6
	s_mul_i32 s6, s10, s3
	v_lshl_add_u64 v[92:93], s[12:13], 0, v[4:5]
	v_lshl_add_u64 v[94:95], s[14:15], 0, v[4:5]
	v_lshlrev_b64 v[4:5], 3, v[16:17]
	v_mbcnt_lo_u32_b32 v3, -1, 0
	v_and_b32_e32 v110, 0x3ff, v0
	s_lshl_b64 s[6:7], s[6:7], 3
	v_lshl_add_u64 v[96:97], s[12:13], 0, v[4:5]
	v_lshl_add_u64 v[98:99], s[14:15], 0, v[4:5]
	v_lshlrev_b64 v[4:5], 3, v[18:19]
	v_mbcnt_hi_u32_b32 v3, -1, v3
	v_add_u32_e32 v20, s33, v110
	v_mov_b32_e32 v21, v2
	s_add_u32 s22, s20, 0xff
	v_lshl_add_u64 v[100:101], s[12:13], 0, v[4:5]
	v_lshl_add_u64 v[102:103], s[14:15], 0, v[4:5]
	s_movk_i32 s12, 0xff01
	s_movk_i32 s14, 0xff02
	;; [unrolled: 1-line block ×8, first 2 shown]
	v_lshlrev_b32_e32 v3, 2, v3
	v_lshlrev_b64 v[70:71], 3, v[20:21]
	s_addc_u32 s23, 0, 0
	s_mov_b32 s13, -1
	s_mov_b32 s15, -1
	;; [unrolled: 1-line block ×8, first 2 shown]
	v_and_b32_e32 v111, 0x100, v3
	v_mov_b64_e32 v[38:39], 0
	v_mov_b64_e32 v[36:37], 0
	s_branch .LBB46_56
.LBB46_53:                              ;   in Loop: Header=BB46_56 Depth=1
	s_or_b64 exec, exec, s[40:41]
.LBB46_54:                              ;   in Loop: Header=BB46_56 Depth=1
	s_or_b64 exec, exec, s[38:39]
	v_lshl_add_u64 v[6:7], v[74:75], 0, v[70:71]
	global_load_dwordx2 v[14:15], v[6:7], off
	v_lshl_add_u64 v[6:7], v[52:53], 0, v[70:71]
	global_load_dwordx2 v[10:11], v[6:7], off
	;; [unrolled: 2-line block ×6, first 2 shown]
	v_lshl_add_u64 v[16:17], v[42:43], 0, v[70:71]
	v_lshl_add_u64 v[22:23], v[44:45], 0, v[70:71]
	global_load_dwordx2 v[6:7], v[16:17], off
	s_nop 0
	global_load_dwordx2 v[16:17], v[22:23], off
	v_lshl_add_u64 v[118:119], v[66:67], 0, v[70:71]
	v_lshl_add_u64 v[32:33], v[64:65], 0, v[70:71]
	s_waitcnt vmcnt(9)
	ds_bpermute_b32 v106, v111, v8 offset:4
	ds_bpermute_b32 v107, v111, v9 offset:4
	global_load_dwordx2 v[118:119], v[118:119], off
	ds_bpermute_b32 v104, v111, v8
	ds_bpermute_b32 v105, v111, v9
	global_load_dwordx2 v[32:33], v[32:33], off
	v_lshl_add_u64 v[26:27], v[46:47], 0, v[70:71]
	global_load_dwordx2 v[26:27], v[26:27], off
	v_lshl_add_u64 v[28:29], v[48:49], 0, v[70:71]
	v_lshl_add_u64 v[30:31], v[50:51], 0, v[70:71]
	;; [unrolled: 1-line block ×3, first 2 shown]
	global_load_dwordx2 v[28:29], v[28:29], off
	s_nop 0
	global_load_dwordx2 v[30:31], v[30:31], off
	s_nop 0
	global_load_dwordx2 v[34:35], v[34:35], off
	ds_bpermute_b32 v108, v111, v8 offset:8
	ds_bpermute_b32 v109, v111, v9 offset:8
	;; [unrolled: 1-line block ×12, first 2 shown]
	s_waitcnt vmcnt(13) lgkmcnt(12)
	v_add_f64 v[14:15], v[14:15], -v[104:105]
	v_lshl_add_u64 v[104:105], v[58:59], 0, v[70:71]
	s_waitcnt vmcnt(12)
	v_add_f64 v[10:11], v[10:11], -v[106:107]
	v_lshl_add_u64 v[106:107], v[68:69], 0, v[70:71]
	global_load_dwordx2 v[106:107], v[106:107], off
	s_waitcnt vmcnt(12) lgkmcnt(10)
	v_add_f64 v[12:13], v[12:13], -v[108:109]
	ds_bpermute_b32 v108, v111, v4
	ds_bpermute_b32 v109, v111, v5
	s_waitcnt vmcnt(11) lgkmcnt(10)
	v_add_f64 v[24:25], v[24:25], -v[112:113]
	ds_bpermute_b32 v112, v111, v4 offset:4
	s_waitcnt vmcnt(9)
	v_add_f64 v[36:37], v[36:37], v[18:19]
	v_mul_f64 v[14:15], v[18:19], v[14:15]
	global_load_dwordx2 v[18:19], v[104:105], off
	ds_bpermute_b32 v113, v111, v5 offset:4
	s_waitcnt lgkmcnt(10)
	v_add_f64 v[20:21], v[20:21], -v[114:115]
	ds_bpermute_b32 v114, v111, v4 offset:8
	ds_bpermute_b32 v115, v111, v5 offset:8
	s_waitcnt vmcnt(9)
	v_mul_f64 v[10:11], v[6:7], v[10:11]
	s_waitcnt lgkmcnt(4)
	v_fmac_f64_e32 v[38:39], v[14:15], v[108:109]
	s_waitcnt vmcnt(8)
	v_mul_f64 v[12:13], v[16:17], v[12:13]
	s_waitcnt lgkmcnt(2)
	v_fmac_f64_e32 v[38:39], v[10:11], v[112:113]
	s_waitcnt lgkmcnt(0)
	v_fmac_f64_e32 v[38:39], v[12:13], v[114:115]
	ds_bpermute_b32 v12, v111, v4 offset:12
	ds_bpermute_b32 v13, v111, v5 offset:12
	s_waitcnt vmcnt(7)
	v_add_f64 v[14:15], v[118:119], -v[22:23]
	ds_bpermute_b32 v22, v111, v4 offset:16
	ds_bpermute_b32 v23, v111, v5 offset:16
	s_waitcnt vmcnt(6)
	v_add_f64 v[10:11], v[32:33], -v[116:117]
	v_add_f64 v[6:7], v[36:37], v[6:7]
	ds_bpermute_b32 v32, v111, v4 offset:20
	ds_bpermute_b32 v33, v111, v5 offset:20
	v_add_f64 v[6:7], v[6:7], v[16:17]
	ds_bpermute_b32 v16, v111, v4 offset:24
	ds_bpermute_b32 v17, v111, v5 offset:24
	s_waitcnt vmcnt(5)
	v_mul_f64 v[24:25], v[26:27], v[24:25]
	v_add_f64 v[6:7], v[6:7], v[26:27]
	ds_bpermute_b32 v26, v111, v4 offset:28
	ds_bpermute_b32 v27, v111, v5 offset:28
	s_waitcnt vmcnt(4)
	v_mul_f64 v[20:21], v[28:29], v[20:21]
	v_add_f64 v[6:7], v[6:7], v[28:29]
	s_waitcnt lgkmcnt(8)
	v_fmac_f64_e32 v[38:39], v[24:25], v[12:13]
	s_waitcnt vmcnt(3)
	v_mul_f64 v[10:11], v[30:31], v[10:11]
	v_add_f64 v[6:7], v[6:7], v[30:31]
	s_waitcnt lgkmcnt(6)
	v_fmac_f64_e32 v[38:39], v[20:21], v[22:23]
	s_waitcnt vmcnt(2)
	v_mul_f64 v[14:15], v[34:35], v[14:15]
	s_waitcnt lgkmcnt(4)
	v_fmac_f64_e32 v[38:39], v[10:11], v[32:33]
	v_add_f64 v[4:5], v[6:7], v[34:35]
	s_waitcnt lgkmcnt(2)
	v_fmac_f64_e32 v[38:39], v[14:15], v[16:17]
	v_mov_b64_e32 v[20:21], v[38:39]
	s_waitcnt vmcnt(1)
	v_add_f64 v[6:7], v[106:107], -v[8:9]
	s_waitcnt vmcnt(0)
	v_mul_f64 v[6:7], v[18:19], v[6:7]
	s_waitcnt lgkmcnt(0)
	v_mul_f64 v[6:7], v[6:7], v[26:27]
.LBB46_55:                              ;   in Loop: Header=BB46_56 Depth=1
	s_add_u32 s20, s20, s3
	v_add_f64 v[36:37], v[4:5], v[18:19]
	s_addc_u32 s21, s21, 0
	v_mov_b64_e32 v[4:5], s[8:9]
	s_add_u32 s22, s22, s3
	v_cmp_ge_i64_e32 vcc, s[20:21], v[4:5]
	v_add_f64 v[38:39], v[20:21], v[6:7]
	v_lshl_add_u64 v[72:73], v[72:73], 0, s[6:7]
	v_lshl_add_u64 v[74:75], v[74:75], 0, s[6:7]
	s_addc_u32 s23, s23, 0
	v_lshl_add_u64 v[42:43], v[42:43], 0, s[6:7]
	v_lshl_add_u64 v[44:45], v[44:45], 0, s[6:7]
	;; [unrolled: 1-line block ×28, first 2 shown]
	s_cbranch_vccnz .LBB46_82
.LBB46_56:                              ; =>This Inner Loop Header: Depth=1
	v_mov_b64_e32 v[4:5], s[8:9]
	v_cmp_ge_i64_e32 vcc, s[22:23], v[4:5]
	v_lshl_add_u64 v[104:105], v[40:41], 0, s[22:23]
	s_mov_b64 s[38:39], -1
	s_and_b64 vcc, exec, vcc
                                        ; implicit-def: $vgpr18_vgpr19
                                        ; implicit-def: $vgpr6_vgpr7
                                        ; implicit-def: $vgpr4_vgpr5
                                        ; implicit-def: $vgpr20_vgpr21
	s_cbranch_vccz .LBB46_78
; %bb.57:                               ;   in Loop: Header=BB46_56 Depth=1
	s_load_dword s33, s[4:5], 0xc
	v_mov_b64_e32 v[106:107], 0
	v_mov_b64_e32 v[108:109], 0
	s_waitcnt lgkmcnt(0)
	s_and_b32 s33, s33, 0xffff
	v_mad_u32_u24 v3, v1, s33, v110
	v_and_b32_e32 v4, 63, v3
	v_cmp_gt_u32_e32 vcc, 8, v4
	s_and_saveexec_b64 s[38:39], vcc
	s_cbranch_execz .LBB46_61
; %bb.58:                               ;   in Loop: Header=BB46_56 Depth=1
	v_mov_b32_e32 v5, v2
	v_lshl_add_u64 v[4:5], v[104:105], 0, v[4:5]
	v_lshl_add_u64 v[4:5], v[4:5], 0, s[12:13]
	v_cmp_gt_i64_e32 vcc, s[8:9], v[4:5]
	v_mov_b64_e32 v[108:109], 0
	v_mov_b64_e32 v[106:107], 0
	s_and_saveexec_b64 s[40:41], vcc
	s_cbranch_execz .LBB46_60
; %bb.59:                               ;   in Loop: Header=BB46_56 Depth=1
	v_lshlrev_b64 v[4:5], 3, v[4:5]
	v_lshl_add_u64 v[6:7], s[18:19], 0, v[4:5]
	v_lshl_add_u64 v[4:5], s[16:17], 0, v[4:5]
	global_load_dwordx2 v[108:109], v[4:5], off
	global_load_dwordx2 v[106:107], v[6:7], off
.LBB46_60:                              ;   in Loop: Header=BB46_56 Depth=1
	s_or_b64 exec, exec, s[40:41]
.LBB46_61:                              ;   in Loop: Header=BB46_56 Depth=1
	s_or_b64 exec, exec, s[38:39]
	v_lshl_add_u64 v[4:5], v[104:105], 0, s[12:13]
	v_mov_b32_e32 v16, v2
	v_mov_b32_e32 v17, v2
	v_cmp_gt_i64_e32 vcc, s[8:9], v[4:5]
	v_mov_b32_e32 v3, v2
	v_mov_b32_e32 v4, v2
	;; [unrolled: 1-line block ×13, first 2 shown]
	v_mov_b64_e32 v[34:35], v[16:17]
	v_mov_b64_e32 v[32:33], v[14:15]
	;; [unrolled: 1-line block ×16, first 2 shown]
	s_and_saveexec_b64 s[38:39], vcc
	s_cbranch_execz .LBB46_63
; %bb.62:                               ;   in Loop: Header=BB46_56 Depth=1
	v_lshl_add_u64 v[4:5], v[72:73], 0, v[70:71]
	v_lshl_add_u64 v[6:7], v[74:75], 0, v[70:71]
	global_load_dwordx2 v[4:5], v[4:5], off
	v_mov_b32_e32 v8, v2
	global_load_dwordx2 v[20:21], v[6:7], off
	v_mov_b32_e32 v6, v2
	v_mov_b32_e32 v7, v2
	;; [unrolled: 1-line block ×27, first 2 shown]
.LBB46_63:                              ;   in Loop: Header=BB46_56 Depth=1
	s_or_b64 exec, exec, s[38:39]
	v_lshl_add_u64 v[112:113], v[104:105], 0, s[14:15]
	v_cmp_gt_i64_e32 vcc, s[8:9], v[112:113]
	s_and_saveexec_b64 s[38:39], vcc
	s_cbranch_execz .LBB46_65
; %bb.64:                               ;   in Loop: Header=BB46_56 Depth=1
	v_lshl_add_u64 v[6:7], v[100:101], 0, v[70:71]
	v_lshl_add_u64 v[22:23], v[102:103], 0, v[70:71]
	global_load_dwordx2 v[6:7], v[6:7], off
	s_nop 0
	global_load_dwordx2 v[22:23], v[22:23], off
.LBB46_65:                              ;   in Loop: Header=BB46_56 Depth=1
	s_or_b64 exec, exec, s[38:39]
	v_lshl_add_u64 v[112:113], v[104:105], 0, s[24:25]
	v_cmp_gt_i64_e32 vcc, s[8:9], v[112:113]
	s_and_saveexec_b64 s[38:39], vcc
	s_cbranch_execz .LBB46_67
; %bb.66:                               ;   in Loop: Header=BB46_56 Depth=1
	v_lshl_add_u64 v[8:9], v[96:97], 0, v[70:71]
	v_lshl_add_u64 v[24:25], v[98:99], 0, v[70:71]
	global_load_dwordx2 v[8:9], v[8:9], off
	s_nop 0
	global_load_dwordx2 v[24:25], v[24:25], off
.LBB46_67:                              ;   in Loop: Header=BB46_56 Depth=1
	;; [unrolled: 12-line block ×7, first 2 shown]
	s_or_b64 exec, exec, s[38:39]
	s_waitcnt vmcnt(1)
	ds_bpermute_b32 v112, v111, v108
	ds_bpermute_b32 v113, v111, v109
	s_waitcnt vmcnt(0)
	ds_bpermute_b32 v114, v111, v106
	ds_bpermute_b32 v115, v111, v107
	ds_bpermute_b32 v116, v111, v108 offset:4
	ds_bpermute_b32 v117, v111, v109 offset:4
	s_waitcnt lgkmcnt(4)
	v_add_f64 v[20:21], v[20:21], -v[112:113]
	v_mul_f64 v[20:21], v[4:5], v[20:21]
	s_waitcnt lgkmcnt(2)
	v_fma_f64 v[20:21], v[20:21], v[114:115], v[38:39]
	ds_bpermute_b32 v112, v111, v106 offset:4
	ds_bpermute_b32 v113, v111, v107 offset:4
	;; [unrolled: 1-line block ×4, first 2 shown]
	v_add_f64 v[4:5], v[36:37], v[4:5]
	s_waitcnt lgkmcnt(4)
	v_add_f64 v[22:23], v[22:23], -v[116:117]
	v_mul_f64 v[22:23], v[6:7], v[22:23]
	v_add_f64 v[4:5], v[6:7], v[4:5]
	ds_bpermute_b32 v6, v111, v106 offset:8
	ds_bpermute_b32 v7, v111, v107 offset:8
	s_waitcnt lgkmcnt(4)
	v_fmac_f64_e32 v[20:21], v[22:23], v[112:113]
	s_waitcnt lgkmcnt(2)
	v_add_f64 v[22:23], v[24:25], -v[114:115]
	ds_bpermute_b32 v24, v111, v108 offset:12
	ds_bpermute_b32 v25, v111, v109 offset:12
	v_mul_f64 v[22:23], v[8:9], v[22:23]
	s_waitcnt lgkmcnt(2)
	v_fmac_f64_e32 v[20:21], v[22:23], v[6:7]
	ds_bpermute_b32 v6, v111, v106 offset:12
	ds_bpermute_b32 v7, v111, v107 offset:12
	v_add_f64 v[4:5], v[8:9], v[4:5]
	s_waitcnt lgkmcnt(2)
	v_add_f64 v[8:9], v[26:27], -v[24:25]
	ds_bpermute_b32 v22, v111, v108 offset:16
	ds_bpermute_b32 v23, v111, v109 offset:16
	v_mul_f64 v[8:9], v[10:11], v[8:9]
	s_waitcnt lgkmcnt(2)
	v_fmac_f64_e32 v[20:21], v[8:9], v[6:7]
	v_add_f64 v[4:5], v[10:11], v[4:5]
	ds_bpermute_b32 v6, v111, v106 offset:16
	ds_bpermute_b32 v7, v111, v107 offset:16
	;; [unrolled: 1-line block ×4, first 2 shown]
	s_waitcnt lgkmcnt(4)
	v_add_f64 v[8:9], v[28:29], -v[22:23]
	v_mul_f64 v[8:9], v[12:13], v[8:9]
	s_waitcnt lgkmcnt(2)
	v_fmac_f64_e32 v[20:21], v[8:9], v[6:7]
	ds_bpermute_b32 v6, v111, v106 offset:20
	ds_bpermute_b32 v7, v111, v107 offset:20
	s_waitcnt lgkmcnt(2)
	v_add_f64 v[8:9], v[30:31], -v[10:11]
	ds_bpermute_b32 v10, v111, v108 offset:24
	ds_bpermute_b32 v11, v111, v109 offset:24
	v_mul_f64 v[8:9], v[14:15], v[8:9]
	s_waitcnt lgkmcnt(2)
	v_fmac_f64_e32 v[20:21], v[8:9], v[6:7]
	ds_bpermute_b32 v6, v111, v106 offset:24
	ds_bpermute_b32 v7, v111, v107 offset:24
	s_waitcnt lgkmcnt(2)
	v_add_f64 v[8:9], v[32:33], -v[10:11]
	ds_bpermute_b32 v10, v111, v108 offset:28
	ds_bpermute_b32 v11, v111, v109 offset:28
	v_add_f64 v[4:5], v[12:13], v[4:5]
	ds_bpermute_b32 v12, v111, v106 offset:28
	ds_bpermute_b32 v13, v111, v107 offset:28
	v_mul_f64 v[8:9], v[16:17], v[8:9]
	s_waitcnt lgkmcnt(4)
	v_fmac_f64_e32 v[20:21], v[8:9], v[6:7]
	s_waitcnt lgkmcnt(2)
	v_add_f64 v[6:7], v[34:35], -v[10:11]
	v_add_f64 v[4:5], v[14:15], v[4:5]
	v_mul_f64 v[6:7], v[18:19], v[6:7]
	v_add_f64 v[4:5], v[16:17], v[4:5]
	s_waitcnt lgkmcnt(0)
	v_mul_f64 v[6:7], v[6:7], v[12:13]
	s_mov_b64 s[38:39], 0
.LBB46_78:                              ;   in Loop: Header=BB46_56 Depth=1
	s_and_b64 vcc, exec, s[38:39]
	s_cbranch_vccz .LBB46_55
; %bb.79:                               ;   in Loop: Header=BB46_56 Depth=1
	s_load_dword s33, s[4:5], 0x0
	v_mov_b64_e32 v[4:5], 0
	v_mov_b64_e32 v[8:9], 0
	s_waitcnt lgkmcnt(0)
	s_cmp_lt_u32 s2, s33
	s_cselect_b32 s33, 12, 18
	s_add_u32 s38, s4, s33
	s_addc_u32 s39, s5, 0
	global_load_ushort v3, v2, s[38:39]
	s_waitcnt vmcnt(0)
	v_mad_u32_u24 v3, v1, v3, v110
	v_and_b32_e32 v6, 63, v3
	v_cmp_gt_u32_e32 vcc, 8, v6
	s_and_saveexec_b64 s[38:39], vcc
	s_cbranch_execz .LBB46_54
; %bb.80:                               ;   in Loop: Header=BB46_56 Depth=1
	v_mov_b32_e32 v7, v2
	v_lshl_add_u64 v[4:5], v[104:105], 0, v[6:7]
	v_lshl_add_u64 v[6:7], v[4:5], 0, s[12:13]
	v_cmp_gt_i64_e32 vcc, s[8:9], v[6:7]
	v_mov_b64_e32 v[8:9], 0
	v_mov_b64_e32 v[4:5], 0
	s_and_saveexec_b64 s[40:41], vcc
	s_cbranch_execz .LBB46_53
; %bb.81:                               ;   in Loop: Header=BB46_56 Depth=1
	v_lshlrev_b64 v[4:5], 3, v[6:7]
	v_lshl_add_u64 v[6:7], s[18:19], 0, v[4:5]
	v_lshl_add_u64 v[4:5], s[16:17], 0, v[4:5]
	global_load_dwordx2 v[8:9], v[4:5], off
	s_nop 0
	global_load_dwordx2 v[4:5], v[6:7], off
	s_branch .LBB46_53
.LBB46_82:
	v_and_b32_e32 v1, 0x3ff, v0
	v_bfe_u32 v0, v0, 10, 10
	v_mad_u32_u24 v2, v0, 33, v1
	v_sub_u32_e32 v9, v2, v0
	s_movk_i32 s3, 0x800
	v_lshl_add_u32 v3, v2, 3, 0
	v_cmp_gt_u32_e32 vcc, s3, v9
	ds_write_b64 v3, v[38:39]
	ds_write_b64 v3, v[36:37] offset:8448
	s_waitcnt lgkmcnt(0)
	s_barrier
	s_and_saveexec_b64 s[4:5], vcc
	s_cbranch_execz .LBB46_98
; %bb.83:
	s_load_dwordx4 s[4:7], s[0:1], 0x30
	v_and_b32_e32 v2, 63, v9
	v_lshrrev_b32_e32 v0, 6, v9
	v_cmp_gt_u32_e64 s[0:1], 32, v2
	v_mul_u32_u24_e32 v8, 33, v2
                                        ; implicit-def: $vgpr2_vgpr3
                                        ; implicit-def: $vgpr4_vgpr5
	s_and_saveexec_b64 s[8:9], s[0:1]
	s_cbranch_execz .LBB46_85
; %bb.84:
	v_add_u32_e32 v2, v0, v8
	v_lshl_add_u32 v2, v2, 3, 0
	ds_read_b64 v[4:5], v2
	ds_read_b64 v[2:3], v2 offset:8448
.LBB46_85:
	s_or_b64 exec, exec, s[8:9]
	v_mbcnt_lo_u32_b32 v6, -1, 0
	v_mbcnt_hi_u32_b32 v16, -1, v6
	v_and_b32_e32 v6, 64, v16
	v_add_u32_e32 v17, 64, v6
	v_xor_b32_e32 v6, 16, v16
	v_cmp_lt_i32_e32 vcc, v6, v17
	s_mov_b32 s3, 0
	s_lshl_b64 s[8:9], s[2:3], 5
	v_cndmask_b32_e32 v6, v16, v6, vcc
	v_lshlrev_b32_e32 v10, 2, v6
	s_waitcnt lgkmcnt(0)
	ds_bpermute_b32 v6, v10, v4
	ds_bpermute_b32 v7, v10, v5
	;; [unrolled: 1-line block ×4, first 2 shown]
	v_cmp_eq_u32_e64 s[2:3], 0, v1
	v_xor_b32_e32 v1, 1, v16
	s_waitcnt lgkmcnt(2)
	v_add_f64 v[4:5], v[4:5], v[6:7]
	v_xor_b32_e32 v6, 8, v16
	v_cmp_lt_i32_e32 vcc, v6, v17
	s_waitcnt lgkmcnt(0)
	v_add_f64 v[2:3], v[2:3], v[12:13]
	s_cmp_lg_u64 s[4:5], 0
	v_cndmask_b32_e32 v6, v16, v6, vcc
	v_lshlrev_b32_e32 v11, 2, v6
	ds_bpermute_b32 v6, v11, v4
	ds_bpermute_b32 v7, v11, v5
	;; [unrolled: 1-line block ×4, first 2 shown]
	s_cselect_b64 s[14:15], -1, 0
	s_cmp_lg_u64 s[6:7], 0
	s_waitcnt lgkmcnt(2)
	v_add_f64 v[4:5], v[4:5], v[6:7]
	v_xor_b32_e32 v6, 4, v16
	v_cmp_lt_i32_e32 vcc, v6, v17
	s_waitcnt lgkmcnt(0)
	v_add_f64 v[2:3], v[2:3], v[12:13]
	s_cselect_b64 s[12:13], -1, 0
	v_cndmask_b32_e32 v6, v16, v6, vcc
	v_lshlrev_b32_e32 v12, 2, v6
	ds_bpermute_b32 v6, v12, v4
	ds_bpermute_b32 v7, v12, v5
	;; [unrolled: 1-line block ×4, first 2 shown]
	s_waitcnt lgkmcnt(2)
	v_add_f64 v[4:5], v[4:5], v[6:7]
	v_xor_b32_e32 v6, 2, v16
	v_cmp_lt_i32_e32 vcc, v6, v17
	s_waitcnt lgkmcnt(0)
	v_add_f64 v[2:3], v[2:3], v[14:15]
	v_cndmask_b32_e32 v6, v16, v6, vcc
	v_lshlrev_b32_e32 v13, 2, v6
	ds_bpermute_b32 v6, v13, v4
	ds_bpermute_b32 v7, v13, v5
	;; [unrolled: 1-line block ×4, first 2 shown]
	v_cmp_lt_i32_e32 vcc, v1, v17
	s_waitcnt lgkmcnt(2)
	v_add_f64 v[4:5], v[4:5], v[6:7]
	v_cndmask_b32_e32 v1, v16, v1, vcc
	s_waitcnt lgkmcnt(0)
	v_add_f64 v[6:7], v[2:3], v[14:15]
	v_lshlrev_b32_e32 v14, 2, v1
	ds_bpermute_b32 v2, v14, v4
	ds_bpermute_b32 v3, v14, v5
	;; [unrolled: 1-line block ×4, first 2 shown]
	v_mov_b32_e32 v1, 0
	s_waitcnt lgkmcnt(2)
	v_add_f64 v[2:3], v[4:5], v[2:3]
	s_waitcnt lgkmcnt(0)
	v_add_f64 v[4:5], v[6:7], v[16:17]
	v_or_b32_e32 v6, s8, v0
	v_mov_b32_e32 v7, s9
	v_cmp_gt_i64_e32 vcc, s[10:11], v[6:7]
	s_and_b64 s[18:19], s[2:3], vcc
	s_and_saveexec_b64 s[16:17], s[18:19]
	s_cbranch_execz .LBB46_90
; %bb.86:
	s_andn2_b64 vcc, exec, s[14:15]
	s_cbranch_vccnz .LBB46_88
; %bb.87:
	v_lshl_add_u64 v[16:17], v[6:7], 3, s[4:5]
	global_store_dwordx2 v[16:17], v[2:3], off
.LBB46_88:
	s_andn2_b64 vcc, exec, s[12:13]
	s_cbranch_vccnz .LBB46_90
; %bb.89:
	v_lshl_add_u64 v[6:7], v[6:7], 3, s[6:7]
	global_store_dwordx2 v[6:7], v[4:5], off
.LBB46_90:
	s_or_b64 exec, exec, s[16:17]
	s_movk_i32 s16, 0x400
	v_cmp_gt_u32_e32 vcc, s16, v9
	s_and_b64 exec, exec, vcc
	s_cbranch_execz .LBB46_98
; %bb.91:
	s_and_saveexec_b64 s[16:17], s[0:1]
	s_cbranch_execz .LBB46_93
; %bb.92:
	v_add_u32_e32 v2, v0, v8
	v_lshl_add_u32 v4, v2, 3, 0
	ds_read_b64 v[2:3], v4 offset:128
	ds_read_b64 v[4:5], v4 offset:8576
.LBB46_93:
	s_or_b64 exec, exec, s[16:17]
	s_waitcnt lgkmcnt(1)
	ds_bpermute_b32 v6, v10, v2
	ds_bpermute_b32 v7, v10, v3
	s_waitcnt lgkmcnt(2)
	ds_bpermute_b32 v8, v10, v4
	ds_bpermute_b32 v9, v10, v5
	v_add_u32_e32 v10, 16, v0
	v_or_b32_e32 v10, s8, v10
	s_waitcnt lgkmcnt(2)
	v_add_f64 v[2:3], v[2:3], v[6:7]
	ds_bpermute_b32 v6, v11, v2
	s_waitcnt lgkmcnt(1)
	v_add_f64 v[4:5], v[4:5], v[8:9]
	ds_bpermute_b32 v7, v11, v3
	ds_bpermute_b32 v8, v11, v4
	;; [unrolled: 1-line block ×3, first 2 shown]
	v_mov_b32_e32 v11, s9
	v_cmp_gt_i64_e32 vcc, s[10:11], v[10:11]
	s_waitcnt lgkmcnt(2)
	v_add_f64 v[2:3], v[2:3], v[6:7]
	ds_bpermute_b32 v6, v12, v2
	s_waitcnt lgkmcnt(1)
	v_add_f64 v[4:5], v[4:5], v[8:9]
	ds_bpermute_b32 v7, v12, v3
	ds_bpermute_b32 v8, v12, v4
	;; [unrolled: 1-line block ×3, first 2 shown]
	s_and_b64 s[0:1], s[2:3], vcc
	s_waitcnt lgkmcnt(2)
	v_add_f64 v[2:3], v[2:3], v[6:7]
	ds_bpermute_b32 v6, v13, v2
	s_waitcnt lgkmcnt(1)
	v_add_f64 v[4:5], v[4:5], v[8:9]
	ds_bpermute_b32 v7, v13, v3
	ds_bpermute_b32 v8, v13, v4
	;; [unrolled: 1-line block ×3, first 2 shown]
	s_waitcnt lgkmcnt(2)
	v_add_f64 v[6:7], v[2:3], v[6:7]
	s_waitcnt lgkmcnt(0)
	v_add_f64 v[2:3], v[4:5], v[8:9]
	ds_bpermute_b32 v8, v14, v6
	ds_bpermute_b32 v9, v14, v7
	;; [unrolled: 1-line block ×4, first 2 shown]
	s_and_b64 exec, exec, s[0:1]
	s_cbranch_execz .LBB46_98
; %bb.94:
	s_andn2_b64 vcc, exec, s[14:15]
	v_lshl_add_u64 v[0:1], s[8:9], 0, v[0:1]
	s_cbranch_vccnz .LBB46_96
; %bb.95:
	s_waitcnt lgkmcnt(2)
	v_add_f64 v[6:7], v[6:7], v[8:9]
	v_lshl_add_u64 v[8:9], v[0:1], 3, s[4:5]
	global_store_dwordx2 v[8:9], v[6:7], off offset:128
.LBB46_96:
	s_andn2_b64 vcc, exec, s[12:13]
	s_cbranch_vccnz .LBB46_98
; %bb.97:
	s_waitcnt lgkmcnt(0)
	v_add_f64 v[2:3], v[2:3], v[4:5]
	v_lshl_add_u64 v[0:1], v[0:1], 3, s[6:7]
	global_store_dwordx2 v[0:1], v[2:3], off offset:128
.LBB46_98:
	s_endpgm
	.section	.rodata,"a",@progbits
	.p2align	6, 0x0
	.amdhsa_kernel _ZN2at6native12_GLOBAL__N_135GammaBetaBackwardCUDAKernelTemplateIddLj32ELj32ELj256ELb0ELb0ELb0EEEvllPKT_S5_PKT0_S8_PS3_S9_
		.amdhsa_group_segment_fixed_size 0
		.amdhsa_private_segment_fixed_size 0
		.amdhsa_kernarg_size 320
		.amdhsa_user_sgpr_count 2
		.amdhsa_user_sgpr_dispatch_ptr 0
		.amdhsa_user_sgpr_queue_ptr 0
		.amdhsa_user_sgpr_kernarg_segment_ptr 1
		.amdhsa_user_sgpr_dispatch_id 0
		.amdhsa_user_sgpr_kernarg_preload_length 0
		.amdhsa_user_sgpr_kernarg_preload_offset 0
		.amdhsa_user_sgpr_private_segment_size 0
		.amdhsa_uses_dynamic_stack 0
		.amdhsa_enable_private_segment 0
		.amdhsa_system_sgpr_workgroup_id_x 1
		.amdhsa_system_sgpr_workgroup_id_y 1
		.amdhsa_system_sgpr_workgroup_id_z 0
		.amdhsa_system_sgpr_workgroup_info 0
		.amdhsa_system_vgpr_workitem_id 1
		.amdhsa_next_free_vgpr 120
		.amdhsa_next_free_sgpr 52
		.amdhsa_accum_offset 120
		.amdhsa_reserve_vcc 1
		.amdhsa_float_round_mode_32 0
		.amdhsa_float_round_mode_16_64 0
		.amdhsa_float_denorm_mode_32 3
		.amdhsa_float_denorm_mode_16_64 3
		.amdhsa_dx10_clamp 1
		.amdhsa_ieee_mode 1
		.amdhsa_fp16_overflow 0
		.amdhsa_tg_split 0
		.amdhsa_exception_fp_ieee_invalid_op 0
		.amdhsa_exception_fp_denorm_src 0
		.amdhsa_exception_fp_ieee_div_zero 0
		.amdhsa_exception_fp_ieee_overflow 0
		.amdhsa_exception_fp_ieee_underflow 0
		.amdhsa_exception_fp_ieee_inexact 0
		.amdhsa_exception_int_div_zero 0
	.end_amdhsa_kernel
	.section	.text._ZN2at6native12_GLOBAL__N_135GammaBetaBackwardCUDAKernelTemplateIddLj32ELj32ELj256ELb0ELb0ELb0EEEvllPKT_S5_PKT0_S8_PS3_S9_,"axG",@progbits,_ZN2at6native12_GLOBAL__N_135GammaBetaBackwardCUDAKernelTemplateIddLj32ELj32ELj256ELb0ELb0ELb0EEEvllPKT_S5_PKT0_S8_PS3_S9_,comdat
.Lfunc_end46:
	.size	_ZN2at6native12_GLOBAL__N_135GammaBetaBackwardCUDAKernelTemplateIddLj32ELj32ELj256ELb0ELb0ELb0EEEvllPKT_S5_PKT0_S8_PS3_S9_, .Lfunc_end46-_ZN2at6native12_GLOBAL__N_135GammaBetaBackwardCUDAKernelTemplateIddLj32ELj32ELj256ELb0ELb0ELb0EEEvllPKT_S5_PKT0_S8_PS3_S9_
                                        ; -- End function
	.set _ZN2at6native12_GLOBAL__N_135GammaBetaBackwardCUDAKernelTemplateIddLj32ELj32ELj256ELb0ELb0ELb0EEEvllPKT_S5_PKT0_S8_PS3_S9_.num_vgpr, 120
	.set _ZN2at6native12_GLOBAL__N_135GammaBetaBackwardCUDAKernelTemplateIddLj32ELj32ELj256ELb0ELb0ELb0EEEvllPKT_S5_PKT0_S8_PS3_S9_.num_agpr, 0
	.set _ZN2at6native12_GLOBAL__N_135GammaBetaBackwardCUDAKernelTemplateIddLj32ELj32ELj256ELb0ELb0ELb0EEEvllPKT_S5_PKT0_S8_PS3_S9_.numbered_sgpr, 52
	.set _ZN2at6native12_GLOBAL__N_135GammaBetaBackwardCUDAKernelTemplateIddLj32ELj32ELj256ELb0ELb0ELb0EEEvllPKT_S5_PKT0_S8_PS3_S9_.num_named_barrier, 0
	.set _ZN2at6native12_GLOBAL__N_135GammaBetaBackwardCUDAKernelTemplateIddLj32ELj32ELj256ELb0ELb0ELb0EEEvllPKT_S5_PKT0_S8_PS3_S9_.private_seg_size, 0
	.set _ZN2at6native12_GLOBAL__N_135GammaBetaBackwardCUDAKernelTemplateIddLj32ELj32ELj256ELb0ELb0ELb0EEEvllPKT_S5_PKT0_S8_PS3_S9_.uses_vcc, 1
	.set _ZN2at6native12_GLOBAL__N_135GammaBetaBackwardCUDAKernelTemplateIddLj32ELj32ELj256ELb0ELb0ELb0EEEvllPKT_S5_PKT0_S8_PS3_S9_.uses_flat_scratch, 0
	.set _ZN2at6native12_GLOBAL__N_135GammaBetaBackwardCUDAKernelTemplateIddLj32ELj32ELj256ELb0ELb0ELb0EEEvllPKT_S5_PKT0_S8_PS3_S9_.has_dyn_sized_stack, 0
	.set _ZN2at6native12_GLOBAL__N_135GammaBetaBackwardCUDAKernelTemplateIddLj32ELj32ELj256ELb0ELb0ELb0EEEvllPKT_S5_PKT0_S8_PS3_S9_.has_recursion, 0
	.set _ZN2at6native12_GLOBAL__N_135GammaBetaBackwardCUDAKernelTemplateIddLj32ELj32ELj256ELb0ELb0ELb0EEEvllPKT_S5_PKT0_S8_PS3_S9_.has_indirect_call, 0
	.section	.AMDGPU.csdata,"",@progbits
; Kernel info:
; codeLenInByte = 8784
; TotalNumSgprs: 58
; NumVgprs: 120
; NumAgprs: 0
; TotalNumVgprs: 120
; ScratchSize: 0
; MemoryBound: 1
; FloatMode: 240
; IeeeMode: 1
; LDSByteSize: 0 bytes/workgroup (compile time only)
; SGPRBlocks: 7
; VGPRBlocks: 14
; NumSGPRsForWavesPerEU: 58
; NumVGPRsForWavesPerEU: 120
; AccumOffset: 120
; Occupancy: 4
; WaveLimiterHint : 0
; COMPUTE_PGM_RSRC2:SCRATCH_EN: 0
; COMPUTE_PGM_RSRC2:USER_SGPR: 2
; COMPUTE_PGM_RSRC2:TRAP_HANDLER: 0
; COMPUTE_PGM_RSRC2:TGID_X_EN: 1
; COMPUTE_PGM_RSRC2:TGID_Y_EN: 1
; COMPUTE_PGM_RSRC2:TGID_Z_EN: 0
; COMPUTE_PGM_RSRC2:TIDIG_COMP_CNT: 1
; COMPUTE_PGM_RSRC3_GFX90A:ACCUM_OFFSET: 29
; COMPUTE_PGM_RSRC3_GFX90A:TG_SPLIT: 0
	.section	.text._ZN2at6native12_GLOBAL__N_118cuComputeGradInputIffLb0EEEvPKT_S5_llPKT0_S8_S5_PS3_,"axG",@progbits,_ZN2at6native12_GLOBAL__N_118cuComputeGradInputIffLb0EEEvPKT_S5_llPKT0_S8_S5_PS3_,comdat
	.globl	_ZN2at6native12_GLOBAL__N_118cuComputeGradInputIffLb0EEEvPKT_S5_llPKT0_S8_S5_PS3_ ; -- Begin function _ZN2at6native12_GLOBAL__N_118cuComputeGradInputIffLb0EEEvPKT_S5_llPKT0_S8_S5_PS3_
	.p2align	8
	.type	_ZN2at6native12_GLOBAL__N_118cuComputeGradInputIffLb0EEEvPKT_S5_llPKT0_S8_S5_PS3_,@function
_ZN2at6native12_GLOBAL__N_118cuComputeGradInputIffLb0EEEvPKT_S5_llPKT0_S8_S5_PS3_: ; @_ZN2at6native12_GLOBAL__N_118cuComputeGradInputIffLb0EEEvPKT_S5_llPKT0_S8_S5_PS3_
; %bb.0:
	s_load_dwordx4 s[24:27], s[0:1], 0x10
	s_mov_b32 s14, s3
	s_ashr_i32 s15, s3, 31
	v_mov_b64_e32 v[2:3], s[14:15]
	s_waitcnt lgkmcnt(0)
	v_cmp_le_i64_e32 vcc, s[24:25], v[2:3]
	s_cbranch_vccnz .LBB47_49
; %bb.1:
	s_load_dword s2, s[0:1], 0x4c
	s_load_dword s33, s[0:1], 0x44
	s_load_dwordx4 s[28:31], s[0:1], 0x0
	s_load_dwordx8 s[16:23], s[0:1], 0x20
	s_flbit_i32 s0, s27
	s_waitcnt lgkmcnt(0)
	s_lshr_b32 s46, s2, 16
	s_and_b32 s47, s2, 0xffff
	v_and_b32_e32 v14, 0x3ff, v0
	s_cmp_lg_u64 s[20:21], 0
	s_cselect_b64 s[6:7], -1, 0
	s_cmp_gt_u32 s47, 1
	s_cselect_b64 s[36:37], -1, 0
	s_cmp_gt_u32 s46, 1
	s_cselect_b64 s[38:39], -1, 0
	s_xor_b32 s1, s26, s27
	s_ashr_i32 s1, s1, 31
	s_add_i32 s0, s0, -1
	s_add_i32 s1, s1, 32
	s_min_u32 s2, s0, s1
	s_lshl_b64 s[0:1], s[26:27], s2
	s_min_u32 s0, s0, 1
	s_or_b32 s0, s1, s0
	v_cvt_f32_i32_e32 v1, s0
	s_sub_i32 s0, 32, s2
	v_bfe_u32 v15, v0, 10, 10
	s_mul_i32 s34, s46, s47
	v_ldexp_f32 v2, v1, s0
	v_div_scale_f32 v1, s[0:1], v2, v2, 1.0
	v_rcp_f32_e32 v4, v1
	v_mad_u32_u24 v0, v15, s47, v14
	s_ashr_i32 s35, s34, 31
	v_lshlrev_b32_e32 v3, 3, v0
	v_fma_f32 v6, -v1, v4, 1.0
	v_fmac_f32_e32 v4, v6, v4
	v_div_scale_f32 v6, vcc, 1.0, v2, 1.0
	v_mul_f32_e32 v7, v6, v4
	v_fma_f32 v8, -v1, v7, v6
	v_fmac_f32_e32 v7, v8, v4
	v_fma_f32 v1, -v1, v7, v6
	v_add_u32_e32 v6, s34, v0
	v_div_fmas_f32 v1, v1, v4, v7
	v_ashrrev_i32_e32 v7, 31, v6
	v_mov_b32_e32 v8, s35
	v_subrev_co_u32_e32 v6, vcc, s34, v6
	v_mov_b32_e32 v4, 0
	s_nop 0
	v_subb_co_u32_e32 v7, vcc, v7, v8, vcc
	v_cndmask_b32_e64 v8, 0, 1, s[6:7]
	v_cmp_gt_i64_e64 s[6:7], s[26:27], 0
	v_lshlrev_b32_e32 v5, 3, v14
	v_div_fixup_f32 v16, v1, v2, 1.0
	v_mov_b32_e32 v1, v4
	v_cndmask_b32_e64 v9, 0, 1, s[6:7]
	v_add_u32_e32 v17, 0, v3
	v_mbcnt_lo_u32_b32 v3, -1, 0
	v_cmp_eq_u32_e64 s[0:1], 0, v15
	v_cmp_ne_u32_e64 s[2:3], 0, v15
	v_cmp_gt_i64_e64 s[4:5], s[26:27], v[0:1]
	v_cmp_ne_u32_e64 s[6:7], 1, v8
	v_cmp_ne_u32_e64 s[8:9], 1, v9
	v_mbcnt_hi_u32_b32 v18, -1, v3
	v_add_u32_e32 v19, 0, v5
	s_branch .LBB47_4
.LBB47_2:                               ;   in Loop: Header=BB47_4 Depth=1
	s_or_b64 exec, exec, s[12:13]
.LBB47_3:                               ;   in Loop: Header=BB47_4 Depth=1
	s_add_i32 s14, s33, s14
	s_ashr_i32 s15, s14, 31
	v_mov_b64_e32 v[8:9], s[14:15]
	v_cmp_le_i64_e32 vcc, s[24:25], v[8:9]
	s_barrier
	s_cbranch_vccnz .LBB47_49
.LBB47_4:                               ; =>This Loop Header: Depth=1
                                        ;     Child Loop BB47_8 Depth 2
                                        ;     Child Loop BB47_20 Depth 2
	;; [unrolled: 1-line block ×6, first 2 shown]
	s_mul_i32 s10, s14, s27
	s_mul_hi_u32 s11, s14, s26
	s_add_i32 s10, s11, s10
	s_mul_i32 s11, s15, s26
	s_add_i32 s11, s10, s11
	s_lshl_b64 s[12:13], s[14:15], 2
	s_add_u32 s40, s16, s12
	s_addc_u32 s41, s17, s13
	s_add_u32 s12, s18, s12
	s_mul_i32 s10, s14, s26
	s_addc_u32 s13, s19, s13
	s_load_dword s15, s[40:41], 0x0
	s_load_dword s48, s[12:13], 0x0
	s_lshl_b64 s[44:45], s[10:11], 2
	s_add_u32 s40, s30, s44
	s_addc_u32 s41, s31, s45
	s_add_u32 s42, s28, s44
	s_addc_u32 s43, s29, s45
	s_and_b64 vcc, exec, s[6:7]
	s_cbranch_vccnz .LBB47_14
; %bb.5:                                ;   in Loop: Header=BB47_4 Depth=1
	s_and_b64 vcc, exec, s[8:9]
	s_cbranch_vccnz .LBB47_15
; %bb.6:                                ;   in Loop: Header=BB47_4 Depth=1
	v_mov_b32_e32 v8, 0
	s_mov_b32 s12, 0
	v_mov_b32_e32 v9, v8
	s_branch .LBB47_8
.LBB47_7:                               ;   in Loop: Header=BB47_8 Depth=2
	s_or_b64 exec, exec, s[10:11]
	s_waitcnt vmcnt(0) lgkmcnt(0)
	v_subrev_f32_e32 v11, s15, v12
	v_mul_f32_e32 v10, v3, v5
	v_mul_f32_e32 v3, v11, v10
	s_add_i32 s12, s12, s34
	v_mul_f32_e32 v11, s48, v3
	s_ashr_i32 s10, s12, 31
	v_pk_add_f32 v[8:9], v[8:9], v[10:11]
	v_mov_b32_e32 v10, s12
	v_mov_b32_e32 v11, s10
	v_cmp_le_i64_e32 vcc, s[26:27], v[10:11]
	s_cbranch_vccnz .LBB47_16
.LBB47_8:                               ;   Parent Loop BB47_4 Depth=1
                                        ; =>  This Inner Loop Header: Depth=2
	v_add_u32_e32 v10, s12, v0
	v_ashrrev_i32_e32 v11, 31, v10
	v_cmp_gt_i64_e32 vcc, s[26:27], v[10:11]
	v_mov_b32_e32 v3, 0
	s_and_saveexec_b64 s[10:11], vcc
	s_cbranch_execz .LBB47_10
; %bb.9:                                ;   in Loop: Header=BB47_8 Depth=2
	v_lshl_add_u64 v[12:13], v[10:11], 2, s[20:21]
	global_load_dword v3, v[12:13], off
.LBB47_10:                              ;   in Loop: Header=BB47_8 Depth=2
	s_or_b64 exec, exec, s[10:11]
	v_mov_b32_e32 v5, 0
	v_mov_b32_e32 v12, 0
	s_and_saveexec_b64 s[10:11], vcc
	s_cbranch_execz .LBB47_12
; %bb.11:                               ;   in Loop: Header=BB47_8 Depth=2
	v_lshl_add_u64 v[12:13], v[10:11], 2, s[40:41]
	global_load_dword v12, v[12:13], off
.LBB47_12:                              ;   in Loop: Header=BB47_8 Depth=2
	s_or_b64 exec, exec, s[10:11]
	s_and_saveexec_b64 s[10:11], vcc
	s_cbranch_execz .LBB47_7
; %bb.13:                               ;   in Loop: Header=BB47_8 Depth=2
	v_lshl_add_u64 v[10:11], v[10:11], 2, s[42:43]
	global_load_dword v5, v[10:11], off
	s_branch .LBB47_7
.LBB47_14:                              ;   in Loop: Header=BB47_4 Depth=1
                                        ; implicit-def: $vgpr8_vgpr9
	s_branch .LBB47_17
.LBB47_15:                              ;   in Loop: Header=BB47_4 Depth=1
	v_mov_b32_e32 v5, v4
	v_mov_b64_e32 v[8:9], v[4:5]
.LBB47_16:                              ;   in Loop: Header=BB47_4 Depth=1
	s_cbranch_execnz .LBB47_25
.LBB47_17:                              ;   in Loop: Header=BB47_4 Depth=1
	s_and_b64 vcc, exec, s[8:9]
	s_cbranch_vccnz .LBB47_24
; %bb.18:                               ;   in Loop: Header=BB47_4 Depth=1
	v_mov_b32_e32 v8, 0
	s_mov_b32 s12, 0
	v_mov_b32_e32 v9, v8
	s_branch .LBB47_20
.LBB47_19:                              ;   in Loop: Header=BB47_20 Depth=2
	s_or_b64 exec, exec, s[10:11]
	s_add_i32 s12, s12, s34
	s_waitcnt vmcnt(0) lgkmcnt(0)
	v_subrev_f32_e32 v3, s15, v3
	s_ashr_i32 s10, s12, 31
	v_mul_f32_e32 v3, v3, v12
	v_mov_b32_e32 v10, s12
	v_mov_b32_e32 v11, s10
	v_mul_f32_e32 v13, s48, v3
	v_cmp_le_i64_e32 vcc, s[26:27], v[10:11]
	v_pk_add_f32 v[8:9], v[8:9], v[12:13]
	s_cbranch_vccnz .LBB47_25
.LBB47_20:                              ;   Parent Loop BB47_4 Depth=1
                                        ; =>  This Inner Loop Header: Depth=2
	v_add_u32_e32 v10, s12, v0
	v_ashrrev_i32_e32 v11, 31, v10
	v_cmp_gt_i64_e32 vcc, s[26:27], v[10:11]
	v_mov_b32_e32 v3, 0
	s_and_saveexec_b64 s[10:11], vcc
	s_cbranch_execz .LBB47_22
; %bb.21:                               ;   in Loop: Header=BB47_20 Depth=2
	v_lshl_add_u64 v[12:13], v[10:11], 2, s[40:41]
	global_load_dword v3, v[12:13], off
.LBB47_22:                              ;   in Loop: Header=BB47_20 Depth=2
	s_or_b64 exec, exec, s[10:11]
	v_mov_b32_e32 v12, 0
	s_and_saveexec_b64 s[10:11], vcc
	s_cbranch_execz .LBB47_19
; %bb.23:                               ;   in Loop: Header=BB47_20 Depth=2
	v_lshl_add_u64 v[10:11], v[10:11], 2, s[42:43]
	global_load_dword v12, v[10:11], off
	s_branch .LBB47_19
.LBB47_24:                              ;   in Loop: Header=BB47_4 Depth=1
	v_mov_b32_e32 v5, v4
	v_mov_b64_e32 v[8:9], v[4:5]
.LBB47_25:                              ;   in Loop: Header=BB47_4 Depth=1
	s_andn2_b64 vcc, exec, s[36:37]
	s_cbranch_vccnz .LBB47_28
; %bb.26:                               ;   in Loop: Header=BB47_4 Depth=1
	v_and_b32_e32 v3, 64, v18
	v_add_u32_e32 v3, 64, v3
	s_mov_b32 s10, s47
.LBB47_27:                              ;   Parent Loop BB47_4 Depth=1
                                        ; =>  This Inner Loop Header: Depth=2
	s_lshr_b32 s11, s10, 1
	v_xor_b32_e32 v5, s11, v18
	v_cmp_lt_i32_e32 vcc, v5, v3
	s_cmp_lt_u32 s10, 4
	s_mov_b32 s10, s11
	v_cndmask_b32_e32 v5, v18, v5, vcc
	v_lshlrev_b32_e32 v5, 2, v5
	ds_bpermute_b32 v10, v5, v8
	ds_bpermute_b32 v11, v5, v9
	s_waitcnt lgkmcnt(0)
	v_pk_add_f32 v[8:9], v[8:9], v[10:11]
	s_cbranch_scc0 .LBB47_27
.LBB47_28:                              ;   in Loop: Header=BB47_4 Depth=1
	s_andn2_b64 vcc, exec, s[38:39]
	s_mov_b32 s49, s46
	s_cbranch_vccnz .LBB47_40
.LBB47_29:                              ;   Parent Loop BB47_4 Depth=1
                                        ; =>  This Inner Loop Header: Depth=2
	s_lshr_b32 s50, s49, 1
	s_and_b32 s12, s49, 0xfffe
	v_cmp_le_u32_e64 s[10:11], s50, v15
	v_cmp_gt_u32_e64 s[12:13], s12, v15
	v_cmp_gt_u32_e32 vcc, s50, v15
	s_and_b64 s[12:13], s[10:11], s[12:13]
	s_and_saveexec_b64 s[10:11], s[12:13]
; %bb.30:                               ;   in Loop: Header=BB47_29 Depth=2
	v_subrev_u32_e32 v3, s50, v15
	v_mad_u32_u24 v3, v3, s47, v14
	v_lshl_add_u32 v3, v3, 3, 0
	ds_write_b64 v3, v[8:9]
; %bb.31:                               ;   in Loop: Header=BB47_29 Depth=2
	s_or_b64 exec, exec, s[10:11]
	s_waitcnt lgkmcnt(0)
	s_barrier
	s_and_saveexec_b64 s[10:11], vcc
	s_cbranch_execz .LBB47_33
; %bb.32:                               ;   in Loop: Header=BB47_29 Depth=2
	ds_read_b64 v[10:11], v17
	s_waitcnt lgkmcnt(0)
	v_pk_add_f32 v[8:9], v[8:9], v[10:11]
.LBB47_33:                              ;   in Loop: Header=BB47_29 Depth=2
	s_or_b64 exec, exec, s[10:11]
	s_cmp_lt_u32 s49, 4
	s_barrier
	s_cbranch_scc1 .LBB47_35
; %bb.34:                               ;   in Loop: Header=BB47_29 Depth=2
	s_mov_b32 s49, s50
	s_branch .LBB47_29
.LBB47_35:                              ;   in Loop: Header=BB47_4 Depth=1
	s_and_saveexec_b64 s[10:11], s[0:1]
; %bb.36:                               ;   in Loop: Header=BB47_4 Depth=1
	ds_write_b64 v19, v[8:9]
; %bb.37:                               ;   in Loop: Header=BB47_4 Depth=1
	s_or_b64 exec, exec, s[10:11]
	s_waitcnt lgkmcnt(0)
	s_barrier
	s_and_saveexec_b64 s[10:11], s[2:3]
; %bb.38:                               ;   in Loop: Header=BB47_4 Depth=1
	ds_read_b64 v[8:9], v19
; %bb.39:                               ;   in Loop: Header=BB47_4 Depth=1
	s_or_b64 exec, exec, s[10:11]
.LBB47_40:                              ;   in Loop: Header=BB47_4 Depth=1
	s_add_u32 s10, s22, s44
	s_addc_u32 s11, s23, s45
	s_and_b64 vcc, exec, s[6:7]
	s_waitcnt lgkmcnt(0)
	v_mul_f32_e32 v5, s48, v16
	s_cbranch_vccnz .LBB47_45
; %bb.41:                               ;   in Loop: Header=BB47_4 Depth=1
	s_and_saveexec_b64 s[12:13], s[4:5]
	s_cbranch_execz .LBB47_44
; %bb.42:                               ;   in Loop: Header=BB47_4 Depth=1
	s_mov_b64 s[44:45], 0
	v_mov_b64_e32 v[10:11], v[6:7]
	v_mov_b64_e32 v[12:13], v[0:1]
.LBB47_43:                              ;   Parent Loop BB47_4 Depth=1
                                        ; =>  This Inner Loop Header: Depth=2
	v_lshlrev_b64 v[12:13], 2, v[12:13]
	v_lshl_add_u64 v[22:23], s[42:43], 0, v[12:13]
	v_lshl_add_u64 v[20:21], s[40:41], 0, v[12:13]
	;; [unrolled: 1-line block ×3, first 2 shown]
	global_load_dword v3, v[22:23], off
	global_load_dword v26, v[20:21], off
	;; [unrolled: 1-line block ×3, first 2 shown]
	v_lshl_add_u64 v[10:11], v[10:11], 0, s[34:35]
	v_cmp_le_i64_e32 vcc, s[26:27], v[10:11]
	v_lshl_add_u64 v[20:21], s[10:11], 0, v[12:13]
	v_ashrrev_i32_e32 v13, 31, v10
	v_mov_b32_e32 v12, v10
	s_or_b64 s[44:45], vcc, s[44:45]
	s_waitcnt vmcnt(2)
	v_mul_f32_e32 v3, v3, v2
	s_waitcnt vmcnt(1)
	v_subrev_f32_e32 v22, s15, v26
	s_waitcnt vmcnt(0)
	v_fma_f32 v3, v3, v27, -v8
	v_mul_f32_e32 v22, s48, v22
	v_fma_f32 v3, -v9, v22, v3
	v_mul_f32_e32 v3, v5, v3
	global_store_dword v[20:21], v3, off
	s_andn2_b64 exec, exec, s[44:45]
	s_cbranch_execnz .LBB47_43
.LBB47_44:                              ;   in Loop: Header=BB47_4 Depth=1
	s_or_b64 exec, exec, s[12:13]
	s_cbranch_execnz .LBB47_3
	s_branch .LBB47_46
.LBB47_45:                              ;   in Loop: Header=BB47_4 Depth=1
.LBB47_46:                              ;   in Loop: Header=BB47_4 Depth=1
	s_and_saveexec_b64 s[12:13], s[4:5]
	s_cbranch_execz .LBB47_2
; %bb.47:                               ;   in Loop: Header=BB47_4 Depth=1
	s_mov_b64 s[44:45], 0
	v_mov_b64_e32 v[10:11], v[6:7]
	v_mov_b64_e32 v[12:13], v[0:1]
.LBB47_48:                              ;   Parent Loop BB47_4 Depth=1
                                        ; =>  This Inner Loop Header: Depth=2
	v_lshlrev_b64 v[12:13], 2, v[12:13]
	v_lshl_add_u64 v[20:21], s[40:41], 0, v[12:13]
	v_lshl_add_u64 v[22:23], s[42:43], 0, v[12:13]
	global_load_dword v3, v[20:21], off
	global_load_dword v24, v[22:23], off
	v_mov_b32_e32 v25, s48
	v_lshl_add_u64 v[10:11], v[10:11], 0, s[34:35]
	v_cmp_le_i64_e32 vcc, s[26:27], v[10:11]
	v_lshl_add_u64 v[20:21], s[10:11], 0, v[12:13]
	v_ashrrev_i32_e32 v13, 31, v10
	v_mov_b32_e32 v12, v10
	s_or_b64 s[44:45], vcc, s[44:45]
	s_waitcnt vmcnt(1)
	v_subrev_f32_e32 v3, s15, v3
	s_waitcnt vmcnt(0)
	v_pk_mul_f32 v[22:23], v[24:25], v[2:3]
	s_nop 0
	v_sub_f32_e32 v3, v22, v8
	v_fma_f32 v3, -v23, v9, v3
	v_mul_f32_e32 v3, v5, v3
	global_store_dword v[20:21], v3, off
	s_andn2_b64 exec, exec, s[44:45]
	s_cbranch_execnz .LBB47_48
	s_branch .LBB47_2
.LBB47_49:
	s_endpgm
	.section	.rodata,"a",@progbits
	.p2align	6, 0x0
	.amdhsa_kernel _ZN2at6native12_GLOBAL__N_118cuComputeGradInputIffLb0EEEvPKT_S5_llPKT0_S8_S5_PS3_
		.amdhsa_group_segment_fixed_size 0
		.amdhsa_private_segment_fixed_size 0
		.amdhsa_kernarg_size 320
		.amdhsa_user_sgpr_count 2
		.amdhsa_user_sgpr_dispatch_ptr 0
		.amdhsa_user_sgpr_queue_ptr 0
		.amdhsa_user_sgpr_kernarg_segment_ptr 1
		.amdhsa_user_sgpr_dispatch_id 0
		.amdhsa_user_sgpr_kernarg_preload_length 0
		.amdhsa_user_sgpr_kernarg_preload_offset 0
		.amdhsa_user_sgpr_private_segment_size 0
		.amdhsa_uses_dynamic_stack 0
		.amdhsa_enable_private_segment 0
		.amdhsa_system_sgpr_workgroup_id_x 1
		.amdhsa_system_sgpr_workgroup_id_y 1
		.amdhsa_system_sgpr_workgroup_id_z 0
		.amdhsa_system_sgpr_workgroup_info 0
		.amdhsa_system_vgpr_workitem_id 1
		.amdhsa_next_free_vgpr 28
		.amdhsa_next_free_sgpr 51
		.amdhsa_accum_offset 28
		.amdhsa_reserve_vcc 1
		.amdhsa_float_round_mode_32 0
		.amdhsa_float_round_mode_16_64 0
		.amdhsa_float_denorm_mode_32 3
		.amdhsa_float_denorm_mode_16_64 3
		.amdhsa_dx10_clamp 1
		.amdhsa_ieee_mode 1
		.amdhsa_fp16_overflow 0
		.amdhsa_tg_split 0
		.amdhsa_exception_fp_ieee_invalid_op 0
		.amdhsa_exception_fp_denorm_src 0
		.amdhsa_exception_fp_ieee_div_zero 0
		.amdhsa_exception_fp_ieee_overflow 0
		.amdhsa_exception_fp_ieee_underflow 0
		.amdhsa_exception_fp_ieee_inexact 0
		.amdhsa_exception_int_div_zero 0
	.end_amdhsa_kernel
	.section	.text._ZN2at6native12_GLOBAL__N_118cuComputeGradInputIffLb0EEEvPKT_S5_llPKT0_S8_S5_PS3_,"axG",@progbits,_ZN2at6native12_GLOBAL__N_118cuComputeGradInputIffLb0EEEvPKT_S5_llPKT0_S8_S5_PS3_,comdat
.Lfunc_end47:
	.size	_ZN2at6native12_GLOBAL__N_118cuComputeGradInputIffLb0EEEvPKT_S5_llPKT0_S8_S5_PS3_, .Lfunc_end47-_ZN2at6native12_GLOBAL__N_118cuComputeGradInputIffLb0EEEvPKT_S5_llPKT0_S8_S5_PS3_
                                        ; -- End function
	.set _ZN2at6native12_GLOBAL__N_118cuComputeGradInputIffLb0EEEvPKT_S5_llPKT0_S8_S5_PS3_.num_vgpr, 28
	.set _ZN2at6native12_GLOBAL__N_118cuComputeGradInputIffLb0EEEvPKT_S5_llPKT0_S8_S5_PS3_.num_agpr, 0
	.set _ZN2at6native12_GLOBAL__N_118cuComputeGradInputIffLb0EEEvPKT_S5_llPKT0_S8_S5_PS3_.numbered_sgpr, 51
	.set _ZN2at6native12_GLOBAL__N_118cuComputeGradInputIffLb0EEEvPKT_S5_llPKT0_S8_S5_PS3_.num_named_barrier, 0
	.set _ZN2at6native12_GLOBAL__N_118cuComputeGradInputIffLb0EEEvPKT_S5_llPKT0_S8_S5_PS3_.private_seg_size, 0
	.set _ZN2at6native12_GLOBAL__N_118cuComputeGradInputIffLb0EEEvPKT_S5_llPKT0_S8_S5_PS3_.uses_vcc, 1
	.set _ZN2at6native12_GLOBAL__N_118cuComputeGradInputIffLb0EEEvPKT_S5_llPKT0_S8_S5_PS3_.uses_flat_scratch, 0
	.set _ZN2at6native12_GLOBAL__N_118cuComputeGradInputIffLb0EEEvPKT_S5_llPKT0_S8_S5_PS3_.has_dyn_sized_stack, 0
	.set _ZN2at6native12_GLOBAL__N_118cuComputeGradInputIffLb0EEEvPKT_S5_llPKT0_S8_S5_PS3_.has_recursion, 0
	.set _ZN2at6native12_GLOBAL__N_118cuComputeGradInputIffLb0EEEvPKT_S5_llPKT0_S8_S5_PS3_.has_indirect_call, 0
	.section	.AMDGPU.csdata,"",@progbits
; Kernel info:
; codeLenInByte = 1500
; TotalNumSgprs: 57
; NumVgprs: 28
; NumAgprs: 0
; TotalNumVgprs: 28
; ScratchSize: 0
; MemoryBound: 0
; FloatMode: 240
; IeeeMode: 1
; LDSByteSize: 0 bytes/workgroup (compile time only)
; SGPRBlocks: 7
; VGPRBlocks: 3
; NumSGPRsForWavesPerEU: 57
; NumVGPRsForWavesPerEU: 28
; AccumOffset: 28
; Occupancy: 8
; WaveLimiterHint : 0
; COMPUTE_PGM_RSRC2:SCRATCH_EN: 0
; COMPUTE_PGM_RSRC2:USER_SGPR: 2
; COMPUTE_PGM_RSRC2:TRAP_HANDLER: 0
; COMPUTE_PGM_RSRC2:TGID_X_EN: 1
; COMPUTE_PGM_RSRC2:TGID_Y_EN: 1
; COMPUTE_PGM_RSRC2:TGID_Z_EN: 0
; COMPUTE_PGM_RSRC2:TIDIG_COMP_CNT: 1
; COMPUTE_PGM_RSRC3_GFX90A:ACCUM_OFFSET: 6
; COMPUTE_PGM_RSRC3_GFX90A:TG_SPLIT: 0
	.section	.text._ZN2at6native12_GLOBAL__N_128layer_norm_grad_input_kernelIffLb0EEEvPKT_S5_PKT0_S8_S5_PS3_i,"axG",@progbits,_ZN2at6native12_GLOBAL__N_128layer_norm_grad_input_kernelIffLb0EEEvPKT_S5_PKT0_S8_S5_PS3_i,comdat
	.globl	_ZN2at6native12_GLOBAL__N_128layer_norm_grad_input_kernelIffLb0EEEvPKT_S5_PKT0_S8_S5_PS3_i ; -- Begin function _ZN2at6native12_GLOBAL__N_128layer_norm_grad_input_kernelIffLb0EEEvPKT_S5_PKT0_S8_S5_PS3_i
	.p2align	8
	.type	_ZN2at6native12_GLOBAL__N_128layer_norm_grad_input_kernelIffLb0EEEvPKT_S5_PKT0_S8_S5_PS3_i,@function
_ZN2at6native12_GLOBAL__N_128layer_norm_grad_input_kernelIffLb0EEEvPKT_S5_PKT0_S8_S5_PS3_i: ; @_ZN2at6native12_GLOBAL__N_128layer_norm_grad_input_kernelIffLb0EEEvPKT_S5_PKT0_S8_S5_PS3_i
; %bb.0:
	s_load_dword s24, s[0:1], 0x30
	s_load_dwordx2 s[12:13], s[0:1], 0x20
	s_load_dwordx8 s[4:11], s[0:1], 0x0
	s_mov_b32 s3, 0
	v_lshlrev_b32_e32 v4, 2, v0
	s_waitcnt lgkmcnt(0)
	s_ashr_i32 s14, s24, 31
	s_mul_hi_u32 s15, s24, s2
	s_mul_i32 s14, s14, s2
	s_add_i32 s17, s15, s14
	s_mul_i32 s16, s24, s2
	s_lshl_b64 s[2:3], s[2:3], 2
	s_add_u32 s8, s8, s2
	s_addc_u32 s9, s9, s3
	s_add_u32 s2, s10, s2
	s_addc_u32 s3, s11, s3
	s_load_dword s25, s[8:9], 0x0
	s_load_dword s26, s[2:3], 0x0
	s_lshl_b64 s[14:15], s[16:17], 2
	s_add_u32 s8, s6, s14
	s_addc_u32 s9, s7, s15
	s_add_u32 s10, s4, s14
	v_or_b32_e32 v1, 3, v4
	v_mov_b32_e32 v5, 0
	s_addc_u32 s11, s5, s15
	v_cmp_gt_u32_e32 vcc, s24, v1
	v_mov_b32_e32 v2, v5
	v_mov_b32_e32 v3, v5
	s_and_saveexec_b64 s[18:19], vcc
	s_cbranch_execz .LBB48_12
; %bb.1:
	s_load_dword s2, s[0:1], 0x44
	s_cmp_lg_u64 s[12:13], 0
	s_cselect_b64 s[22:23], -1, 0
	v_cndmask_b32_e64 v1, 0, 1, s[22:23]
	s_mov_b64 s[20:21], 0
	s_waitcnt lgkmcnt(0)
	s_and_b32 s2, s2, 0xffff
	s_lshl_b32 s27, s2, 2
	v_cmp_ne_u32_e64 s[2:3], 1, v1
	v_mov_b32_e32 v2, v5
	v_mov_b32_e32 v3, v5
	s_branch .LBB48_3
.LBB48_2:                               ;   in Loop: Header=BB48_3 Depth=1
	global_load_dword v21, v[6:7], off offset:12
	global_load_dword v22, v[8:9], off offset:12
	s_waitcnt vmcnt(7)
	v_subrev_f32_e32 v6, s25, v14
	s_waitcnt vmcnt(6)
	v_mul_f32_e32 v7, v13, v15
	s_waitcnt vmcnt(5)
	v_subrev_f32_e32 v8, s25, v16
	s_waitcnt vmcnt(4)
	v_mul_f32_e32 v9, v1, v17
	;; [unrolled: 4-line block ×3, first 2 shown]
	v_mul_f32_e32 v6, v6, v7
	v_mul_f32_e32 v8, v8, v9
	;; [unrolled: 1-line block ×4, first 2 shown]
	v_add_u32_e32 v4, s27, v4
	v_mul_f32_e32 v8, s26, v8
	v_mul_f32_e32 v10, s26, v1
	v_pk_add_f32 v[2:3], v[2:3], v[6:7]
	v_add_u32_e32 v13, 3, v4
	v_pk_add_f32 v[2:3], v[2:3], v[8:9]
	v_cmp_le_u32_e32 vcc, s24, v13
	v_pk_add_f32 v[2:3], v[2:3], v[10:11]
	s_or_b64 s[20:21], vcc, s[20:21]
	s_waitcnt vmcnt(1)
	v_subrev_f32_e32 v1, s25, v21
	s_waitcnt vmcnt(0)
	v_mul_f32_e32 v7, v12, v22
	v_mul_f32_e32 v1, v1, v7
	;; [unrolled: 1-line block ×3, first 2 shown]
	v_pk_add_f32 v[2:3], v[2:3], v[6:7]
	s_andn2_b64 exec, exec, s[20:21]
	s_cbranch_execz .LBB48_11
.LBB48_3:                               ; =>This Inner Loop Header: Depth=1
	v_mov_b32_e32 v1, 1.0
	s_and_b64 vcc, exec, s[22:23]
	v_lshl_add_u64 v[10:11], v[4:5], 2, s[12:13]
	v_mov_b32_e32 v13, 1.0
	s_cbranch_vccz .LBB48_5
; %bb.4:                                ;   in Loop: Header=BB48_3 Depth=1
	global_load_dword v13, v[10:11], off
.LBB48_5:                               ;   in Loop: Header=BB48_3 Depth=1
	v_lshlrev_b64 v[8:9], 2, v[4:5]
	v_lshl_add_u64 v[6:7], s[8:9], 0, v[8:9]
	v_lshl_add_u64 v[8:9], s[10:11], 0, v[8:9]
	global_load_dword v14, v[6:7], off
	global_load_dword v15, v[8:9], off
	s_and_b64 vcc, exec, s[2:3]
	s_cbranch_vccnz .LBB48_7
; %bb.6:                                ;   in Loop: Header=BB48_3 Depth=1
	global_load_dword v1, v[10:11], off offset:4
.LBB48_7:                               ;   in Loop: Header=BB48_3 Depth=1
	global_load_dword v16, v[6:7], off offset:4
	global_load_dword v17, v[8:9], off offset:4
	v_mov_b32_e32 v12, 1.0
	s_and_b64 vcc, exec, s[2:3]
	v_mov_b32_e32 v18, 1.0
	s_cbranch_vccnz .LBB48_9
; %bb.8:                                ;   in Loop: Header=BB48_3 Depth=1
	global_load_dword v18, v[10:11], off offset:8
.LBB48_9:                               ;   in Loop: Header=BB48_3 Depth=1
	global_load_dword v19, v[6:7], off offset:8
	global_load_dword v20, v[8:9], off offset:8
	s_and_b64 vcc, exec, s[2:3]
	s_cbranch_vccnz .LBB48_2
; %bb.10:                               ;   in Loop: Header=BB48_3 Depth=1
	global_load_dword v12, v[10:11], off offset:12
	s_branch .LBB48_2
.LBB48_11:
	s_or_b64 exec, exec, s[20:21]
.LBB48_12:
	s_or_b64 exec, exec, s[18:19]
	v_cmp_gt_u32_e32 vcc, s24, v4
	s_and_saveexec_b64 s[18:19], vcc
	s_cbranch_execz .LBB48_19
; %bb.13:
	s_cmp_lg_u64 s[12:13], 0
	v_mov_b32_e32 v5, 0
	v_lshlrev_b64 v[8:9], 2, v[4:5]
	s_cselect_b64 s[2:3], -1, 0
	v_lshl_add_u64 v[10:11], s[16:17], 2, v[8:9]
	v_cndmask_b32_e64 v1, 0, 1, s[2:3]
	s_mov_b64 s[20:21], 0
	v_lshl_add_u64 v[6:7], s[12:13], 0, v[8:9]
	v_lshl_add_u64 v[8:9], s[6:7], 0, v[10:11]
	;; [unrolled: 1-line block ×3, first 2 shown]
	v_cmp_ne_u32_e64 s[2:3], 1, v1
	s_branch .LBB48_16
.LBB48_14:                              ;   in Loop: Header=BB48_16 Depth=1
	global_load_dword v1, v[6:7], off
.LBB48_15:                              ;   in Loop: Header=BB48_16 Depth=1
	global_load_dword v5, v[8:9], off
	global_load_dword v12, v[10:11], off
	v_add_u32_e32 v4, 1, v4
	v_cmp_le_u32_e32 vcc, s24, v4
	v_lshl_add_u64 v[6:7], v[6:7], 0, 4
	v_lshl_add_u64 v[8:9], v[8:9], 0, 4
	s_or_b64 s[20:21], vcc, s[20:21]
	v_lshl_add_u64 v[10:11], v[10:11], 0, 4
	s_waitcnt vmcnt(1) lgkmcnt(0)
	v_subrev_f32_e32 v5, s25, v5
	s_waitcnt vmcnt(0)
	v_mul_f32_e32 v13, v1, v12
	v_mul_f32_e32 v1, v5, v13
	;; [unrolled: 1-line block ×3, first 2 shown]
	v_pk_add_f32 v[2:3], v[2:3], v[12:13]
	s_andn2_b64 exec, exec, s[20:21]
	s_cbranch_execz .LBB48_18
.LBB48_16:                              ; =>This Inner Loop Header: Depth=1
	s_and_b64 vcc, exec, s[2:3]
	s_cbranch_vccz .LBB48_14
; %bb.17:                               ;   in Loop: Header=BB48_16 Depth=1
	v_mov_b32_e32 v1, 1.0
	s_branch .LBB48_15
.LBB48_18:
	s_or_b64 exec, exec, s[20:21]
.LBB48_19:
	s_or_b64 exec, exec, s[18:19]
	v_mbcnt_lo_u32_b32 v1, -1, 0
	v_mbcnt_hi_u32_b32 v4, -1, v1
	v_mov_b32_e32 v1, 0x80
	v_lshl_or_b32 v1, v4, 2, v1
	ds_bpermute_b32 v5, v1, v3
	v_and_b32_e32 v9, 63, v4
	v_cmp_gt_u32_e32 vcc, 48, v9
	v_and_b32_e32 v10, 63, v0
	s_waitcnt lgkmcnt(0)
	v_cndmask_b32_e64 v6, 0, 16, vcc
	v_add_f32_e32 v5, v3, v5
	v_add_lshl_u32 v3, v6, v4, 2
	ds_bpermute_b32 v7, v3, v5
	v_cmp_gt_u32_e32 vcc, 56, v9
	s_barrier
	s_waitcnt lgkmcnt(0)
	v_cndmask_b32_e64 v6, 0, 8, vcc
	v_add_lshl_u32 v6, v6, v4, 2
	v_add_f32_e32 v5, v5, v7
	ds_bpermute_b32 v8, v6, v5
	v_cmp_gt_u32_e32 vcc, 60, v9
	s_waitcnt lgkmcnt(0)
	v_add_f32_e32 v5, v5, v8
	v_cndmask_b32_e64 v7, 0, 4, vcc
	v_add_lshl_u32 v7, v7, v4, 2
	ds_bpermute_b32 v11, v7, v5
	v_cmp_gt_u32_e32 vcc, 62, v9
	s_waitcnt lgkmcnt(0)
	v_add_f32_e32 v5, v5, v11
	v_cndmask_b32_e64 v8, 0, 2, vcc
	v_add_lshl_u32 v8, v8, v4, 2
	ds_bpermute_b32 v11, v8, v5
	v_cmp_ne_u32_e32 vcc, 63, v9
	s_nop 1
	v_addc_co_u32_e32 v4, vcc, 0, v4, vcc
	v_lshlrev_b32_e32 v9, 2, v4
	s_waitcnt lgkmcnt(0)
	v_add_f32_e32 v4, v5, v11
	ds_bpermute_b32 v11, v9, v4
	v_cmp_eq_u32_e32 vcc, 0, v10
	v_lshrrev_b32_e32 v5, 4, v0
	s_and_saveexec_b64 s[2:3], vcc
	s_cbranch_execz .LBB48_21
; %bb.20:
	v_add_u32_e32 v12, 0, v5
	s_waitcnt lgkmcnt(0)
	v_add_f32_e32 v4, v4, v11
	ds_write_b32 v12, v4
.LBB48_21:
	s_or_b64 exec, exec, s[2:3]
	s_waitcnt lgkmcnt(0)
	s_barrier
	s_load_dword s16, s[0:1], 0x44
	v_mov_b32_e32 v4, 0
	v_lshl_add_u32 v10, v10, 2, 0
	s_waitcnt lgkmcnt(0)
	s_bfe_u32 s2, s16, 0xa0006
	v_cmp_gt_u32_e64 s[2:3], s2, v0
	s_and_saveexec_b64 s[4:5], s[2:3]
; %bb.22:
	ds_read_b32 v4, v10
; %bb.23:
	s_or_b64 exec, exec, s[4:5]
	v_cmp_gt_u32_e64 s[4:5], 64, v0
	s_and_saveexec_b64 s[6:7], s[4:5]
	s_cbranch_execz .LBB48_25
; %bb.24:
	s_waitcnt lgkmcnt(0)
	ds_bpermute_b32 v11, v1, v4
	s_waitcnt lgkmcnt(0)
	v_add_f32_e32 v4, v4, v11
	ds_bpermute_b32 v11, v3, v4
	s_waitcnt lgkmcnt(0)
	v_add_f32_e32 v4, v4, v11
	;; [unrolled: 3-line block ×6, first 2 shown]
.LBB48_25:
	s_or_b64 exec, exec, s[6:7]
	ds_bpermute_b32 v11, v1, v2
	s_waitcnt lgkmcnt(0)
	s_barrier
	v_add_f32_e32 v2, v2, v11
	ds_bpermute_b32 v11, v3, v2
	s_waitcnt lgkmcnt(0)
	v_add_f32_e32 v2, v2, v11
	ds_bpermute_b32 v11, v6, v2
	s_waitcnt lgkmcnt(0)
	;; [unrolled: 3-line block ×4, first 2 shown]
	v_add_f32_e32 v2, v2, v11
	ds_bpermute_b32 v11, v9, v2
	s_and_saveexec_b64 s[6:7], vcc
	s_cbranch_execz .LBB48_27
; %bb.26:
	v_add_u32_e32 v5, 0, v5
	s_waitcnt lgkmcnt(0)
	v_add_f32_e32 v2, v2, v11
	ds_write_b32 v5, v2
.LBB48_27:
	s_or_b64 exec, exec, s[6:7]
	v_mov_b32_e32 v5, 0
	s_waitcnt lgkmcnt(0)
	s_barrier
	s_and_saveexec_b64 s[6:7], s[2:3]
	s_cbranch_execnz .LBB48_38
; %bb.28:
	s_or_b64 exec, exec, s[6:7]
	s_and_saveexec_b64 s[2:3], s[4:5]
	s_cbranch_execnz .LBB48_39
.LBB48_29:
	s_or_b64 exec, exec, s[2:3]
	v_cmp_eq_u32_e32 vcc, 0, v0
	s_and_saveexec_b64 s[2:3], vcc
	s_cbranch_execz .LBB48_31
.LBB48_30:
	v_mov_b32_e32 v1, 0
	s_waitcnt lgkmcnt(0)
	ds_write_b64 v1, v[4:5]
.LBB48_31:
	s_or_b64 exec, exec, s[2:3]
	v_cmp_gt_i32_e32 vcc, s24, v0
	s_waitcnt lgkmcnt(0)
	s_barrier
	s_and_saveexec_b64 s[2:3], vcc
	s_cbranch_execz .LBB48_37
; %bb.32:
	v_cvt_f32_i32_e32 v2, s24
	s_load_dwordx2 s[0:1], s[0:1], 0x28
	v_mov_b32_e32 v1, 0
	ds_read_b32 v8, v1
	ds_read_b32 v5, v1 offset:4
	v_div_scale_f32 v3, s[2:3], v2, v2, 1.0
	v_rcp_f32_e32 v4, v3
	v_div_scale_f32 v1, vcc, 1.0, v2, 1.0
	s_and_b32 s6, 0xffff, s16
	v_fma_f32 v6, -v3, v4, 1.0
	v_fmac_f32_e32 v4, v6, v4
	v_mul_f32_e32 v6, v1, v4
	v_fma_f32 v7, -v3, v6, v1
	v_fmac_f32_e32 v6, v7, v4
	s_waitcnt lgkmcnt(0)
	s_add_u32 s2, s0, s14
	v_fma_f32 v1, -v3, v6, v1
	s_addc_u32 s3, s1, s15
	v_div_fmas_f32 v1, v1, v4, v6
	s_cmp_lg_u64 s[12:13], 0
	v_div_fixup_f32 v1, v1, v2, 1.0
	s_cselect_b64 s[0:1], -1, 0
	v_mul_f32_e32 v9, s26, v1
	v_cndmask_b32_e64 v1, 0, 1, s[0:1]
	s_mov_b64 s[4:5], 0
	v_cmp_ne_u32_e64 s[0:1], 1, v1
	s_branch .LBB48_35
.LBB48_33:                              ;   in Loop: Header=BB48_35 Depth=1
	v_lshl_add_u64 v[6:7], v[0:1], 2, s[12:13]
	global_load_dword v6, v[6:7], off
.LBB48_34:                              ;   in Loop: Header=BB48_35 Depth=1
	s_waitcnt vmcnt(1)
	v_subrev_f32_e32 v3, s25, v3
	v_mov_b32_e32 v7, s26
	s_waitcnt vmcnt(0)
	v_pk_mul_f32 v[6:7], v[6:7], v[2:3]
	s_nop 0
	v_pk_mul_f32 v[6:7], v[4:5], v[6:7]
	s_nop 0
	v_sub_f32_e32 v3, v6, v7
	v_lshl_add_u64 v[6:7], v[0:1], 2, s[2:3]
	v_add_u32_e32 v0, s6, v0
	v_sub_f32_e32 v3, v3, v8
	v_cmp_le_i32_e32 vcc, s24, v0
	v_mul_f32_e32 v3, v9, v3
	s_or_b64 s[4:5], vcc, s[4:5]
	global_store_dword v[6:7], v3, off
	s_andn2_b64 exec, exec, s[4:5]
	s_cbranch_execz .LBB48_37
.LBB48_35:                              ; =>This Inner Loop Header: Depth=1
	v_ashrrev_i32_e32 v1, 31, v0
	v_lshlrev_b64 v[6:7], 2, v[0:1]
	v_lshl_add_u64 v[10:11], s[8:9], 0, v[6:7]
	v_lshl_add_u64 v[6:7], s[10:11], 0, v[6:7]
	global_load_dword v3, v[10:11], off
	global_load_dword v4, v[6:7], off
	s_and_b64 vcc, exec, s[0:1]
	s_cbranch_vccz .LBB48_33
; %bb.36:                               ;   in Loop: Header=BB48_35 Depth=1
	v_mov_b32_e32 v6, 1.0
	s_branch .LBB48_34
.LBB48_37:
	s_endpgm
.LBB48_38:
	ds_read_b32 v5, v10
	s_or_b64 exec, exec, s[6:7]
	s_and_saveexec_b64 s[2:3], s[4:5]
	s_cbranch_execz .LBB48_29
.LBB48_39:
	s_waitcnt lgkmcnt(0)
	ds_bpermute_b32 v1, v1, v5
	s_waitcnt lgkmcnt(0)
	v_add_f32_e32 v1, v5, v1
	ds_bpermute_b32 v2, v3, v1
	s_waitcnt lgkmcnt(0)
	v_add_f32_e32 v1, v1, v2
	;; [unrolled: 3-line block ×6, first 2 shown]
	s_or_b64 exec, exec, s[2:3]
	v_cmp_eq_u32_e32 vcc, 0, v0
	s_and_saveexec_b64 s[2:3], vcc
	s_cbranch_execnz .LBB48_30
	s_branch .LBB48_31
	.section	.rodata,"a",@progbits
	.p2align	6, 0x0
	.amdhsa_kernel _ZN2at6native12_GLOBAL__N_128layer_norm_grad_input_kernelIffLb0EEEvPKT_S5_PKT0_S8_S5_PS3_i
		.amdhsa_group_segment_fixed_size 0
		.amdhsa_private_segment_fixed_size 0
		.amdhsa_kernarg_size 312
		.amdhsa_user_sgpr_count 2
		.amdhsa_user_sgpr_dispatch_ptr 0
		.amdhsa_user_sgpr_queue_ptr 0
		.amdhsa_user_sgpr_kernarg_segment_ptr 1
		.amdhsa_user_sgpr_dispatch_id 0
		.amdhsa_user_sgpr_kernarg_preload_length 0
		.amdhsa_user_sgpr_kernarg_preload_offset 0
		.amdhsa_user_sgpr_private_segment_size 0
		.amdhsa_uses_dynamic_stack 0
		.amdhsa_enable_private_segment 0
		.amdhsa_system_sgpr_workgroup_id_x 1
		.amdhsa_system_sgpr_workgroup_id_y 0
		.amdhsa_system_sgpr_workgroup_id_z 0
		.amdhsa_system_sgpr_workgroup_info 0
		.amdhsa_system_vgpr_workitem_id 0
		.amdhsa_next_free_vgpr 23
		.amdhsa_next_free_sgpr 28
		.amdhsa_accum_offset 24
		.amdhsa_reserve_vcc 1
		.amdhsa_float_round_mode_32 0
		.amdhsa_float_round_mode_16_64 0
		.amdhsa_float_denorm_mode_32 3
		.amdhsa_float_denorm_mode_16_64 3
		.amdhsa_dx10_clamp 1
		.amdhsa_ieee_mode 1
		.amdhsa_fp16_overflow 0
		.amdhsa_tg_split 0
		.amdhsa_exception_fp_ieee_invalid_op 0
		.amdhsa_exception_fp_denorm_src 0
		.amdhsa_exception_fp_ieee_div_zero 0
		.amdhsa_exception_fp_ieee_overflow 0
		.amdhsa_exception_fp_ieee_underflow 0
		.amdhsa_exception_fp_ieee_inexact 0
		.amdhsa_exception_int_div_zero 0
	.end_amdhsa_kernel
	.section	.text._ZN2at6native12_GLOBAL__N_128layer_norm_grad_input_kernelIffLb0EEEvPKT_S5_PKT0_S8_S5_PS3_i,"axG",@progbits,_ZN2at6native12_GLOBAL__N_128layer_norm_grad_input_kernelIffLb0EEEvPKT_S5_PKT0_S8_S5_PS3_i,comdat
.Lfunc_end48:
	.size	_ZN2at6native12_GLOBAL__N_128layer_norm_grad_input_kernelIffLb0EEEvPKT_S5_PKT0_S8_S5_PS3_i, .Lfunc_end48-_ZN2at6native12_GLOBAL__N_128layer_norm_grad_input_kernelIffLb0EEEvPKT_S5_PKT0_S8_S5_PS3_i
                                        ; -- End function
	.set _ZN2at6native12_GLOBAL__N_128layer_norm_grad_input_kernelIffLb0EEEvPKT_S5_PKT0_S8_S5_PS3_i.num_vgpr, 23
	.set _ZN2at6native12_GLOBAL__N_128layer_norm_grad_input_kernelIffLb0EEEvPKT_S5_PKT0_S8_S5_PS3_i.num_agpr, 0
	.set _ZN2at6native12_GLOBAL__N_128layer_norm_grad_input_kernelIffLb0EEEvPKT_S5_PKT0_S8_S5_PS3_i.numbered_sgpr, 28
	.set _ZN2at6native12_GLOBAL__N_128layer_norm_grad_input_kernelIffLb0EEEvPKT_S5_PKT0_S8_S5_PS3_i.num_named_barrier, 0
	.set _ZN2at6native12_GLOBAL__N_128layer_norm_grad_input_kernelIffLb0EEEvPKT_S5_PKT0_S8_S5_PS3_i.private_seg_size, 0
	.set _ZN2at6native12_GLOBAL__N_128layer_norm_grad_input_kernelIffLb0EEEvPKT_S5_PKT0_S8_S5_PS3_i.uses_vcc, 1
	.set _ZN2at6native12_GLOBAL__N_128layer_norm_grad_input_kernelIffLb0EEEvPKT_S5_PKT0_S8_S5_PS3_i.uses_flat_scratch, 0
	.set _ZN2at6native12_GLOBAL__N_128layer_norm_grad_input_kernelIffLb0EEEvPKT_S5_PKT0_S8_S5_PS3_i.has_dyn_sized_stack, 0
	.set _ZN2at6native12_GLOBAL__N_128layer_norm_grad_input_kernelIffLb0EEEvPKT_S5_PKT0_S8_S5_PS3_i.has_recursion, 0
	.set _ZN2at6native12_GLOBAL__N_128layer_norm_grad_input_kernelIffLb0EEEvPKT_S5_PKT0_S8_S5_PS3_i.has_indirect_call, 0
	.section	.AMDGPU.csdata,"",@progbits
; Kernel info:
; codeLenInByte = 1888
; TotalNumSgprs: 34
; NumVgprs: 23
; NumAgprs: 0
; TotalNumVgprs: 23
; ScratchSize: 0
; MemoryBound: 0
; FloatMode: 240
; IeeeMode: 1
; LDSByteSize: 0 bytes/workgroup (compile time only)
; SGPRBlocks: 4
; VGPRBlocks: 2
; NumSGPRsForWavesPerEU: 34
; NumVGPRsForWavesPerEU: 23
; AccumOffset: 24
; Occupancy: 8
; WaveLimiterHint : 0
; COMPUTE_PGM_RSRC2:SCRATCH_EN: 0
; COMPUTE_PGM_RSRC2:USER_SGPR: 2
; COMPUTE_PGM_RSRC2:TRAP_HANDLER: 0
; COMPUTE_PGM_RSRC2:TGID_X_EN: 1
; COMPUTE_PGM_RSRC2:TGID_Y_EN: 0
; COMPUTE_PGM_RSRC2:TGID_Z_EN: 0
; COMPUTE_PGM_RSRC2:TIDIG_COMP_CNT: 0
; COMPUTE_PGM_RSRC3_GFX90A:ACCUM_OFFSET: 5
; COMPUTE_PGM_RSRC3_GFX90A:TG_SPLIT: 0
	.section	.text._ZN2at6native12_GLOBAL__N_133GammaBetaBackwardSimpleCUDAKernelIffLb0EEEvllPKT_S5_PKT0_S8_PS3_S9_,"axG",@progbits,_ZN2at6native12_GLOBAL__N_133GammaBetaBackwardSimpleCUDAKernelIffLb0EEEvllPKT_S5_PKT0_S8_PS3_S9_,comdat
	.globl	_ZN2at6native12_GLOBAL__N_133GammaBetaBackwardSimpleCUDAKernelIffLb0EEEvllPKT_S5_PKT0_S8_PS3_S9_ ; -- Begin function _ZN2at6native12_GLOBAL__N_133GammaBetaBackwardSimpleCUDAKernelIffLb0EEEvllPKT_S5_PKT0_S8_PS3_S9_
	.p2align	8
	.type	_ZN2at6native12_GLOBAL__N_133GammaBetaBackwardSimpleCUDAKernelIffLb0EEEvllPKT_S5_PKT0_S8_PS3_S9_,@function
_ZN2at6native12_GLOBAL__N_133GammaBetaBackwardSimpleCUDAKernelIffLb0EEEvllPKT_S5_PKT0_S8_PS3_S9_: ; @_ZN2at6native12_GLOBAL__N_133GammaBetaBackwardSimpleCUDAKernelIffLb0EEEvllPKT_S5_PKT0_S8_PS3_S9_
; %bb.0:
	s_load_dword s3, s[0:1], 0x4c
	s_load_dwordx16 s[4:19], s[0:1], 0x0
	v_mov_b32_e32 v1, 0
	v_mov_b32_e32 v2, s2
	s_waitcnt lgkmcnt(0)
	s_and_b32 s0, s3, 0xffff
	v_mad_u64_u32 v[2:3], s[0:1], s0, v2, v[0:1]
	v_cmp_gt_i64_e32 vcc, s[6:7], v[2:3]
	s_and_saveexec_b64 s[0:1], vcc
	s_cbranch_execz .LBB49_13
; %bb.1:
	v_cmp_lt_i64_e64 s[0:1], s[4:5], 1
	s_and_b64 vcc, exec, s[0:1]
	v_mov_b32_e32 v0, 0
	s_cbranch_vccnz .LBB49_9
; %bb.2:
	s_cmp_lg_u64 s[16:17], 0
	s_cselect_b64 s[0:1], -1, 0
	s_cmp_lg_u64 s[18:19], 0
	s_cselect_b64 s[2:3], -1, 0
	v_cndmask_b32_e64 v0, 0, 1, s[0:1]
	v_cmp_ne_u32_e64 s[0:1], 1, v0
	v_cndmask_b32_e64 v0, 0, 1, s[2:3]
	v_lshlrev_b64 v[4:5], 2, v[2:3]
	s_lshl_b64 s[6:7], s[6:7], 2
	v_mov_b32_e32 v1, 0
	v_cmp_ne_u32_e64 s[2:3], 1, v0
	v_mov_b32_e32 v0, 0
	s_branch .LBB49_5
.LBB49_3:                               ;   in Loop: Header=BB49_5 Depth=1
	global_load_dword v6, v[6:7], off
.LBB49_4:                               ;   in Loop: Header=BB49_5 Depth=1
	s_add_u32 s4, s4, -1
	s_addc_u32 s5, s5, -1
	s_add_u32 s14, s14, 4
	s_addc_u32 s15, s15, 0
	s_add_u32 s12, s12, 4
	s_addc_u32 s13, s13, 0
	v_add_f32_e32 v1, v1, v8
	s_waitcnt vmcnt(0)
	v_add_f32_e32 v0, v0, v6
	s_cmp_eq_u64 s[4:5], 0
	v_lshl_add_u64 v[4:5], v[4:5], 0, s[6:7]
	s_cbranch_scc1 .LBB49_9
.LBB49_5:                               ; =>This Inner Loop Header: Depth=1
	s_and_b64 vcc, exec, s[0:1]
	v_lshl_add_u64 v[6:7], s[8:9], 0, v[4:5]
	v_mov_b32_e32 v8, 0
	s_cbranch_vccnz .LBB49_7
; %bb.6:                                ;   in Loop: Header=BB49_5 Depth=1
	v_lshl_add_u64 v[8:9], s[10:11], 0, v[4:5]
	global_load_dword v10, v[8:9], off
	global_load_dword v11, v[6:7], off
	s_load_dword s20, s[12:13], 0x0
	s_load_dword s21, s[14:15], 0x0
	s_waitcnt vmcnt(1) lgkmcnt(0)
	v_subrev_f32_e32 v8, s20, v10
	s_waitcnt vmcnt(0)
	v_mul_f32_e32 v8, v11, v8
	v_mul_f32_e32 v8, s21, v8
.LBB49_7:                               ;   in Loop: Header=BB49_5 Depth=1
	s_and_b64 vcc, exec, s[2:3]
	s_cbranch_vccz .LBB49_3
; %bb.8:                                ;   in Loop: Header=BB49_5 Depth=1
	v_mov_b32_e32 v6, 0
	s_branch .LBB49_4
.LBB49_9:
	s_cmp_lg_u64 s[16:17], 0
	s_cbranch_scc0 .LBB49_11
; %bb.10:
	v_lshl_add_u64 v[4:5], v[2:3], 2, s[16:17]
	global_store_dword v[4:5], v1, off
.LBB49_11:
	s_cmp_eq_u64 s[18:19], 0
	s_cbranch_scc1 .LBB49_13
; %bb.12:
	v_lshl_add_u64 v[2:3], v[2:3], 2, s[18:19]
	global_store_dword v[2:3], v0, off
.LBB49_13:
	s_endpgm
	.section	.rodata,"a",@progbits
	.p2align	6, 0x0
	.amdhsa_kernel _ZN2at6native12_GLOBAL__N_133GammaBetaBackwardSimpleCUDAKernelIffLb0EEEvllPKT_S5_PKT0_S8_PS3_S9_
		.amdhsa_group_segment_fixed_size 0
		.amdhsa_private_segment_fixed_size 0
		.amdhsa_kernarg_size 320
		.amdhsa_user_sgpr_count 2
		.amdhsa_user_sgpr_dispatch_ptr 0
		.amdhsa_user_sgpr_queue_ptr 0
		.amdhsa_user_sgpr_kernarg_segment_ptr 1
		.amdhsa_user_sgpr_dispatch_id 0
		.amdhsa_user_sgpr_kernarg_preload_length 0
		.amdhsa_user_sgpr_kernarg_preload_offset 0
		.amdhsa_user_sgpr_private_segment_size 0
		.amdhsa_uses_dynamic_stack 0
		.amdhsa_enable_private_segment 0
		.amdhsa_system_sgpr_workgroup_id_x 1
		.amdhsa_system_sgpr_workgroup_id_y 0
		.amdhsa_system_sgpr_workgroup_id_z 0
		.amdhsa_system_sgpr_workgroup_info 0
		.amdhsa_system_vgpr_workitem_id 0
		.amdhsa_next_free_vgpr 12
		.amdhsa_next_free_sgpr 22
		.amdhsa_accum_offset 12
		.amdhsa_reserve_vcc 1
		.amdhsa_float_round_mode_32 0
		.amdhsa_float_round_mode_16_64 0
		.amdhsa_float_denorm_mode_32 3
		.amdhsa_float_denorm_mode_16_64 3
		.amdhsa_dx10_clamp 1
		.amdhsa_ieee_mode 1
		.amdhsa_fp16_overflow 0
		.amdhsa_tg_split 0
		.amdhsa_exception_fp_ieee_invalid_op 0
		.amdhsa_exception_fp_denorm_src 0
		.amdhsa_exception_fp_ieee_div_zero 0
		.amdhsa_exception_fp_ieee_overflow 0
		.amdhsa_exception_fp_ieee_underflow 0
		.amdhsa_exception_fp_ieee_inexact 0
		.amdhsa_exception_int_div_zero 0
	.end_amdhsa_kernel
	.section	.text._ZN2at6native12_GLOBAL__N_133GammaBetaBackwardSimpleCUDAKernelIffLb0EEEvllPKT_S5_PKT0_S8_PS3_S9_,"axG",@progbits,_ZN2at6native12_GLOBAL__N_133GammaBetaBackwardSimpleCUDAKernelIffLb0EEEvllPKT_S5_PKT0_S8_PS3_S9_,comdat
.Lfunc_end49:
	.size	_ZN2at6native12_GLOBAL__N_133GammaBetaBackwardSimpleCUDAKernelIffLb0EEEvllPKT_S5_PKT0_S8_PS3_S9_, .Lfunc_end49-_ZN2at6native12_GLOBAL__N_133GammaBetaBackwardSimpleCUDAKernelIffLb0EEEvllPKT_S5_PKT0_S8_PS3_S9_
                                        ; -- End function
	.set _ZN2at6native12_GLOBAL__N_133GammaBetaBackwardSimpleCUDAKernelIffLb0EEEvllPKT_S5_PKT0_S8_PS3_S9_.num_vgpr, 12
	.set _ZN2at6native12_GLOBAL__N_133GammaBetaBackwardSimpleCUDAKernelIffLb0EEEvllPKT_S5_PKT0_S8_PS3_S9_.num_agpr, 0
	.set _ZN2at6native12_GLOBAL__N_133GammaBetaBackwardSimpleCUDAKernelIffLb0EEEvllPKT_S5_PKT0_S8_PS3_S9_.numbered_sgpr, 22
	.set _ZN2at6native12_GLOBAL__N_133GammaBetaBackwardSimpleCUDAKernelIffLb0EEEvllPKT_S5_PKT0_S8_PS3_S9_.num_named_barrier, 0
	.set _ZN2at6native12_GLOBAL__N_133GammaBetaBackwardSimpleCUDAKernelIffLb0EEEvllPKT_S5_PKT0_S8_PS3_S9_.private_seg_size, 0
	.set _ZN2at6native12_GLOBAL__N_133GammaBetaBackwardSimpleCUDAKernelIffLb0EEEvllPKT_S5_PKT0_S8_PS3_S9_.uses_vcc, 1
	.set _ZN2at6native12_GLOBAL__N_133GammaBetaBackwardSimpleCUDAKernelIffLb0EEEvllPKT_S5_PKT0_S8_PS3_S9_.uses_flat_scratch, 0
	.set _ZN2at6native12_GLOBAL__N_133GammaBetaBackwardSimpleCUDAKernelIffLb0EEEvllPKT_S5_PKT0_S8_PS3_S9_.has_dyn_sized_stack, 0
	.set _ZN2at6native12_GLOBAL__N_133GammaBetaBackwardSimpleCUDAKernelIffLb0EEEvllPKT_S5_PKT0_S8_PS3_S9_.has_recursion, 0
	.set _ZN2at6native12_GLOBAL__N_133GammaBetaBackwardSimpleCUDAKernelIffLb0EEEvllPKT_S5_PKT0_S8_PS3_S9_.has_indirect_call, 0
	.section	.AMDGPU.csdata,"",@progbits
; Kernel info:
; codeLenInByte = 356
; TotalNumSgprs: 28
; NumVgprs: 12
; NumAgprs: 0
; TotalNumVgprs: 12
; ScratchSize: 0
; MemoryBound: 0
; FloatMode: 240
; IeeeMode: 1
; LDSByteSize: 0 bytes/workgroup (compile time only)
; SGPRBlocks: 3
; VGPRBlocks: 1
; NumSGPRsForWavesPerEU: 28
; NumVGPRsForWavesPerEU: 12
; AccumOffset: 12
; Occupancy: 8
; WaveLimiterHint : 0
; COMPUTE_PGM_RSRC2:SCRATCH_EN: 0
; COMPUTE_PGM_RSRC2:USER_SGPR: 2
; COMPUTE_PGM_RSRC2:TRAP_HANDLER: 0
; COMPUTE_PGM_RSRC2:TGID_X_EN: 1
; COMPUTE_PGM_RSRC2:TGID_Y_EN: 0
; COMPUTE_PGM_RSRC2:TGID_Z_EN: 0
; COMPUTE_PGM_RSRC2:TIDIG_COMP_CNT: 0
; COMPUTE_PGM_RSRC3_GFX90A:ACCUM_OFFSET: 2
; COMPUTE_PGM_RSRC3_GFX90A:TG_SPLIT: 0
	.section	.text._ZN2at6native12_GLOBAL__N_135GammaBetaBackwardCUDAKernelTemplateIffLj64ELj1ELj32ELb1ELb1ELb0EEEvllPKT_S5_PKT0_S8_PS3_S9_,"axG",@progbits,_ZN2at6native12_GLOBAL__N_135GammaBetaBackwardCUDAKernelTemplateIffLj64ELj1ELj32ELb1ELb1ELb0EEEvllPKT_S5_PKT0_S8_PS3_S9_,comdat
	.globl	_ZN2at6native12_GLOBAL__N_135GammaBetaBackwardCUDAKernelTemplateIffLj64ELj1ELj32ELb1ELb1ELb0EEEvllPKT_S5_PKT0_S8_PS3_S9_ ; -- Begin function _ZN2at6native12_GLOBAL__N_135GammaBetaBackwardCUDAKernelTemplateIffLj64ELj1ELj32ELb1ELb1ELb0EEEvllPKT_S5_PKT0_S8_PS3_S9_
	.p2align	8
	.type	_ZN2at6native12_GLOBAL__N_135GammaBetaBackwardCUDAKernelTemplateIffLj64ELj1ELj32ELb1ELb1ELb0EEEvllPKT_S5_PKT0_S8_PS3_S9_,@function
_ZN2at6native12_GLOBAL__N_135GammaBetaBackwardCUDAKernelTemplateIffLj64ELj1ELj32ELb1ELb1ELb0EEEvllPKT_S5_PKT0_S8_PS3_S9_: ; @_ZN2at6native12_GLOBAL__N_135GammaBetaBackwardCUDAKernelTemplateIffLj64ELj1ELj32ELb1ELb1ELb0EEEvllPKT_S5_PKT0_S8_PS3_S9_
; %bb.0:
	s_load_dwordx4 s[16:19], s[0:1], 0x0
	s_lshl_b32 s6, s3, 5
	s_mov_b32 s7, 0
	v_mov_b64_e32 v[2:3], s[6:7]
	s_mov_b32 s4, s3
	s_waitcnt lgkmcnt(0)
	v_cmp_gt_i64_e32 vcc, s[16:17], v[2:3]
	v_bfe_u32 v1, v0, 10, 10
	s_cbranch_vccnz .LBB50_2
; %bb.1:
	s_add_u32 s24, s0, 64
	s_addc_u32 s25, s1, 0
	s_mov_b64 s[8:9], 0
	v_bfe_u32 v2, v0, 10, 10
	s_branch .LBB50_3
.LBB50_2:
	s_mov_b64 s[8:9], -1
                                        ; implicit-def: $sgpr24_sgpr25
                                        ; implicit-def: $vgpr2
.LBB50_3:
	s_load_dwordx4 s[20:23], s[0:1], 0x30
	v_mov_b32_e32 v9, 0
	v_and_b32_e32 v0, 0x3ff, v0
	s_andn2_b64 vcc, exec, s[8:9]
	v_mov_b32_e32 v8, v9
	s_cbranch_vccnz .LBB50_11
; %bb.4:
	s_load_dword s3, s[0:1], 0x4c
	s_load_dword s5, s[0:1], 0x44
	s_load_dwordx8 s[8:15], s[0:1], 0x10
	s_add_u32 s24, s0, 64
	s_addc_u32 s25, s1, 0
	s_waitcnt lgkmcnt(0)
	s_and_b32 s0, s3, 0xffff
	v_mad_u32_u24 v2, v1, s0, v0
	v_lshlrev_b32_e32 v8, 5, v1
	v_mov_b32_e32 v9, 0
	v_mbcnt_lo_u32_b32 v4, -1, 0
	v_and_b32_e32 v2, 63, v2
	v_mov_b32_e32 v3, v9
	v_mbcnt_hi_u32_b32 v4, -1, v4
	s_lshl_b32 s26, s5, 5
	v_lshl_add_u64 v[10:11], v[8:9], 0, s[6:7]
	v_cmp_gt_u32_e64 s[0:1], 32, v2
	v_lshl_add_u32 v6, s2, 6, v0
	v_mov_b32_e32 v7, v9
	v_lshlrev_b32_e32 v4, 2, v4
	v_lshl_add_u64 v[2:3], v[10:11], 0, v[2:3]
	v_mul_lo_u32 v8, s19, v10
	v_mul_lo_u32 v12, s18, v11
	v_mad_u64_u32 v[10:11], s[30:31], s18, v10, 0
	s_mul_i32 s3, s19, s26
	s_mul_hi_u32 s5, s18, s26
	s_mov_b32 s27, 0
	v_and_b32_e32 v14, 0x100, v4
	v_add3_u32 v11, v11, v12, v8
	v_lshlrev_b64 v[6:7], 2, v[6:7]
	s_add_i32 s31, s5, s3
	s_mul_i32 s30, s18, s26
	v_or_b32_e32 v15, 4, v14
	v_or_b32_e32 v16, 8, v14
	;; [unrolled: 1-line block ×31, first 2 shown]
	v_lshlrev_b64 v[4:5], 2, v[2:3]
	s_lshl_b64 s[28:29], s[26:27], 2
	v_lshl_add_u64 v[6:7], v[10:11], 2, v[6:7]
	s_lshl_b64 s[30:31], s[30:31], 2
	s_lshl_b64 s[34:35], s[18:19], 2
	v_mov_b32_e32 v8, v9
	s_branch .LBB50_7
.LBB50_5:                               ;   in Loop: Header=BB50_7 Depth=1
	s_or_b64 exec, exec, s[38:39]
.LBB50_6:                               ;   in Loop: Header=BB50_7 Depth=1
	s_or_b64 exec, exec, s[36:37]
	v_lshl_add_u64 v[10:11], s[10:11], 0, v[6:7]
	v_lshl_add_u64 v[48:49], v[10:11], 0, s[34:35]
	global_load_dword v13, v[10:11], off
	global_load_dword v53, v[48:49], off
	v_lshl_add_u64 v[10:11], s[8:9], 0, v[6:7]
	global_load_dword v12, v[10:11], off
	v_lshl_add_u64 v[50:51], v[10:11], 0, s[34:35]
	;; [unrolled: 2-line block ×3, first 2 shown]
	v_lshl_add_u64 v[50:51], v[50:51], 0, s[34:35]
	global_load_dword v55, v[48:49], off
	global_load_dword v52, v[50:51], off
	v_lshl_add_u64 v[48:49], v[48:49], 0, s[34:35]
	global_load_dword v57, v[48:49], off
	v_lshl_add_u64 v[50:51], v[50:51], 0, s[34:35]
	global_load_dword v54, v[50:51], off
	s_waitcnt vmcnt(9)
	ds_bpermute_b32 v11, v14, v47
	v_lshl_add_u64 v[48:49], v[48:49], 0, s[34:35]
	ds_bpermute_b32 v59, v15, v47
	v_lshl_add_u64 v[50:51], v[50:51], 0, s[34:35]
	global_load_dword v65, v[48:49], off
	s_waitcnt vmcnt(9)
	ds_bpermute_b32 v58, v14, v46
	global_load_dword v56, v[50:51], off
	v_lshl_add_u64 v[48:49], v[48:49], 0, s[34:35]
	v_lshl_add_u64 v[50:51], v[50:51], 0, s[34:35]
	ds_bpermute_b32 v60, v15, v46
	ds_bpermute_b32 v61, v16, v47
	ds_bpermute_b32 v63, v17, v47
	ds_bpermute_b32 v62, v16, v46
	ds_bpermute_b32 v64, v17, v46
	ds_bpermute_b32 v69, v34, v47
	ds_bpermute_b32 v70, v34, v46
	s_add_u32 s6, s6, s26
	s_addc_u32 s7, s7, 0
	v_lshl_add_u64 v[4:5], v[4:5], 0, s[28:29]
	v_lshl_add_u64 v[2:3], v[2:3], 0, s[26:27]
	;; [unrolled: 1-line block ×3, first 2 shown]
	s_waitcnt vmcnt(9) lgkmcnt(9)
	v_sub_f32_e32 v11, v13, v11
	s_waitcnt vmcnt(8) lgkmcnt(8)
	v_sub_f32_e32 v53, v53, v59
	global_load_dword v59, v[48:49], off
	s_waitcnt vmcnt(8)
	v_mul_f32_e32 v11, v12, v11
	s_waitcnt lgkmcnt(7)
	v_mul_f32_e32 v13, v11, v58
	global_load_dword v58, v[50:51], off
	v_lshl_add_u64 v[48:49], v[48:49], 0, s[34:35]
	v_lshl_add_u64 v[50:51], v[50:51], 0, s[34:35]
	global_load_dword v66, v[48:49], off
	v_pk_add_f32 v[8:9], v[8:9], v[12:13]
	global_load_dword v12, v[50:51], off
	v_lshl_add_u64 v[48:49], v[48:49], 0, s[34:35]
	s_waitcnt vmcnt(10)
	v_mul_f32_e32 v11, v10, v53
	v_lshl_add_u64 v[50:51], v[50:51], 0, s[34:35]
	global_load_dword v67, v[48:49], off
	v_lshl_add_u64 v[48:49], v[48:49], 0, s[34:35]
	s_waitcnt lgkmcnt(6)
	v_mul_f32_e32 v11, v11, v60
	s_waitcnt vmcnt(10) lgkmcnt(5)
	v_sub_f32_e32 v13, v55, v61
	global_load_dword v60, v[50:51], off
	v_lshl_add_u64 v[50:51], v[50:51], 0, s[34:35]
	global_load_dword v61, v[48:49], off
	v_lshl_add_u64 v[48:49], v[48:49], 0, s[34:35]
	s_waitcnt vmcnt(11)
	v_mul_f32_e32 v13, v52, v13
	v_pk_add_f32 v[8:9], v[8:9], v[10:11]
	global_load_dword v10, v[50:51], off
	v_lshl_add_u64 v[50:51], v[50:51], 0, s[34:35]
	s_waitcnt vmcnt(11) lgkmcnt(4)
	v_sub_f32_e32 v11, v57, v63
	global_load_dword v63, v[48:49], off
	s_waitcnt lgkmcnt(3)
	v_mul_f32_e32 v53, v13, v62
	global_load_dword v62, v[50:51], off
	s_waitcnt vmcnt(12)
	v_mul_f32_e32 v11, v54, v11
	s_waitcnt lgkmcnt(2)
	v_mul_f32_e32 v55, v11, v64
	ds_bpermute_b32 v11, v18, v47
	ds_bpermute_b32 v13, v18, v46
	v_pk_add_f32 v[8:9], v[8:9], v[52:53]
	ds_bpermute_b32 v52, v19, v47
	ds_bpermute_b32 v53, v20, v46
	s_waitcnt vmcnt(11) lgkmcnt(3)
	v_sub_f32_e32 v11, v65, v11
	s_waitcnt vmcnt(10)
	v_mul_f32_e32 v11, v56, v11
	s_waitcnt lgkmcnt(2)
	v_mul_f32_e32 v57, v11, v13
	ds_bpermute_b32 v11, v19, v46
	ds_bpermute_b32 v13, v20, v47
	;; [unrolled: 1-line block ×4, first 2 shown]
	v_lshl_add_u64 v[48:49], v[48:49], 0, s[34:35]
	v_lshl_add_u64 v[50:51], v[50:51], 0, s[34:35]
	v_pk_add_f32 v[8:9], v[8:9], v[54:55]
	s_waitcnt vmcnt(9) lgkmcnt(5)
	v_sub_f32_e32 v52, v59, v52
	v_pk_add_f32 v[8:9], v[8:9], v[56:57]
	s_waitcnt vmcnt(8)
	v_mul_f32_e32 v52, v58, v52
	s_waitcnt lgkmcnt(3)
	v_mul_f32_e32 v59, v52, v11
	ds_bpermute_b32 v11, v21, v47
	s_waitcnt vmcnt(7) lgkmcnt(3)
	v_sub_f32_e32 v13, v66, v13
	ds_bpermute_b32 v52, v21, v46
	s_waitcnt vmcnt(6)
	v_mul_f32_e32 v13, v12, v13
	v_mul_f32_e32 v13, v13, v53
	ds_bpermute_b32 v53, v22, v46
	ds_bpermute_b32 v66, v23, v46
	s_waitcnt vmcnt(5) lgkmcnt(3)
	v_sub_f32_e32 v11, v67, v11
	v_pk_add_f32 v[8:9], v[8:9], v[58:59]
	ds_bpermute_b32 v67, v31, v46
	v_pk_add_f32 v[8:9], v[8:9], v[12:13]
	s_waitcnt vmcnt(4)
	v_mul_f32_e32 v11, v60, v11
	s_waitcnt vmcnt(3)
	v_sub_f32_e32 v64, v61, v64
	s_waitcnt lgkmcnt(3)
	v_mul_f32_e32 v61, v11, v52
	v_pk_add_f32 v[8:9], v[8:9], v[60:61]
	ds_bpermute_b32 v60, v26, v46
	s_waitcnt vmcnt(2)
	v_mul_f32_e32 v11, v10, v64
	s_waitcnt lgkmcnt(3)
	v_mul_f32_e32 v11, v11, v53
	global_load_dword v53, v[48:49], off
	s_waitcnt vmcnt(2)
	v_sub_f32_e32 v52, v63, v65
	v_lshl_add_u64 v[48:49], v[48:49], 0, s[34:35]
	s_waitcnt vmcnt(1)
	v_mul_f32_e32 v52, v62, v52
	s_waitcnt lgkmcnt(2)
	v_mul_f32_e32 v63, v52, v66
	global_load_dword v52, v[50:51], off
	global_load_dword v65, v[48:49], off
	v_lshl_add_u64 v[50:51], v[50:51], 0, s[34:35]
	global_load_dword v54, v[50:51], off
	v_lshl_add_u64 v[48:49], v[48:49], 0, s[34:35]
	;; [unrolled: 2-line block ×5, first 2 shown]
	global_load_dword v64, v[50:51], off
	v_pk_add_f32 v[8:9], v[8:9], v[10:11]
	ds_bpermute_b32 v10, v24, v47
	v_lshl_add_u64 v[12:13], v[50:51], 0, s[34:35]
	ds_bpermute_b32 v11, v24, v46
	ds_bpermute_b32 v51, v25, v47
	v_lshl_add_u64 v[48:49], v[48:49], 0, s[34:35]
	global_load_dword v59, v[48:49], off
	global_load_dword v50, v[12:13], off
	v_pk_add_f32 v[8:9], v[8:9], v[62:63]
	ds_bpermute_b32 v62, v27, v47
	v_lshl_add_u64 v[48:49], v[48:49], 0, s[34:35]
	global_load_dword v61, v[48:49], off
	v_lshl_add_u64 v[12:13], v[12:13], 0, s[34:35]
	global_load_dword v58, v[12:13], off
	v_lshl_add_u64 v[12:13], v[12:13], 0, s[34:35]
	s_waitcnt vmcnt(11) lgkmcnt(3)
	v_sub_f32_e32 v10, v53, v10
	s_waitcnt vmcnt(10)
	v_mul_f32_e32 v10, v52, v10
	s_waitcnt lgkmcnt(2)
	v_mul_f32_e32 v53, v10, v11
	s_waitcnt vmcnt(9) lgkmcnt(1)
	v_sub_f32_e32 v10, v65, v51
	ds_bpermute_b32 v11, v25, v46
	ds_bpermute_b32 v51, v26, v47
	s_waitcnt vmcnt(8)
	v_mul_f32_e32 v10, v54, v10
	v_pk_add_f32 v[8:9], v[8:9], v[52:53]
	s_waitcnt lgkmcnt(1)
	v_mul_f32_e32 v55, v10, v11
	s_waitcnt vmcnt(7) lgkmcnt(0)
	v_sub_f32_e32 v10, v57, v51
	s_waitcnt vmcnt(6)
	v_mul_f32_e32 v10, v56, v10
	v_mul_f32_e32 v57, v10, v60
	s_waitcnt vmcnt(5)
	v_sub_f32_e32 v10, v66, v62
	s_waitcnt vmcnt(4)
	v_mul_f32_e32 v60, v64, v10
	v_lshl_add_u64 v[10:11], v[48:49], 0, s[34:35]
	global_load_dword v49, v[10:11], off
	global_load_dword v48, v[12:13], off
	v_lshl_add_u64 v[10:11], v[10:11], 0, s[34:35]
	global_load_dword v63, v[10:11], off
	v_lshl_add_u64 v[10:11], v[10:11], 0, s[34:35]
	global_load_dword v66, v[10:11], off
	ds_bpermute_b32 v51, v27, v46
	ds_bpermute_b32 v62, v28, v47
	v_lshl_add_u64 v[12:13], v[12:13], 0, s[34:35]
	v_lshl_add_u64 v[10:11], v[10:11], 0, s[34:35]
	global_load_dword v68, v[10:11], off
	s_waitcnt lgkmcnt(1)
	v_mul_f32_e32 v65, v60, v51
	ds_bpermute_b32 v51, v28, v46
	s_waitcnt vmcnt(8) lgkmcnt(1)
	v_sub_f32_e32 v59, v59, v62
	s_waitcnt vmcnt(7)
	v_mul_f32_e32 v59, v50, v59
	ds_bpermute_b32 v62, v29, v46
	global_load_dword v60, v[12:13], off
	s_waitcnt lgkmcnt(1)
	v_mul_f32_e32 v51, v59, v51
	ds_bpermute_b32 v59, v29, v47
	v_lshl_add_u64 v[12:13], v[12:13], 0, s[34:35]
	v_lshl_add_u64 v[10:11], v[10:11], 0, s[34:35]
	v_pk_add_f32 v[8:9], v[8:9], v[54:55]
	s_waitcnt vmcnt(7) lgkmcnt(0)
	v_sub_f32_e32 v59, v61, v59
	ds_bpermute_b32 v61, v30, v47
	s_waitcnt vmcnt(6)
	v_mul_f32_e32 v59, v58, v59
	v_mul_f32_e32 v59, v59, v62
	global_load_dword v62, v[12:13], off
	v_lshl_add_u64 v[12:13], v[12:13], 0, s[34:35]
	v_pk_add_f32 v[8:9], v[8:9], v[56:57]
	ds_bpermute_b32 v56, v35, v46
	v_pk_add_f32 v[8:9], v[8:9], v[64:65]
	ds_bpermute_b32 v57, v36, v47
	;; [unrolled: 2-line block ×3, first 2 shown]
	v_pk_add_f32 v[8:9], v[8:9], v[58:59]
	s_waitcnt vmcnt(6) lgkmcnt(3)
	v_sub_f32_e32 v49, v49, v61
	ds_bpermute_b32 v61, v30, v46
	s_waitcnt vmcnt(5)
	v_mul_f32_e32 v49, v48, v49
	s_waitcnt lgkmcnt(0)
	v_mul_f32_e32 v49, v49, v61
	ds_bpermute_b32 v61, v31, v47
	v_pk_add_f32 v[8:9], v[8:9], v[48:49]
	ds_bpermute_b32 v48, v35, v47
	s_waitcnt vmcnt(4) lgkmcnt(1)
	v_sub_f32_e32 v61, v63, v61
	ds_bpermute_b32 v63, v32, v47
	s_waitcnt vmcnt(1)
	v_mul_f32_e32 v61, v60, v61
	v_mul_f32_e32 v61, v61, v67
	s_waitcnt lgkmcnt(0)
	v_sub_f32_e32 v63, v66, v63
	global_load_dword v66, v[12:13], off
	ds_bpermute_b32 v67, v32, v46
	v_lshl_add_u64 v[12:13], v[12:13], 0, s[34:35]
	v_pk_add_f32 v[8:9], v[8:9], v[60:61]
	s_waitcnt vmcnt(1)
	v_mul_f32_e32 v63, v62, v63
	s_waitcnt lgkmcnt(0)
	v_mul_f32_e32 v63, v63, v67
	ds_bpermute_b32 v67, v33, v47
	v_pk_add_f32 v[8:9], v[8:9], v[62:63]
	ds_bpermute_b32 v62, v37, v46
	s_waitcnt lgkmcnt(1)
	v_sub_f32_e32 v67, v68, v67
	ds_bpermute_b32 v68, v33, v46
	s_waitcnt vmcnt(0)
	v_mul_f32_e32 v67, v66, v67
	s_waitcnt lgkmcnt(0)
	v_mul_f32_e32 v67, v67, v68
	global_load_dword v68, v[10:11], off
	v_lshl_add_u64 v[10:11], v[10:11], 0, s[34:35]
	global_load_dword v53, v[10:11], off
	v_lshl_add_u64 v[10:11], v[10:11], 0, s[34:35]
	;; [unrolled: 2-line block ×8, first 2 shown]
	global_load_dword v65, v[10:11], off
	v_pk_add_f32 v[8:9], v[8:9], v[66:67]
	ds_bpermute_b32 v66, v41, v47
	v_lshl_add_u64 v[10:11], v[10:11], 0, s[34:35]
	global_load_dword v67, v[10:11], off
	v_lshl_add_u64 v[10:11], v[10:11], 0, s[34:35]
	s_waitcnt vmcnt(9)
	v_sub_f32_e32 v69, v68, v69
	global_load_dword v68, v[12:13], off
	v_lshl_add_u64 v[12:13], v[12:13], 0, s[34:35]
	global_load_dword v52, v[12:13], off
	v_lshl_add_u64 v[12:13], v[12:13], 0, s[34:35]
	global_load_dword v54, v[12:13], off
	v_lshl_add_u64 v[12:13], v[12:13], 0, s[34:35]
	global_load_dword v50, v[12:13], off
	v_lshl_add_u64 v[12:13], v[12:13], 0, s[34:35]
	s_waitcnt vmcnt(12)
	v_sub_f32_e32 v53, v53, v48
	global_load_dword v48, v[12:13], off
	v_lshl_add_u64 v[12:13], v[12:13], 0, s[34:35]
	s_waitcnt vmcnt(12)
	v_sub_f32_e32 v55, v55, v57
	ds_bpermute_b32 v57, v36, v46
	s_waitcnt vmcnt(7) lgkmcnt(1)
	v_sub_f32_e32 v63, v63, v66
	ds_bpermute_b32 v66, v42, v46
	s_waitcnt vmcnt(4)
	v_mul_f32_e32 v69, v68, v69
	v_mul_f32_e32 v69, v69, v70
	s_waitcnt vmcnt(3)
	v_mul_f32_e32 v53, v52, v53
	v_mul_f32_e32 v53, v53, v56
	global_load_dword v56, v[12:13], off
	v_lshl_add_u64 v[12:13], v[12:13], 0, s[34:35]
	s_waitcnt vmcnt(3)
	v_mul_f32_e32 v55, v54, v55
	global_load_dword v58, v[12:13], off
	v_lshl_add_u64 v[12:13], v[12:13], 0, s[34:35]
	s_waitcnt lgkmcnt(1)
	v_mul_f32_e32 v55, v55, v57
	ds_bpermute_b32 v57, v37, v47
	global_load_dword v60, v[12:13], off
	v_lshl_add_u64 v[12:13], v[12:13], 0, s[34:35]
	v_pk_add_f32 v[8:9], v[8:9], v[68:69]
	global_load_dword v68, v[10:11], off
	s_waitcnt lgkmcnt(0)
	v_sub_f32_e32 v51, v51, v57
	s_waitcnt vmcnt(5)
	v_mul_f32_e32 v51, v50, v51
	v_mul_f32_e32 v51, v51, v62
	global_load_dword v62, v[12:13], off
	ds_bpermute_b32 v57, v38, v47
	v_lshl_add_u64 v[12:13], v[12:13], 0, s[34:35]
	v_lshl_add_u64 v[10:11], v[10:11], 0, s[34:35]
	global_load_dword v69, v[10:11], off
	v_pk_add_f32 v[8:9], v[8:9], v[52:53]
	s_waitcnt lgkmcnt(0)
	v_sub_f32_e32 v49, v49, v57
	ds_bpermute_b32 v57, v38, v46
	s_waitcnt vmcnt(6)
	v_mul_f32_e32 v49, v48, v49
	v_pk_add_f32 v[8:9], v[8:9], v[54:55]
	s_waitcnt lgkmcnt(0)
	v_mul_f32_e32 v49, v49, v57
	ds_bpermute_b32 v57, v39, v47
	v_pk_add_f32 v[8:9], v[8:9], v[50:51]
	s_waitcnt lgkmcnt(0)
	v_sub_f32_e32 v57, v59, v57
	ds_bpermute_b32 v59, v40, v47
	v_pk_add_f32 v[8:9], v[8:9], v[48:49]
	s_waitcnt lgkmcnt(0)
	v_sub_f32_e32 v59, v61, v59
	ds_bpermute_b32 v61, v41, v46
	s_waitcnt vmcnt(5)
	v_mul_f32_e32 v57, v56, v57
	v_mul_f32_e32 v57, v57, v64
	ds_bpermute_b32 v64, v40, v46
	s_waitcnt vmcnt(4)
	v_mul_f32_e32 v59, v58, v59
	v_pk_add_f32 v[8:9], v[8:9], v[56:57]
	s_waitcnt vmcnt(3)
	v_mul_f32_e32 v63, v60, v63
	s_waitcnt lgkmcnt(0)
	v_mul_f32_e32 v59, v59, v64
	v_mul_f32_e32 v61, v63, v61
	ds_bpermute_b32 v63, v42, v47
	global_load_dword v64, v[12:13], off
	v_lshl_add_u64 v[12:13], v[12:13], 0, s[34:35]
	v_lshl_add_u64 v[10:11], v[12:13], 0, s[34:35]
	global_load_dword v10, v[10:11], off
	s_waitcnt lgkmcnt(0)
	v_sub_f32_e32 v63, v65, v63
	s_waitcnt vmcnt(3)
	v_mul_f32_e32 v63, v62, v63
	v_mul_f32_e32 v63, v63, v66
	global_load_dword v66, v[12:13], off
	ds_bpermute_b32 v11, v43, v47
	ds_bpermute_b32 v12, v43, v46
	v_pk_add_f32 v[8:9], v[8:9], v[58:59]
	s_waitcnt lgkmcnt(1)
	v_sub_f32_e32 v11, v67, v11
	v_pk_add_f32 v[8:9], v[8:9], v[60:61]
	s_waitcnt vmcnt(2)
	v_mul_f32_e32 v11, v64, v11
	s_waitcnt lgkmcnt(0)
	v_mul_f32_e32 v65, v11, v12
	ds_bpermute_b32 v11, v44, v47
	ds_bpermute_b32 v12, v44, v46
	v_pk_add_f32 v[8:9], v[8:9], v[62:63]
	s_waitcnt lgkmcnt(1)
	v_sub_f32_e32 v11, v68, v11
	s_waitcnt vmcnt(0)
	v_mul_f32_e32 v11, v66, v11
	s_waitcnt lgkmcnt(0)
	v_mul_f32_e32 v67, v11, v12
	ds_bpermute_b32 v11, v45, v47
	ds_bpermute_b32 v12, v45, v46
	v_pk_add_f32 v[8:9], v[8:9], v[64:65]
	s_waitcnt lgkmcnt(1)
	v_sub_f32_e32 v11, v69, v11
	v_mul_f32_e32 v11, v10, v11
	v_pk_add_f32 v[8:9], v[8:9], v[66:67]
	s_waitcnt lgkmcnt(0)
	v_mul_f32_e32 v11, v11, v12
	v_pk_add_f32 v[8:9], v[8:9], v[10:11]
	v_mov_b64_e32 v[10:11], s[16:17]
	v_cmp_lt_i64_e32 vcc, s[6:7], v[10:11]
	s_cbranch_vccz .LBB50_10
.LBB50_7:                               ; =>This Inner Loop Header: Depth=1
	v_mov_b32_e32 v46, 0
	v_mov_b32_e32 v47, 0
	s_and_saveexec_b64 s[36:37], s[0:1]
	s_cbranch_execz .LBB50_6
; %bb.8:                                ;   in Loop: Header=BB50_7 Depth=1
	v_cmp_gt_i64_e32 vcc, s[16:17], v[2:3]
	v_mov_b32_e32 v47, 0
	v_mov_b32_e32 v46, 0
	s_and_saveexec_b64 s[38:39], vcc
	s_cbranch_execz .LBB50_5
; %bb.9:                                ;   in Loop: Header=BB50_7 Depth=1
	v_lshl_add_u64 v[12:13], s[12:13], 0, v[4:5]
	v_lshl_add_u64 v[10:11], s[14:15], 0, v[4:5]
	global_load_dword v47, v[12:13], off
	global_load_dword v46, v[10:11], off
	s_branch .LBB50_5
.LBB50_10:
	v_mov_b32_e32 v2, v1
.LBB50_11:
	s_load_dword s5, s[24:25], 0xc
	s_mov_b32 s3, 0
	v_mov_b32_e32 v1, 0
	s_lshl_b64 s[0:1], s[2:3], 6
	v_lshl_add_u64 v[4:5], s[0:1], 0, v[0:1]
	s_waitcnt lgkmcnt(0)
	s_lshr_b32 s0, s5, 16
	v_mov_b32_e32 v3, v1
	v_mov_b32_e32 v0, s4
	v_mad_u64_u32 v[0:1], s[0:1], s0, v0, v[2:3]
	s_cmp_eq_u64 s[20:21], 0
	v_mul_lo_u32 v1, v1, s18
	v_mul_lo_u32 v2, v0, s19
	s_cbranch_scc1 .LBB50_13
; %bb.12:
	v_mad_u64_u32 v[6:7], s[0:1], v0, s18, 0
	v_add3_u32 v7, v7, v2, v1
	v_lshl_add_u64 v[6:7], v[6:7], 2, s[20:21]
	v_lshl_add_u64 v[6:7], v[4:5], 2, v[6:7]
	global_store_dword v[6:7], v9, off
.LBB50_13:
	s_cmp_eq_u64 s[22:23], 0
	s_cbranch_scc1 .LBB50_15
; %bb.14:
	v_mad_u64_u32 v[6:7], s[0:1], v0, s18, 0
	v_add3_u32 v7, v7, v2, v1
	v_lshl_add_u64 v[0:1], v[6:7], 2, s[22:23]
	v_lshl_add_u64 v[0:1], v[4:5], 2, v[0:1]
	global_store_dword v[0:1], v8, off
.LBB50_15:
	s_endpgm
	.section	.rodata,"a",@progbits
	.p2align	6, 0x0
	.amdhsa_kernel _ZN2at6native12_GLOBAL__N_135GammaBetaBackwardCUDAKernelTemplateIffLj64ELj1ELj32ELb1ELb1ELb0EEEvllPKT_S5_PKT0_S8_PS3_S9_
		.amdhsa_group_segment_fixed_size 0
		.amdhsa_private_segment_fixed_size 0
		.amdhsa_kernarg_size 320
		.amdhsa_user_sgpr_count 2
		.amdhsa_user_sgpr_dispatch_ptr 0
		.amdhsa_user_sgpr_queue_ptr 0
		.amdhsa_user_sgpr_kernarg_segment_ptr 1
		.amdhsa_user_sgpr_dispatch_id 0
		.amdhsa_user_sgpr_kernarg_preload_length 0
		.amdhsa_user_sgpr_kernarg_preload_offset 0
		.amdhsa_user_sgpr_private_segment_size 0
		.amdhsa_uses_dynamic_stack 0
		.amdhsa_enable_private_segment 0
		.amdhsa_system_sgpr_workgroup_id_x 1
		.amdhsa_system_sgpr_workgroup_id_y 1
		.amdhsa_system_sgpr_workgroup_id_z 0
		.amdhsa_system_sgpr_workgroup_info 0
		.amdhsa_system_vgpr_workitem_id 1
		.amdhsa_next_free_vgpr 71
		.amdhsa_next_free_sgpr 40
		.amdhsa_accum_offset 72
		.amdhsa_reserve_vcc 1
		.amdhsa_float_round_mode_32 0
		.amdhsa_float_round_mode_16_64 0
		.amdhsa_float_denorm_mode_32 3
		.amdhsa_float_denorm_mode_16_64 3
		.amdhsa_dx10_clamp 1
		.amdhsa_ieee_mode 1
		.amdhsa_fp16_overflow 0
		.amdhsa_tg_split 0
		.amdhsa_exception_fp_ieee_invalid_op 0
		.amdhsa_exception_fp_denorm_src 0
		.amdhsa_exception_fp_ieee_div_zero 0
		.amdhsa_exception_fp_ieee_overflow 0
		.amdhsa_exception_fp_ieee_underflow 0
		.amdhsa_exception_fp_ieee_inexact 0
		.amdhsa_exception_int_div_zero 0
	.end_amdhsa_kernel
	.section	.text._ZN2at6native12_GLOBAL__N_135GammaBetaBackwardCUDAKernelTemplateIffLj64ELj1ELj32ELb1ELb1ELb0EEEvllPKT_S5_PKT0_S8_PS3_S9_,"axG",@progbits,_ZN2at6native12_GLOBAL__N_135GammaBetaBackwardCUDAKernelTemplateIffLj64ELj1ELj32ELb1ELb1ELb0EEEvllPKT_S5_PKT0_S8_PS3_S9_,comdat
.Lfunc_end50:
	.size	_ZN2at6native12_GLOBAL__N_135GammaBetaBackwardCUDAKernelTemplateIffLj64ELj1ELj32ELb1ELb1ELb0EEEvllPKT_S5_PKT0_S8_PS3_S9_, .Lfunc_end50-_ZN2at6native12_GLOBAL__N_135GammaBetaBackwardCUDAKernelTemplateIffLj64ELj1ELj32ELb1ELb1ELb0EEEvllPKT_S5_PKT0_S8_PS3_S9_
                                        ; -- End function
	.set _ZN2at6native12_GLOBAL__N_135GammaBetaBackwardCUDAKernelTemplateIffLj64ELj1ELj32ELb1ELb1ELb0EEEvllPKT_S5_PKT0_S8_PS3_S9_.num_vgpr, 71
	.set _ZN2at6native12_GLOBAL__N_135GammaBetaBackwardCUDAKernelTemplateIffLj64ELj1ELj32ELb1ELb1ELb0EEEvllPKT_S5_PKT0_S8_PS3_S9_.num_agpr, 0
	.set _ZN2at6native12_GLOBAL__N_135GammaBetaBackwardCUDAKernelTemplateIffLj64ELj1ELj32ELb1ELb1ELb0EEEvllPKT_S5_PKT0_S8_PS3_S9_.numbered_sgpr, 40
	.set _ZN2at6native12_GLOBAL__N_135GammaBetaBackwardCUDAKernelTemplateIffLj64ELj1ELj32ELb1ELb1ELb0EEEvllPKT_S5_PKT0_S8_PS3_S9_.num_named_barrier, 0
	.set _ZN2at6native12_GLOBAL__N_135GammaBetaBackwardCUDAKernelTemplateIffLj64ELj1ELj32ELb1ELb1ELb0EEEvllPKT_S5_PKT0_S8_PS3_S9_.private_seg_size, 0
	.set _ZN2at6native12_GLOBAL__N_135GammaBetaBackwardCUDAKernelTemplateIffLj64ELj1ELj32ELb1ELb1ELb0EEEvllPKT_S5_PKT0_S8_PS3_S9_.uses_vcc, 1
	.set _ZN2at6native12_GLOBAL__N_135GammaBetaBackwardCUDAKernelTemplateIffLj64ELj1ELj32ELb1ELb1ELb0EEEvllPKT_S5_PKT0_S8_PS3_S9_.uses_flat_scratch, 0
	.set _ZN2at6native12_GLOBAL__N_135GammaBetaBackwardCUDAKernelTemplateIffLj64ELj1ELj32ELb1ELb1ELb0EEEvllPKT_S5_PKT0_S8_PS3_S9_.has_dyn_sized_stack, 0
	.set _ZN2at6native12_GLOBAL__N_135GammaBetaBackwardCUDAKernelTemplateIffLj64ELj1ELj32ELb1ELb1ELb0EEEvllPKT_S5_PKT0_S8_PS3_S9_.has_recursion, 0
	.set _ZN2at6native12_GLOBAL__N_135GammaBetaBackwardCUDAKernelTemplateIffLj64ELj1ELj32ELb1ELb1ELb0EEEvllPKT_S5_PKT0_S8_PS3_S9_.has_indirect_call, 0
	.section	.AMDGPU.csdata,"",@progbits
; Kernel info:
; codeLenInByte = 3340
; TotalNumSgprs: 46
; NumVgprs: 71
; NumAgprs: 0
; TotalNumVgprs: 71
; ScratchSize: 0
; MemoryBound: 0
; FloatMode: 240
; IeeeMode: 1
; LDSByteSize: 0 bytes/workgroup (compile time only)
; SGPRBlocks: 5
; VGPRBlocks: 8
; NumSGPRsForWavesPerEU: 46
; NumVGPRsForWavesPerEU: 71
; AccumOffset: 72
; Occupancy: 7
; WaveLimiterHint : 0
; COMPUTE_PGM_RSRC2:SCRATCH_EN: 0
; COMPUTE_PGM_RSRC2:USER_SGPR: 2
; COMPUTE_PGM_RSRC2:TRAP_HANDLER: 0
; COMPUTE_PGM_RSRC2:TGID_X_EN: 1
; COMPUTE_PGM_RSRC2:TGID_Y_EN: 1
; COMPUTE_PGM_RSRC2:TGID_Z_EN: 0
; COMPUTE_PGM_RSRC2:TIDIG_COMP_CNT: 1
; COMPUTE_PGM_RSRC3_GFX90A:ACCUM_OFFSET: 17
; COMPUTE_PGM_RSRC3_GFX90A:TG_SPLIT: 0
	.section	.text._ZN2at6native12_GLOBAL__N_135GammaBetaBackwardCUDAKernelTemplateIffLj64ELj1ELj32ELb1ELb0ELb0EEEvllPKT_S5_PKT0_S8_PS3_S9_,"axG",@progbits,_ZN2at6native12_GLOBAL__N_135GammaBetaBackwardCUDAKernelTemplateIffLj64ELj1ELj32ELb1ELb0ELb0EEEvllPKT_S5_PKT0_S8_PS3_S9_,comdat
	.globl	_ZN2at6native12_GLOBAL__N_135GammaBetaBackwardCUDAKernelTemplateIffLj64ELj1ELj32ELb1ELb0ELb0EEEvllPKT_S5_PKT0_S8_PS3_S9_ ; -- Begin function _ZN2at6native12_GLOBAL__N_135GammaBetaBackwardCUDAKernelTemplateIffLj64ELj1ELj32ELb1ELb0ELb0EEEvllPKT_S5_PKT0_S8_PS3_S9_
	.p2align	8
	.type	_ZN2at6native12_GLOBAL__N_135GammaBetaBackwardCUDAKernelTemplateIffLj64ELj1ELj32ELb1ELb0ELb0EEEvllPKT_S5_PKT0_S8_PS3_S9_,@function
_ZN2at6native12_GLOBAL__N_135GammaBetaBackwardCUDAKernelTemplateIffLj64ELj1ELj32ELb1ELb0ELb0EEEvllPKT_S5_PKT0_S8_PS3_S9_: ; @_ZN2at6native12_GLOBAL__N_135GammaBetaBackwardCUDAKernelTemplateIffLj64ELj1ELj32ELb1ELb0ELb0EEEvllPKT_S5_PKT0_S8_PS3_S9_
; %bb.0:
	s_load_dwordx8 s[12:19], s[0:1], 0x0
	s_load_dwordx4 s[20:23], s[0:1], 0x20
	s_mov_b32 s8, s3
	s_lshl_b32 s3, s2, 6
	s_mov_b32 s11, 0
	s_lshl_b32 s10, s8, 5
	s_or_b32 s4, s3, 63
	v_mov_b64_e32 v[2:3], s[10:11]
	v_mov_b32_e32 v36, s4
	v_mov_b32_e32 v37, 0
	s_waitcnt lgkmcnt(0)
	v_cmp_gt_i64_e64 s[4:5], s[12:13], v[2:3]
	v_cmp_le_i64_e32 vcc, s[14:15], v[36:37]
	s_nop 0
	v_cndmask_b32_e64 v1, 0, 1, s[4:5]
	v_cmp_ne_u32_e64 s[4:5], 1, v1
	s_cbranch_vccz .LBB51_144
; %bb.1:
	s_and_b64 vcc, exec, s[4:5]
	v_mov_b32_e32 v36, 0
	s_cbranch_vccnz .LBB51_146
; %bb.2:
	v_and_b32_e32 v172, 0x3ff, v0
	v_mov_b32_e32 v2, 0
	v_bfe_u32 v173, v0, 10, 10
	v_add_u32_e32 v4, s3, v172
	v_mov_b32_e32 v5, v2
	v_mov_b32_e32 v220, v0
	v_lshlrev_b32_e32 v0, 5, v173
	v_mov_b32_e32 v1, v2
	v_cmp_gt_i64_e64 s[6:7], s[14:15], v[4:5]
	v_lshlrev_b64 v[38:39], 2, v[4:5]
	v_lshl_add_u64 v[4:5], v[0:1], 0, s[10:11]
	v_mul_lo_u32 v3, s15, v4
	v_mul_lo_u32 v8, s14, v5
	v_mad_u64_u32 v[6:7], s[28:29], s14, v4, 0
	v_add3_u32 v7, v7, v8, v3
	v_lshlrev_b64 v[6:7], 2, v[6:7]
	v_lshl_add_u64 v[40:41], s[16:17], 0, v[6:7]
	v_lshl_add_u64 v[42:43], s[18:19], 0, v[6:7]
	v_lshl_add_u64 v[6:7], v[4:5], 0, 31
	v_mul_lo_u32 v9, s15, v6
	v_mul_lo_u32 v10, s14, v7
	v_mad_u64_u32 v[6:7], s[34:35], s14, v6, 0
	v_add3_u32 v7, v7, v10, v9
	v_lshlrev_b64 v[6:7], 2, v[6:7]
	v_lshl_add_u64 v[44:45], s[16:17], 0, v[6:7]
	v_lshl_add_u64 v[46:47], s[18:19], 0, v[6:7]
	;; [unrolled: 8-line block ×30, first 2 shown]
	v_lshl_add_u64 v[6:7], v[4:5], 0, 2
	s_load_dword s9, s[0:1], 0x44
	v_mul_lo_u32 v5, s15, v6
	v_mul_lo_u32 v9, s14, v7
	v_mad_u64_u32 v[6:7], s[34:35], s14, v6, 0
	v_add3_u32 v7, v7, v9, v5
	v_lshlrev_b64 v[6:7], 2, v[6:7]
	v_lshl_add_u64 v[160:161], s[16:17], 0, v[6:7]
	v_lshl_add_u64 v[162:163], s[18:19], 0, v[6:7]
	v_mov_b64_e32 v[6:7], s[14:15]
	s_add_u32 s26, s0, 64
	v_mad_u64_u32 v[4:5], s[34:35], s14, v4, v[6:7]
	s_addc_u32 s27, s1, 0
	s_waitcnt lgkmcnt(0)
	s_lshl_b32 s24, s9, 5
	v_add3_u32 v5, v3, v5, v8
	v_mbcnt_lo_u32_b32 v3, -1, 0
	s_mul_i32 s9, s15, s24
	s_mul_hi_u32 s28, s14, s24
	v_mbcnt_hi_u32_b32 v3, -1, v3
	s_add_i32 s29, s28, s9
	s_mul_i32 s28, s14, s24
	v_lshlrev_b64 v[4:5], 2, v[4:5]
	v_lshlrev_b32_e32 v3, 2, v3
	s_mov_b32 s25, 0
	s_lshl_b64 s[28:29], s[28:29], 2
	s_mov_b64 s[30:31], 31
	v_lshl_add_u64 v[164:165], s[16:17], 0, v[4:5]
	v_lshl_add_u64 v[166:167], s[18:19], 0, v[4:5]
	v_and_b32_e32 v174, 0x100, v3
	v_mov_b32_e32 v37, v2
	v_mov_b32_e32 v36, v2
	s_mov_b64 s[34:35], s[10:11]
	s_branch .LBB51_5
.LBB51_3:                               ;   in Loop: Header=BB51_5 Depth=1
	s_or_b64 exec, exec, s[36:37]
	s_waitcnt vmcnt(1)
	ds_bpermute_b32 v204, v174, v171
	s_waitcnt vmcnt(0)
	ds_bpermute_b32 v205, v174, v170
	ds_bpermute_b32 v208, v174, v171 offset:8
	ds_bpermute_b32 v207, v174, v171 offset:4
	;; [unrolled: 1-line block ×3, first 2 shown]
	s_waitcnt lgkmcnt(4)
	v_sub_f32_e32 v175, v175, v204
	v_mul_f32_e32 v175, v4, v175
	s_waitcnt lgkmcnt(3)
	v_mul_f32_e32 v205, v175, v205
	ds_bpermute_b32 v175, v174, v170 offset:8
	ds_bpermute_b32 v204, v174, v171 offset:12
	s_waitcnt lgkmcnt(4)
	v_sub_f32_e32 v168, v168, v208
	v_mul_f32_e32 v168, v6, v168
	s_waitcnt lgkmcnt(3)
	v_sub_f32_e32 v169, v169, v207
	s_waitcnt lgkmcnt(1)
	v_mul_f32_e32 v207, v168, v175
	ds_bpermute_b32 v168, v174, v170 offset:12
	ds_bpermute_b32 v175, v174, v171 offset:16
	s_waitcnt lgkmcnt(2)
	v_sub_f32_e32 v177, v177, v204
	ds_bpermute_b32 v204, v174, v170 offset:16
	v_mul_f32_e32 v177, v7, v177
	s_waitcnt lgkmcnt(2)
	v_mul_f32_e32 v177, v177, v168
	s_waitcnt lgkmcnt(1)
	v_sub_f32_e32 v168, v176, v175
	ds_bpermute_b32 v175, v174, v171 offset:20
	v_mul_f32_e32 v168, v8, v168
	s_waitcnt lgkmcnt(1)
	v_mul_f32_e32 v209, v168, v204
	ds_bpermute_b32 v168, v174, v170 offset:20
	ds_bpermute_b32 v176, v174, v171 offset:24
	;; [unrolled: 1-line block ×3, first 2 shown]
	s_waitcnt lgkmcnt(3)
	v_sub_f32_e32 v175, v179, v175
	v_mul_f32_e32 v175, v9, v175
	s_waitcnt lgkmcnt(2)
	v_mul_f32_e32 v179, v175, v168
	s_waitcnt lgkmcnt(1)
	v_sub_f32_e32 v168, v178, v176
	ds_bpermute_b32 v175, v174, v171 offset:28
	v_mul_f32_e32 v168, v10, v168
	s_waitcnt lgkmcnt(1)
	v_mul_f32_e32 v211, v168, v204
	ds_bpermute_b32 v168, v174, v170 offset:28
	ds_bpermute_b32 v176, v174, v171 offset:32
	;; [unrolled: 1-line block ×3, first 2 shown]
	s_waitcnt lgkmcnt(3)
	v_sub_f32_e32 v175, v181, v175
	v_mul_f32_e32 v175, v11, v175
	s_waitcnt lgkmcnt(2)
	v_mul_f32_e32 v181, v175, v168
	s_waitcnt lgkmcnt(1)
	v_sub_f32_e32 v168, v180, v176
	ds_bpermute_b32 v175, v174, v171 offset:36
	v_mul_f32_e32 v168, v12, v168
	s_waitcnt lgkmcnt(1)
	v_mul_f32_e32 v213, v168, v178
	ds_bpermute_b32 v168, v174, v170 offset:36
	ds_bpermute_b32 v176, v174, v171 offset:40
	v_mul_f32_e32 v169, v5, v169
	v_mul_f32_e32 v169, v169, v206
	s_waitcnt lgkmcnt(2)
	v_sub_f32_e32 v175, v185, v175
	v_mov_b32_e32 v206, v6
	ds_bpermute_b32 v6, v174, v171 offset:44
	v_mul_f32_e32 v175, v13, v175
	s_waitcnt lgkmcnt(2)
	v_mul_f32_e32 v185, v175, v168
	s_waitcnt lgkmcnt(1)
	v_sub_f32_e32 v168, v184, v176
	v_mov_b32_e32 v176, v7
	ds_bpermute_b32 v7, v174, v170 offset:44
	v_mov_b32_e32 v208, v8
	s_waitcnt lgkmcnt(1)
	v_sub_f32_e32 v6, v183, v6
	ds_bpermute_b32 v8, v174, v171 offset:48
	v_mul_f32_e32 v6, v15, v6
	ds_bpermute_b32 v178, v174, v170 offset:40
	v_mov_b32_e32 v210, v10
	s_waitcnt lgkmcnt(2)
	v_mul_f32_e32 v7, v6, v7
	ds_bpermute_b32 v6, v174, v170 offset:48
	ds_bpermute_b32 v10, v174, v171 offset:52
	v_mov_b32_e32 v180, v11
	ds_bpermute_b32 v11, v174, v170 offset:52
	s_waitcnt lgkmcnt(4)
	v_sub_f32_e32 v8, v182, v8
	v_mul_f32_e32 v168, v14, v168
	v_mul_f32_e32 v8, v16, v8
	s_waitcnt lgkmcnt(3)
	v_mul_f32_e32 v215, v168, v178
	v_mov_b32_e32 v178, v9
	s_waitcnt lgkmcnt(2)
	v_mul_f32_e32 v9, v8, v6
	s_waitcnt lgkmcnt(1)
	v_sub_f32_e32 v6, v187, v10
	ds_bpermute_b32 v8, v174, v171 offset:56
	v_mul_f32_e32 v6, v17, v6
	s_waitcnt lgkmcnt(1)
	v_mul_f32_e32 v11, v6, v11
	ds_bpermute_b32 v6, v174, v170 offset:56
	ds_bpermute_b32 v10, v174, v171 offset:60
	v_mov_b32_e32 v212, v12
	ds_bpermute_b32 v12, v174, v170 offset:60
	s_waitcnt lgkmcnt(3)
	v_sub_f32_e32 v8, v186, v8
	v_mul_f32_e32 v8, v18, v8
	v_mov_b32_e32 v204, v4
	v_mov_b32_e32 v184, v13
	s_waitcnt lgkmcnt(2)
	v_mul_f32_e32 v13, v8, v6
	s_waitcnt lgkmcnt(1)
	v_sub_f32_e32 v6, v189, v10
	ds_bpermute_b32 v8, v174, v171 offset:64
	v_pk_add_f32 v[36:37], v[36:37], v[204:205]
	v_mov_b32_e32 v168, v5
	v_mul_f32_e32 v6, v19, v6
	v_pk_add_f32 v[4:5], v[168:169], v[36:37]
	s_waitcnt lgkmcnt(1)
	v_mul_f32_e32 v37, v6, v12
	ds_bpermute_b32 v6, v174, v170 offset:64
	ds_bpermute_b32 v10, v174, v171 offset:68
	;; [unrolled: 1-line block ×3, first 2 shown]
	s_waitcnt lgkmcnt(3)
	v_sub_f32_e32 v8, v188, v8
	v_mul_f32_e32 v8, v20, v8
	s_waitcnt lgkmcnt(2)
	v_mul_f32_e32 v169, v8, v6
	s_waitcnt lgkmcnt(1)
	v_sub_f32_e32 v6, v192, v10
	ds_bpermute_b32 v8, v174, v171 offset:72
	v_pk_add_f32 v[4:5], v[206:207], v[4:5]
	v_mul_f32_e32 v6, v21, v6
	v_pk_add_f32 v[4:5], v[176:177], v[4:5]
	s_waitcnt lgkmcnt(1)
	v_mul_f32_e32 v177, v6, v12
	ds_bpermute_b32 v6, v174, v170 offset:72
	ds_bpermute_b32 v10, v174, v171 offset:76
	;; [unrolled: 1-line block ×3, first 2 shown]
	s_waitcnt lgkmcnt(3)
	v_sub_f32_e32 v8, v190, v8
	v_pk_add_f32 v[4:5], v[208:209], v[4:5]
	v_mul_f32_e32 v8, v22, v8
	v_pk_add_f32 v[4:5], v[178:179], v[4:5]
	s_waitcnt lgkmcnt(2)
	v_mul_f32_e32 v179, v8, v6
	s_waitcnt lgkmcnt(1)
	v_sub_f32_e32 v6, v195, v10
	ds_bpermute_b32 v8, v174, v171 offset:80
	v_pk_add_f32 v[4:5], v[210:211], v[4:5]
	v_mul_f32_e32 v6, v23, v6
	v_pk_add_f32 v[4:5], v[180:181], v[4:5]
	s_waitcnt lgkmcnt(1)
	v_mul_f32_e32 v181, v6, v12
	ds_bpermute_b32 v6, v174, v170 offset:80
	ds_bpermute_b32 v10, v174, v171 offset:84
	;; [unrolled: 1-line block ×3, first 2 shown]
	s_waitcnt lgkmcnt(3)
	v_sub_f32_e32 v8, v193, v8
	v_mul_f32_e32 v8, v24, v8
	v_pk_add_f32 v[4:5], v[212:213], v[4:5]
	s_waitcnt lgkmcnt(2)
	v_mul_f32_e32 v183, v8, v6
	s_waitcnt lgkmcnt(1)
	v_sub_f32_e32 v6, v198, v10
	v_pk_add_f32 v[4:5], v[184:185], v[4:5]
	v_mov_b32_e32 v214, v14
	v_mul_f32_e32 v6, v25, v6
	v_pk_add_f32 v[4:5], v[214:215], v[4:5]
	s_waitcnt lgkmcnt(0)
	v_mul_f32_e32 v185, v6, v12
	v_mov_b32_e32 v6, v15
	v_pk_add_f32 v[4:5], v[6:7], v[4:5]
	ds_bpermute_b32 v6, v174, v171 offset:88
	v_mov_b32_e32 v8, v16
	v_pk_add_f32 v[4:5], v[8:9], v[4:5]
	ds_bpermute_b32 v7, v174, v170 offset:88
	ds_bpermute_b32 v8, v174, v171 offset:92
	ds_bpermute_b32 v9, v174, v170 offset:92
	s_waitcnt lgkmcnt(3)
	v_sub_f32_e32 v6, v191, v6
	v_mul_f32_e32 v6, v26, v6
	s_waitcnt lgkmcnt(2)
	v_mul_f32_e32 v7, v6, v7
	s_waitcnt lgkmcnt(1)
	v_sub_f32_e32 v6, v196, v8
	ds_bpermute_b32 v8, v174, v171 offset:96
	v_mov_b32_e32 v10, v17
	v_mul_f32_e32 v6, v27, v6
	v_pk_add_f32 v[4:5], v[10:11], v[4:5]
	s_waitcnt lgkmcnt(1)
	v_mul_f32_e32 v9, v6, v9
	ds_bpermute_b32 v6, v174, v170 offset:96
	ds_bpermute_b32 v10, v174, v171 offset:100
	v_mov_b32_e32 v12, v18
	v_pk_add_f32 v[4:5], v[12:13], v[4:5]
	ds_bpermute_b32 v12, v174, v170 offset:100
	s_waitcnt lgkmcnt(3)
	v_sub_f32_e32 v8, v194, v8
	v_mul_f32_e32 v8, v28, v8
	s_waitcnt lgkmcnt(2)
	v_mul_f32_e32 v11, v8, v6
	s_waitcnt lgkmcnt(1)
	v_sub_f32_e32 v6, v199, v10
	ds_bpermute_b32 v8, v174, v171 offset:104
	v_mul_f32_e32 v6, v29, v6
	s_waitcnt lgkmcnt(1)
	v_mul_f32_e32 v13, v6, v12
	ds_bpermute_b32 v6, v174, v170 offset:104
	ds_bpermute_b32 v10, v174, v171 offset:108
	;; [unrolled: 1-line block ×3, first 2 shown]
	s_waitcnt lgkmcnt(3)
	v_sub_f32_e32 v8, v197, v8
	v_mul_f32_e32 v8, v30, v8
	s_waitcnt lgkmcnt(2)
	v_mul_f32_e32 v15, v8, v6
	s_waitcnt lgkmcnt(1)
	v_sub_f32_e32 v6, v202, v10
	ds_bpermute_b32 v8, v174, v171 offset:112
	v_mul_f32_e32 v6, v31, v6
	v_mov_b32_e32 v36, v19
	s_waitcnt lgkmcnt(1)
	v_mul_f32_e32 v17, v6, v12
	ds_bpermute_b32 v6, v174, v170 offset:112
	ds_bpermute_b32 v10, v174, v171 offset:116
	v_pk_add_f32 v[4:5], v[36:37], v[4:5]
	v_mov_b32_e32 v168, v20
	v_pk_add_f32 v[4:5], v[168:169], v[4:5]
	v_mov_b32_e32 v176, v21
	ds_bpermute_b32 v12, v174, v170 offset:116
	v_pk_add_f32 v[4:5], v[176:177], v[4:5]
	v_mov_b32_e32 v178, v22
	s_waitcnt lgkmcnt(3)
	v_sub_f32_e32 v8, v200, v8
	v_pk_add_f32 v[4:5], v[178:179], v[4:5]
	v_mov_b32_e32 v180, v23
	v_mul_f32_e32 v8, v32, v8
	v_pk_add_f32 v[4:5], v[180:181], v[4:5]
	v_mov_b32_e32 v182, v24
	s_waitcnt lgkmcnt(2)
	v_mul_f32_e32 v19, v8, v6
	s_waitcnt lgkmcnt(1)
	v_sub_f32_e32 v6, v203, v10
	v_pk_add_f32 v[4:5], v[182:183], v[4:5]
	v_mov_b32_e32 v184, v25
	v_mul_f32_e32 v6, v33, v6
	v_pk_add_f32 v[4:5], v[184:185], v[4:5]
	s_waitcnt lgkmcnt(0)
	v_mul_f32_e32 v21, v6, v12
	v_mov_b32_e32 v6, v26
	v_pk_add_f32 v[4:5], v[6:7], v[4:5]
	v_mov_b32_e32 v8, v27
	v_pk_add_f32 v[4:5], v[8:9], v[4:5]
	;; [unrolled: 2-line block ×6, first 2 shown]
	v_mov_b32_e32 v18, v32
	ds_bpermute_b32 v8, v174, v171 offset:120
	v_pk_add_f32 v[4:5], v[18:19], v[4:5]
	v_mov_b32_e32 v20, v33
	v_pk_add_f32 v[6:7], v[20:21], v[4:5]
	ds_bpermute_b32 v5, v174, v170 offset:120
	ds_bpermute_b32 v175, v174, v170 offset:124
	;; [unrolled: 1-line block ×3, first 2 shown]
	s_waitcnt lgkmcnt(3)
	v_sub_f32_e32 v8, v201, v8
	v_mul_f32_e32 v8, v34, v8
	s_waitcnt lgkmcnt(2)
	v_mul_f32_e32 v9, v8, v5
	v_mov_b32_e32 v8, v34
	v_pk_add_f32 v[170:171], v[8:9], v[6:7]
.LBB51_4:                               ;   in Loop: Header=BB51_5 Depth=1
	s_waitcnt lgkmcnt(0)
	v_sub_f32_e32 v3, v3, v4
	v_mul_f32_e32 v3, v35, v3
	v_mul_f32_e32 v5, v3, v175
	v_mov_b32_e32 v4, v35
	s_add_u32 s34, s34, s24
	v_pk_add_f32 v[36:37], v[170:171], v[4:5]
	s_addc_u32 s35, s35, 0
	v_mov_b64_e32 v[4:5], s[12:13]
	s_add_u32 s30, s30, s24
	v_cmp_lt_i64_e32 vcc, s[34:35], v[4:5]
	v_lshl_add_u64 v[40:41], v[40:41], 0, s[28:29]
	v_lshl_add_u64 v[42:43], v[42:43], 0, s[28:29]
	;; [unrolled: 1-line block ×65, first 2 shown]
	s_addc_u32 s31, 0, s31
	s_cbranch_vccz .LBB51_145
.LBB51_5:                               ; =>This Inner Loop Header: Depth=1
	s_add_u32 s36, s10, s30
	s_addc_u32 s37, 0, s31
	v_mov_b64_e32 v[4:5], s[12:13]
	v_cmp_ge_i64_e32 vcc, s[36:37], v[4:5]
	v_lshl_add_u64 v[168:169], s[10:11], 0, v[0:1]
	s_mov_b64 s[36:37], -1
	s_and_b64 vcc, exec, vcc
                                        ; implicit-def: $vgpr4_vgpr5_vgpr6_vgpr7_vgpr8_vgpr9_vgpr10_vgpr11_vgpr12_vgpr13_vgpr14_vgpr15_vgpr16_vgpr17_vgpr18_vgpr19_vgpr20_vgpr21_vgpr22_vgpr23_vgpr24_vgpr25_vgpr26_vgpr27_vgpr28_vgpr29_vgpr30_vgpr31_vgpr32_vgpr33_vgpr34_vgpr35
                                        ; implicit-def: $vgpr170_vgpr171
                                        ; implicit-def: $vgpr175
                                        ; implicit-def: $vgpr3
                                        ; implicit-def: $vgpr4
	s_cbranch_vccz .LBB51_75
; %bb.6:                                ;   in Loop: Header=BB51_5 Depth=1
	s_load_dword s9, s[26:27], 0xc
	v_mov_b32_e32 v175, 0
	v_mov_b32_e32 v170, 0
	;; [unrolled: 1-line block ×3, first 2 shown]
	s_waitcnt lgkmcnt(0)
	s_and_b32 s9, s9, 0xffff
	v_mad_u32_u24 v3, v173, s9, v172
	v_and_b32_e32 v4, 63, v3
	v_cmp_gt_u32_e32 vcc, 32, v4
	s_and_saveexec_b64 s[36:37], vcc
	s_cbranch_execz .LBB51_10
; %bb.7:                                ;   in Loop: Header=BB51_5 Depth=1
	v_mov_b32_e32 v5, v2
	v_lshl_add_u64 v[4:5], v[168:169], 0, v[4:5]
	v_cmp_gt_i64_e32 vcc, s[12:13], v[4:5]
	v_mov_b32_e32 v171, 0
	v_mov_b32_e32 v170, 0
	s_and_saveexec_b64 s[38:39], vcc
	s_cbranch_execz .LBB51_9
; %bb.8:                                ;   in Loop: Header=BB51_5 Depth=1
	v_lshlrev_b64 v[4:5], 2, v[4:5]
	v_lshl_add_u64 v[6:7], s[22:23], 0, v[4:5]
	v_lshl_add_u64 v[4:5], s[20:21], 0, v[4:5]
	global_load_dword v171, v[4:5], off
	global_load_dword v170, v[6:7], off
.LBB51_9:                               ;   in Loop: Header=BB51_5 Depth=1
	s_or_b64 exec, exec, s[38:39]
.LBB51_10:                              ;   in Loop: Header=BB51_5 Depth=1
	s_or_b64 exec, exec, s[36:37]
	v_mov_b32_e32 v4, v2
	v_mov_b32_e32 v5, v2
	;; [unrolled: 1-line block ×30, first 2 shown]
	v_cmp_gt_i64_e32 vcc, s[12:13], v[168:169]
	v_mov_b32_e32 v3, v2
	v_mov_b64_e32 v[34:35], v[32:33]
	s_and_b64 s[38:39], s[6:7], vcc
	v_mov_b64_e32 v[32:33], v[30:31]
	v_mov_b64_e32 v[30:31], v[28:29]
	;; [unrolled: 1-line block ×15, first 2 shown]
	s_and_saveexec_b64 s[36:37], s[38:39]
	s_cbranch_execz .LBB51_12
; %bb.11:                               ;   in Loop: Header=BB51_5 Depth=1
	v_lshl_add_u64 v[4:5], v[40:41], 0, v[38:39]
	v_lshl_add_u64 v[6:7], v[42:43], 0, v[38:39]
	global_load_dword v4, v[4:5], off
	v_mov_b32_e32 v5, v2
	global_load_dword v175, v[6:7], off
	v_mov_b32_e32 v6, v2
	v_mov_b32_e32 v7, v2
	;; [unrolled: 1-line block ×30, first 2 shown]
.LBB51_12:                              ;   in Loop: Header=BB51_5 Depth=1
	s_or_b64 exec, exec, s[36:37]
	v_lshl_add_u64 v[176:177], v[168:169], 0, 1
	v_cmp_gt_i64_e32 vcc, s[12:13], v[176:177]
	s_and_b64 s[38:39], s[6:7], vcc
	v_mov_b32_e32 v176, 0
	v_mov_b32_e32 v177, 0
	s_and_saveexec_b64 s[36:37], s[38:39]
	s_cbranch_execz .LBB51_14
; %bb.13:                               ;   in Loop: Header=BB51_5 Depth=1
	v_lshl_add_u64 v[178:179], v[164:165], 0, v[38:39]
	global_load_dword v5, v[178:179], off
	v_lshl_add_u64 v[178:179], v[166:167], 0, v[38:39]
	global_load_dword v177, v[178:179], off
.LBB51_14:                              ;   in Loop: Header=BB51_5 Depth=1
	s_or_b64 exec, exec, s[36:37]
	v_lshl_add_u64 v[178:179], v[168:169], 0, 2
	v_cmp_gt_i64_e32 vcc, s[12:13], v[178:179]
	s_and_b64 s[38:39], s[6:7], vcc
	s_and_saveexec_b64 s[36:37], s[38:39]
	s_cbranch_execz .LBB51_16
; %bb.15:                               ;   in Loop: Header=BB51_5 Depth=1
	v_lshl_add_u64 v[178:179], v[160:161], 0, v[38:39]
	global_load_dword v6, v[178:179], off
	v_lshl_add_u64 v[178:179], v[162:163], 0, v[38:39]
	global_load_dword v176, v[178:179], off
.LBB51_16:                              ;   in Loop: Header=BB51_5 Depth=1
	s_or_b64 exec, exec, s[36:37]
	v_lshl_add_u64 v[178:179], v[168:169], 0, 3
	v_cmp_gt_i64_e32 vcc, s[12:13], v[178:179]
	s_and_b64 s[38:39], s[6:7], vcc
	v_mov_b32_e32 v178, 0
	v_mov_b32_e32 v179, 0
	s_and_saveexec_b64 s[36:37], s[38:39]
	s_cbranch_execz .LBB51_18
; %bb.17:                               ;   in Loop: Header=BB51_5 Depth=1
	v_lshl_add_u64 v[180:181], v[156:157], 0, v[38:39]
	global_load_dword v7, v[180:181], off
	v_lshl_add_u64 v[180:181], v[158:159], 0, v[38:39]
	global_load_dword v179, v[180:181], off
.LBB51_18:                              ;   in Loop: Header=BB51_5 Depth=1
	s_or_b64 exec, exec, s[36:37]
	v_lshl_add_u64 v[180:181], v[168:169], 0, 4
	v_cmp_gt_i64_e32 vcc, s[12:13], v[180:181]
	s_and_b64 s[38:39], s[6:7], vcc
	s_and_saveexec_b64 s[36:37], s[38:39]
	s_cbranch_execz .LBB51_20
; %bb.19:                               ;   in Loop: Header=BB51_5 Depth=1
	v_lshl_add_u64 v[180:181], v[152:153], 0, v[38:39]
	global_load_dword v8, v[180:181], off
	v_lshl_add_u64 v[180:181], v[154:155], 0, v[38:39]
	global_load_dword v178, v[180:181], off
.LBB51_20:                              ;   in Loop: Header=BB51_5 Depth=1
	;; [unrolled: 26-line block ×15, first 2 shown]
	s_or_b64 exec, exec, s[36:37]
	v_lshl_add_u64 v[206:207], v[168:169], 0, 31
	v_cmp_gt_i64_e32 vcc, s[12:13], v[206:207]
	s_and_b64 s[38:39], s[6:7], vcc
	v_mov_b32_e32 v3, 0
	s_and_saveexec_b64 s[36:37], s[38:39]
	s_cbranch_execz .LBB51_74
; %bb.73:                               ;   in Loop: Header=BB51_5 Depth=1
	v_lshl_add_u64 v[206:207], v[44:45], 0, v[38:39]
	global_load_dword v35, v[206:207], off
	v_lshl_add_u64 v[206:207], v[46:47], 0, v[38:39]
	global_load_dword v3, v[206:207], off
.LBB51_74:                              ;   in Loop: Header=BB51_5 Depth=1
	s_or_b64 exec, exec, s[36:37]
	s_waitcnt vmcnt(1)
	ds_bpermute_b32 v206, v174, v171
	s_waitcnt vmcnt(0)
	ds_bpermute_b32 v207, v174, v170
	ds_bpermute_b32 v209, v174, v171 offset:4
	ds_bpermute_b32 v208, v174, v170 offset:4
	;; [unrolled: 1-line block ×3, first 2 shown]
	s_waitcnt lgkmcnt(4)
	v_sub_f32_e32 v175, v175, v206
	v_mul_f32_e32 v175, v4, v175
	ds_bpermute_b32 v206, v174, v170 offset:8
	s_waitcnt lgkmcnt(4)
	v_mul_f32_e32 v207, v175, v207
	s_waitcnt lgkmcnt(3)
	v_sub_f32_e32 v175, v177, v209
	v_mul_f32_e32 v175, v5, v175
	s_waitcnt lgkmcnt(2)
	v_mul_f32_e32 v177, v175, v208
	s_waitcnt lgkmcnt(1)
	v_sub_f32_e32 v175, v176, v210
	ds_bpermute_b32 v176, v174, v171 offset:12
	v_mul_f32_e32 v175, v6, v175
	s_waitcnt lgkmcnt(1)
	v_mul_f32_e32 v209, v175, v206
	ds_bpermute_b32 v175, v174, v170 offset:12
	ds_bpermute_b32 v206, v174, v171 offset:16
	ds_bpermute_b32 v208, v174, v170 offset:16
	s_waitcnt lgkmcnt(3)
	v_sub_f32_e32 v176, v179, v176
	v_mul_f32_e32 v176, v7, v176
	s_waitcnt lgkmcnt(2)
	v_mul_f32_e32 v179, v176, v175
	s_waitcnt lgkmcnt(1)
	v_sub_f32_e32 v175, v178, v206
	ds_bpermute_b32 v176, v174, v171 offset:20
	v_mul_f32_e32 v175, v8, v175
	s_waitcnt lgkmcnt(1)
	v_mul_f32_e32 v211, v175, v208
	ds_bpermute_b32 v175, v174, v170 offset:20
	ds_bpermute_b32 v178, v174, v171 offset:24
	ds_bpermute_b32 v206, v174, v170 offset:24
	;; [unrolled: 14-line block ×3, first 2 shown]
	s_waitcnt lgkmcnt(3)
	v_sub_f32_e32 v176, v183, v176
	v_mul_f32_e32 v176, v11, v176
	s_waitcnt lgkmcnt(2)
	v_mul_f32_e32 v183, v176, v175
	s_waitcnt lgkmcnt(1)
	v_sub_f32_e32 v175, v182, v178
	ds_bpermute_b32 v176, v174, v171 offset:36
	v_mul_f32_e32 v175, v12, v175
	s_waitcnt lgkmcnt(1)
	v_mul_f32_e32 v215, v175, v180
	ds_bpermute_b32 v175, v174, v170 offset:36
	ds_bpermute_b32 v178, v174, v171 offset:40
	s_waitcnt lgkmcnt(2)
	v_sub_f32_e32 v176, v187, v176
	v_mov_b32_e32 v208, v6
	ds_bpermute_b32 v6, v174, v171 offset:44
	v_mul_f32_e32 v176, v13, v176
	s_waitcnt lgkmcnt(2)
	v_mul_f32_e32 v217, v176, v175
	s_waitcnt lgkmcnt(1)
	v_sub_f32_e32 v175, v185, v178
	v_mov_b32_e32 v178, v7
	ds_bpermute_b32 v7, v174, v170 offset:44
	v_mov_b32_e32 v210, v8
	s_waitcnt lgkmcnt(1)
	v_sub_f32_e32 v6, v186, v6
	ds_bpermute_b32 v8, v174, v171 offset:48
	v_mul_f32_e32 v6, v15, v6
	ds_bpermute_b32 v180, v174, v170 offset:40
	v_mov_b32_e32 v212, v10
	s_waitcnt lgkmcnt(2)
	v_mul_f32_e32 v7, v6, v7
	ds_bpermute_b32 v6, v174, v170 offset:48
	ds_bpermute_b32 v10, v174, v171 offset:52
	v_mov_b32_e32 v182, v11
	ds_bpermute_b32 v11, v174, v170 offset:52
	s_waitcnt lgkmcnt(4)
	v_sub_f32_e32 v8, v184, v8
	v_mul_f32_e32 v175, v14, v175
	v_mul_f32_e32 v8, v16, v8
	s_waitcnt lgkmcnt(3)
	v_mul_f32_e32 v219, v175, v180
	v_mov_b32_e32 v180, v9
	s_waitcnt lgkmcnt(2)
	v_mul_f32_e32 v9, v8, v6
	s_waitcnt lgkmcnt(1)
	v_sub_f32_e32 v6, v189, v10
	ds_bpermute_b32 v8, v174, v171 offset:56
	v_mul_f32_e32 v6, v17, v6
	s_waitcnt lgkmcnt(1)
	v_mul_f32_e32 v11, v6, v11
	ds_bpermute_b32 v6, v174, v170 offset:56
	ds_bpermute_b32 v10, v174, v171 offset:60
	v_mov_b32_e32 v214, v12
	ds_bpermute_b32 v12, v174, v170 offset:60
	s_waitcnt lgkmcnt(3)
	v_sub_f32_e32 v8, v188, v8
	v_mul_f32_e32 v8, v18, v8
	v_mov_b32_e32 v206, v4
	v_mov_b32_e32 v216, v13
	s_waitcnt lgkmcnt(2)
	v_mul_f32_e32 v13, v8, v6
	s_waitcnt lgkmcnt(1)
	v_sub_f32_e32 v6, v191, v10
	ds_bpermute_b32 v8, v174, v171 offset:64
	v_pk_add_f32 v[206:207], v[36:37], v[206:207]
	v_mov_b32_e32 v176, v5
	v_mul_f32_e32 v6, v19, v6
	v_pk_add_f32 v[4:5], v[176:177], v[206:207]
	s_waitcnt lgkmcnt(1)
	v_mul_f32_e32 v177, v6, v12
	ds_bpermute_b32 v6, v174, v170 offset:64
	ds_bpermute_b32 v10, v174, v171 offset:68
	;; [unrolled: 1-line block ×3, first 2 shown]
	s_waitcnt lgkmcnt(3)
	v_sub_f32_e32 v8, v190, v8
	v_pk_add_f32 v[4:5], v[208:209], v[4:5]
	v_mul_f32_e32 v8, v20, v8
	v_pk_add_f32 v[4:5], v[178:179], v[4:5]
	s_waitcnt lgkmcnt(2)
	v_mul_f32_e32 v179, v8, v6
	s_waitcnt lgkmcnt(1)
	v_sub_f32_e32 v6, v193, v10
	ds_bpermute_b32 v8, v174, v171 offset:72
	v_pk_add_f32 v[4:5], v[210:211], v[4:5]
	v_mul_f32_e32 v6, v21, v6
	v_pk_add_f32 v[4:5], v[180:181], v[4:5]
	s_waitcnt lgkmcnt(1)
	v_mul_f32_e32 v181, v6, v12
	ds_bpermute_b32 v6, v174, v170 offset:72
	ds_bpermute_b32 v10, v174, v171 offset:76
	;; [unrolled: 1-line block ×3, first 2 shown]
	s_waitcnt lgkmcnt(3)
	v_sub_f32_e32 v8, v192, v8
	v_pk_add_f32 v[4:5], v[212:213], v[4:5]
	v_mul_f32_e32 v8, v22, v8
	v_pk_add_f32 v[4:5], v[182:183], v[4:5]
	s_waitcnt lgkmcnt(2)
	v_mul_f32_e32 v183, v8, v6
	s_waitcnt lgkmcnt(1)
	v_sub_f32_e32 v6, v196, v10
	ds_bpermute_b32 v8, v174, v171 offset:80
	v_mul_f32_e32 v6, v23, v6
	s_waitcnt lgkmcnt(1)
	v_mul_f32_e32 v185, v6, v12
	ds_bpermute_b32 v6, v174, v170 offset:80
	ds_bpermute_b32 v10, v174, v171 offset:84
	ds_bpermute_b32 v12, v174, v170 offset:84
	s_waitcnt lgkmcnt(3)
	v_sub_f32_e32 v8, v195, v8
	v_mul_f32_e32 v8, v24, v8
	v_pk_add_f32 v[4:5], v[214:215], v[4:5]
	s_waitcnt lgkmcnt(2)
	v_mul_f32_e32 v187, v8, v6
	s_waitcnt lgkmcnt(1)
	v_sub_f32_e32 v6, v199, v10
	v_pk_add_f32 v[4:5], v[216:217], v[4:5]
	v_mov_b32_e32 v218, v14
	v_mul_f32_e32 v6, v25, v6
	v_pk_add_f32 v[4:5], v[218:219], v[4:5]
	s_waitcnt lgkmcnt(0)
	v_mul_f32_e32 v189, v6, v12
	v_mov_b32_e32 v6, v15
	v_pk_add_f32 v[4:5], v[6:7], v[4:5]
	ds_bpermute_b32 v6, v174, v171 offset:88
	v_mov_b32_e32 v8, v16
	v_pk_add_f32 v[4:5], v[8:9], v[4:5]
	ds_bpermute_b32 v7, v174, v170 offset:88
	ds_bpermute_b32 v8, v174, v171 offset:92
	;; [unrolled: 1-line block ×3, first 2 shown]
	s_waitcnt lgkmcnt(3)
	v_sub_f32_e32 v6, v194, v6
	v_mul_f32_e32 v6, v26, v6
	s_waitcnt lgkmcnt(2)
	v_mul_f32_e32 v7, v6, v7
	s_waitcnt lgkmcnt(1)
	v_sub_f32_e32 v6, v198, v8
	ds_bpermute_b32 v8, v174, v171 offset:96
	v_mov_b32_e32 v10, v17
	v_mul_f32_e32 v6, v27, v6
	v_pk_add_f32 v[4:5], v[10:11], v[4:5]
	s_waitcnt lgkmcnt(1)
	v_mul_f32_e32 v9, v6, v9
	ds_bpermute_b32 v6, v174, v170 offset:96
	ds_bpermute_b32 v10, v174, v171 offset:100
	v_mov_b32_e32 v12, v18
	v_pk_add_f32 v[4:5], v[12:13], v[4:5]
	ds_bpermute_b32 v12, v174, v170 offset:100
	s_waitcnt lgkmcnt(3)
	v_sub_f32_e32 v8, v197, v8
	v_mul_f32_e32 v8, v28, v8
	s_waitcnt lgkmcnt(2)
	v_mul_f32_e32 v11, v8, v6
	s_waitcnt lgkmcnt(1)
	v_sub_f32_e32 v6, v201, v10
	ds_bpermute_b32 v8, v174, v171 offset:104
	v_mul_f32_e32 v6, v29, v6
	s_waitcnt lgkmcnt(1)
	v_mul_f32_e32 v13, v6, v12
	ds_bpermute_b32 v6, v174, v170 offset:104
	ds_bpermute_b32 v10, v174, v171 offset:108
	ds_bpermute_b32 v12, v174, v170 offset:108
	s_waitcnt lgkmcnt(3)
	v_sub_f32_e32 v8, v200, v8
	v_mul_f32_e32 v8, v30, v8
	s_waitcnt lgkmcnt(2)
	v_mul_f32_e32 v15, v8, v6
	s_waitcnt lgkmcnt(1)
	v_sub_f32_e32 v6, v204, v10
	ds_bpermute_b32 v8, v174, v171 offset:112
	v_mul_f32_e32 v6, v31, v6
	v_mov_b32_e32 v176, v19
	s_waitcnt lgkmcnt(1)
	v_mul_f32_e32 v17, v6, v12
	ds_bpermute_b32 v6, v174, v170 offset:112
	ds_bpermute_b32 v10, v174, v171 offset:116
	v_pk_add_f32 v[4:5], v[176:177], v[4:5]
	v_mov_b32_e32 v178, v20
	v_pk_add_f32 v[4:5], v[178:179], v[4:5]
	v_mov_b32_e32 v180, v21
	ds_bpermute_b32 v12, v174, v170 offset:116
	v_pk_add_f32 v[4:5], v[180:181], v[4:5]
	v_mov_b32_e32 v182, v22
	s_waitcnt lgkmcnt(3)
	v_sub_f32_e32 v8, v202, v8
	v_pk_add_f32 v[4:5], v[182:183], v[4:5]
	v_mov_b32_e32 v184, v23
	v_mul_f32_e32 v8, v32, v8
	v_pk_add_f32 v[4:5], v[184:185], v[4:5]
	v_mov_b32_e32 v186, v24
	s_waitcnt lgkmcnt(2)
	v_mul_f32_e32 v19, v8, v6
	s_waitcnt lgkmcnt(1)
	v_sub_f32_e32 v6, v205, v10
	v_pk_add_f32 v[4:5], v[186:187], v[4:5]
	v_mov_b32_e32 v188, v25
	v_mul_f32_e32 v6, v33, v6
	v_pk_add_f32 v[4:5], v[188:189], v[4:5]
	s_waitcnt lgkmcnt(0)
	v_mul_f32_e32 v21, v6, v12
	v_mov_b32_e32 v6, v26
	v_pk_add_f32 v[4:5], v[6:7], v[4:5]
	v_mov_b32_e32 v8, v27
	v_pk_add_f32 v[4:5], v[8:9], v[4:5]
	;; [unrolled: 2-line block ×4, first 2 shown]
	v_mov_b32_e32 v14, v30
	ds_bpermute_b32 v8, v174, v171 offset:120
	v_pk_add_f32 v[4:5], v[14:15], v[4:5]
	v_mov_b32_e32 v16, v31
	v_pk_add_f32 v[4:5], v[16:17], v[4:5]
	v_mov_b32_e32 v18, v32
	;; [unrolled: 2-line block ×3, first 2 shown]
	v_pk_add_f32 v[6:7], v[20:21], v[4:5]
	ds_bpermute_b32 v5, v174, v170 offset:120
	s_waitcnt lgkmcnt(1)
	v_sub_f32_e32 v4, v203, v8
	v_mul_f32_e32 v8, v34, v4
	ds_bpermute_b32 v175, v174, v170 offset:124
	ds_bpermute_b32 v4, v174, v171 offset:124
	s_waitcnt lgkmcnt(2)
	v_mul_f32_e32 v9, v8, v5
	v_mov_b32_e32 v8, v34
	v_pk_add_f32 v[170:171], v[8:9], v[6:7]
	s_mov_b64 s[36:37], 0
.LBB51_75:                              ;   in Loop: Header=BB51_5 Depth=1
	s_and_b64 vcc, exec, s[36:37]
	s_cbranch_vccz .LBB51_4
; %bb.76:                               ;   in Loop: Header=BB51_5 Depth=1
	s_load_dword s9, s[26:27], 0x0
	s_waitcnt lgkmcnt(0)
	v_mov_b32_e32 v175, 0
	v_mov_b32_e32 v170, 0
	v_mov_b32_e32 v171, 0
	s_cmp_lt_u32 s2, s9
	s_cselect_b32 s9, 12, 18
	s_add_u32 s36, s26, s9
	s_addc_u32 s37, s27, 0
	global_load_ushort v3, v2, s[36:37]
	s_waitcnt vmcnt(0)
	v_mad_u32_u24 v3, v173, v3, v172
	v_and_b32_e32 v4, 63, v3
	v_cmp_gt_u32_e32 vcc, 32, v4
	s_and_saveexec_b64 s[36:37], vcc
	s_cbranch_execz .LBB51_80
; %bb.77:                               ;   in Loop: Header=BB51_5 Depth=1
	v_mov_b32_e32 v5, v2
	v_lshl_add_u64 v[4:5], v[168:169], 0, v[4:5]
	v_cmp_gt_i64_e32 vcc, s[12:13], v[4:5]
	v_mov_b32_e32 v171, 0
	v_mov_b32_e32 v170, 0
	s_and_saveexec_b64 s[38:39], vcc
	s_cbranch_execz .LBB51_79
; %bb.78:                               ;   in Loop: Header=BB51_5 Depth=1
	v_lshlrev_b64 v[4:5], 2, v[4:5]
	v_lshl_add_u64 v[6:7], s[22:23], 0, v[4:5]
	v_lshl_add_u64 v[4:5], s[20:21], 0, v[4:5]
	global_load_dword v171, v[4:5], off
	global_load_dword v170, v[6:7], off
.LBB51_79:                              ;   in Loop: Header=BB51_5 Depth=1
	s_or_b64 exec, exec, s[38:39]
.LBB51_80:                              ;   in Loop: Header=BB51_5 Depth=1
	s_or_b64 exec, exec, s[36:37]
	v_mov_b32_e32 v4, v2
	v_mov_b32_e32 v5, v2
	;; [unrolled: 1-line block ×31, first 2 shown]
	v_mov_b64_e32 v[34:35], v[32:33]
	v_mov_b64_e32 v[32:33], v[30:31]
	;; [unrolled: 1-line block ×16, first 2 shown]
	s_and_saveexec_b64 s[36:37], s[6:7]
	s_cbranch_execz .LBB51_82
; %bb.81:                               ;   in Loop: Header=BB51_5 Depth=1
	v_lshl_add_u64 v[4:5], v[40:41], 0, v[38:39]
	v_lshl_add_u64 v[6:7], v[42:43], 0, v[38:39]
	global_load_dword v4, v[4:5], off
	v_mov_b32_e32 v5, v2
	global_load_dword v175, v[6:7], off
	v_mov_b32_e32 v6, v2
	v_mov_b32_e32 v7, v2
	;; [unrolled: 1-line block ×30, first 2 shown]
.LBB51_82:                              ;   in Loop: Header=BB51_5 Depth=1
	s_or_b64 exec, exec, s[36:37]
	v_mov_b32_e32 v168, 0
	v_mov_b32_e32 v169, 0
	s_and_saveexec_b64 s[36:37], s[6:7]
	s_cbranch_execz .LBB51_84
; %bb.83:                               ;   in Loop: Header=BB51_5 Depth=1
	v_lshl_add_u64 v[176:177], v[164:165], 0, v[38:39]
	global_load_dword v5, v[176:177], off
	v_lshl_add_u64 v[176:177], v[166:167], 0, v[38:39]
	global_load_dword v169, v[176:177], off
.LBB51_84:                              ;   in Loop: Header=BB51_5 Depth=1
	s_or_b64 exec, exec, s[36:37]
	s_and_saveexec_b64 s[36:37], s[6:7]
	s_cbranch_execz .LBB51_86
; %bb.85:                               ;   in Loop: Header=BB51_5 Depth=1
	v_lshl_add_u64 v[176:177], v[160:161], 0, v[38:39]
	global_load_dword v6, v[176:177], off
	v_lshl_add_u64 v[176:177], v[162:163], 0, v[38:39]
	global_load_dword v168, v[176:177], off
.LBB51_86:                              ;   in Loop: Header=BB51_5 Depth=1
	s_or_b64 exec, exec, s[36:37]
	v_mov_b32_e32 v176, 0
	v_mov_b32_e32 v177, 0
	s_and_saveexec_b64 s[36:37], s[6:7]
	s_cbranch_execz .LBB51_88
; %bb.87:                               ;   in Loop: Header=BB51_5 Depth=1
	v_lshl_add_u64 v[178:179], v[156:157], 0, v[38:39]
	global_load_dword v7, v[178:179], off
	v_lshl_add_u64 v[178:179], v[158:159], 0, v[38:39]
	global_load_dword v177, v[178:179], off
.LBB51_88:                              ;   in Loop: Header=BB51_5 Depth=1
	s_or_b64 exec, exec, s[36:37]
	s_and_saveexec_b64 s[36:37], s[6:7]
	s_cbranch_execz .LBB51_90
; %bb.89:                               ;   in Loop: Header=BB51_5 Depth=1
	v_lshl_add_u64 v[178:179], v[152:153], 0, v[38:39]
	global_load_dword v8, v[178:179], off
	v_lshl_add_u64 v[178:179], v[154:155], 0, v[38:39]
	global_load_dword v176, v[178:179], off
.LBB51_90:                              ;   in Loop: Header=BB51_5 Depth=1
	;; [unrolled: 20-line block ×4, first 2 shown]
	s_or_b64 exec, exec, s[36:37]
	v_mov_b32_e32 v184, 0
	v_mov_b32_e32 v185, 0
	s_and_saveexec_b64 s[36:37], s[6:7]
	s_cbranch_execz .LBB51_100
; %bb.99:                               ;   in Loop: Header=BB51_5 Depth=1
	v_lshl_add_u64 v[182:183], v[132:133], 0, v[38:39]
	global_load_dword v13, v[182:183], off
	v_lshl_add_u64 v[182:183], v[134:135], 0, v[38:39]
	global_load_dword v185, v[182:183], off
.LBB51_100:                             ;   in Loop: Header=BB51_5 Depth=1
	s_or_b64 exec, exec, s[36:37]
	s_and_saveexec_b64 s[36:37], s[6:7]
	s_cbranch_execz .LBB51_102
; %bb.101:                              ;   in Loop: Header=BB51_5 Depth=1
	v_lshl_add_u64 v[182:183], v[128:129], 0, v[38:39]
	global_load_dword v14, v[182:183], off
	v_lshl_add_u64 v[182:183], v[130:131], 0, v[38:39]
	global_load_dword v184, v[182:183], off
.LBB51_102:                             ;   in Loop: Header=BB51_5 Depth=1
	s_or_b64 exec, exec, s[36:37]
	v_mov_b32_e32 v182, 0
	v_mov_b32_e32 v183, 0
	s_and_saveexec_b64 s[36:37], s[6:7]
	s_cbranch_execz .LBB51_104
; %bb.103:                              ;   in Loop: Header=BB51_5 Depth=1
	v_lshl_add_u64 v[186:187], v[124:125], 0, v[38:39]
	global_load_dword v15, v[186:187], off
	v_lshl_add_u64 v[186:187], v[126:127], 0, v[38:39]
	global_load_dword v183, v[186:187], off
.LBB51_104:                             ;   in Loop: Header=BB51_5 Depth=1
	s_or_b64 exec, exec, s[36:37]
	s_and_saveexec_b64 s[36:37], s[6:7]
	s_cbranch_execz .LBB51_106
; %bb.105:                              ;   in Loop: Header=BB51_5 Depth=1
	v_lshl_add_u64 v[186:187], v[120:121], 0, v[38:39]
	global_load_dword v16, v[186:187], off
	v_lshl_add_u64 v[186:187], v[122:123], 0, v[38:39]
	global_load_dword v182, v[186:187], off
.LBB51_106:                             ;   in Loop: Header=BB51_5 Depth=1
	s_or_b64 exec, exec, s[36:37]
	v_mov_b32_e32 v186, 0
	v_mov_b32_e32 v187, 0
	s_and_saveexec_b64 s[36:37], s[6:7]
	s_cbranch_execz .LBB51_108
; %bb.107:                              ;   in Loop: Header=BB51_5 Depth=1
	v_lshl_add_u64 v[188:189], v[116:117], 0, v[38:39]
	global_load_dword v17, v[188:189], off
	v_lshl_add_u64 v[188:189], v[118:119], 0, v[38:39]
	global_load_dword v187, v[188:189], off
.LBB51_108:                             ;   in Loop: Header=BB51_5 Depth=1
	;; [unrolled: 20-line block ×9, first 2 shown]
	s_or_b64 exec, exec, s[36:37]
	s_and_saveexec_b64 s[36:37], s[6:7]
	s_cbranch_execz .LBB51_138
; %bb.137:                              ;   in Loop: Header=BB51_5 Depth=1
	v_lshl_add_u64 v[200:201], v[56:57], 0, v[38:39]
	global_load_dword v32, v[200:201], off
	v_lshl_add_u64 v[200:201], v[58:59], 0, v[38:39]
	global_load_dword v200, v[200:201], off
.LBB51_138:                             ;   in Loop: Header=BB51_5 Depth=1
	s_or_b64 exec, exec, s[36:37]
	v_mov_b32_e32 v201, 0
	v_mov_b32_e32 v203, 0
	s_and_saveexec_b64 s[36:37], s[6:7]
	s_cbranch_execnz .LBB51_141
; %bb.139:                              ;   in Loop: Header=BB51_5 Depth=1
	s_or_b64 exec, exec, s[36:37]
	s_and_saveexec_b64 s[36:37], s[6:7]
	s_cbranch_execnz .LBB51_142
.LBB51_140:                             ;   in Loop: Header=BB51_5 Depth=1
	s_or_b64 exec, exec, s[36:37]
	v_mov_b32_e32 v3, 0
	s_and_saveexec_b64 s[36:37], s[6:7]
	s_cbranch_execz .LBB51_3
	s_branch .LBB51_143
.LBB51_141:                             ;   in Loop: Header=BB51_5 Depth=1
	v_lshl_add_u64 v[204:205], v[52:53], 0, v[38:39]
	global_load_dword v33, v[204:205], off
	v_lshl_add_u64 v[204:205], v[54:55], 0, v[38:39]
	global_load_dword v203, v[204:205], off
	s_or_b64 exec, exec, s[36:37]
	s_and_saveexec_b64 s[36:37], s[6:7]
	s_cbranch_execz .LBB51_140
.LBB51_142:                             ;   in Loop: Header=BB51_5 Depth=1
	v_lshl_add_u64 v[204:205], v[48:49], 0, v[38:39]
	global_load_dword v34, v[204:205], off
	v_lshl_add_u64 v[204:205], v[50:51], 0, v[38:39]
	global_load_dword v201, v[204:205], off
	s_or_b64 exec, exec, s[36:37]
	v_mov_b32_e32 v3, 0
	s_and_saveexec_b64 s[36:37], s[6:7]
	s_cbranch_execz .LBB51_3
.LBB51_143:                             ;   in Loop: Header=BB51_5 Depth=1
	v_lshl_add_u64 v[204:205], v[44:45], 0, v[38:39]
	global_load_dword v35, v[204:205], off
	v_lshl_add_u64 v[204:205], v[46:47], 0, v[38:39]
	global_load_dword v3, v[204:205], off
	s_branch .LBB51_3
.LBB51_144:
                                        ; implicit-def: $vgpr37
	s_branch .LBB51_147
.LBB51_145:
	v_mov_b32_e32 v0, v220
.LBB51_146:
	s_cbranch_execnz .LBB51_228
.LBB51_147:
	v_mov_b32_e32 v37, 0
	s_and_b64 vcc, exec, s[4:5]
	v_mov_b32_e32 v36, v37
	s_cbranch_vccnz .LBB51_228
; %bb.148:
	v_mov_b32_e32 v2, 0
	v_bfe_u32 v6, v0, 10, 10
	v_and_b32_e32 v1, 0x3ff, v0
	v_lshlrev_b32_e32 v102, 5, v6
	v_mov_b32_e32 v103, v2
	v_accvgpr_write_b32 a0, v1
	v_add_u32_e32 v4, s3, v1
	v_mov_b32_e32 v5, v2
	v_accvgpr_write_b32 a80, v0
	v_lshl_add_u64 v[0:1], v[102:103], 0, s[10:11]
	v_lshlrev_b64 v[40:41], 2, v[4:5]
	v_mul_lo_u32 v3, s15, v0
	v_mul_lo_u32 v70, s14, v1
	v_mad_u64_u32 v[4:5], s[24:25], s14, v0, 0
	v_add3_u32 v5, v5, v70, v3
	v_lshlrev_b64 v[4:5], 2, v[4:5]
	v_lshl_add_u64 v[8:9], s[16:17], 0, v[4:5]
	v_lshl_add_u64 v[4:5], s[18:19], 0, v[4:5]
	v_accvgpr_write_b32 a7, v5
	v_accvgpr_write_b32 a6, v4
	v_lshlrev_b32_e32 v4, 7, v6
	v_mov_b32_e32 v5, v2
	v_lshl_add_u64 v[4:5], s[10:11], 2, v[4:5]
	v_lshl_add_u64 v[60:61], v[4:5], 0, 4
	v_mov_b64_e32 v[38:39], s[16:17]
	v_accvgpr_write_b32 a1, v6
	v_mad_u64_u32 v[6:7], s[26:27], s14, v60, v[38:39]
	v_mul_lo_u32 v61, s14, v61
	v_mul_lo_u32 v71, s15, v60
	v_add3_u32 v7, v71, v7, v61
	v_accvgpr_write_b32 a9, v7
	v_lshl_add_u64 v[64:65], v[4:5], 0, 8
	v_accvgpr_write_b32 a8, v6
	v_mad_u64_u32 v[6:7], s[26:27], s14, v64, v[38:39]
	v_mul_lo_u32 v65, s14, v65
	v_mul_lo_u32 v72, s15, v64
	v_add3_u32 v7, v72, v7, v65
	v_accvgpr_write_b32 a11, v7
	v_lshl_add_u64 v[66:67], v[4:5], 0, 12
	;; [unrolled: 7-line block ×15, first 2 shown]
	v_accvgpr_write_b32 a36, v6
	v_mad_u64_u32 v[6:7], s[26:27], s14, v34, v[38:39]
	v_mul_lo_u32 v35, s14, v35
	v_mul_lo_u32 v86, s15, v34
	v_add3_u32 v7, v86, v7, v35
	s_mov_b64 s[26:27], 0x44
	v_accvgpr_write_b32 a39, v7
	v_lshl_add_u64 v[32:33], v[4:5], 0, s[26:27]
	v_accvgpr_write_b32 a38, v6
	v_mad_u64_u32 v[6:7], s[26:27], s14, v32, v[38:39]
	v_mul_lo_u32 v33, s14, v33
	v_mul_lo_u32 v87, s15, v32
	v_add3_u32 v7, v87, v7, v33
	s_mov_b64 s[26:27], 0x48
	v_accvgpr_write_b32 a41, v7
	v_lshl_add_u64 v[30:31], v[4:5], 0, s[26:27]
	;; [unrolled: 8-line block ×12, first 2 shown]
	v_accvgpr_write_b32 a60, v6
	v_mad_u64_u32 v[6:7], s[26:27], s14, v10, v[38:39]
	v_mul_lo_u32 v17, s14, v11
	v_mul_lo_u32 v19, s15, v10
	v_accvgpr_write_b32 a4, v8
	v_add3_u32 v7, v19, v7, v17
	s_mov_b64 s[26:27], 0x74
	v_accvgpr_write_b32 a5, v9
	v_accvgpr_write_b32 a63, v7
	v_lshl_add_u64 v[8:9], v[4:5], 0, s[26:27]
	v_accvgpr_write_b32 a62, v6
	v_mad_u64_u32 v[6:7], s[26:27], s14, v8, v[38:39]
	v_mul_lo_u32 v13, s14, v9
	v_mul_lo_u32 v15, s15, v8
	v_add3_u32 v7, v15, v7, v13
	v_accvgpr_write_b32 a65, v7
	s_mov_b64 s[26:27], 0x78
	v_accvgpr_write_b32 a64, v6
	v_lshl_add_u64 v[6:7], v[4:5], 0, s[26:27]
	v_mad_u64_u32 v[104:105], s[26:27], s14, v6, v[38:39]
	s_mov_b64 s[26:27], 0x7c
	s_nop 0
	v_lshl_add_u64 v[4:5], v[4:5], 0, s[26:27]
	v_mul_lo_u32 v9, s14, v7
	v_mad_u64_u32 v[38:39], s[26:27], s14, v4, v[38:39]
	v_mul_lo_u32 v5, s14, v5
	v_mul_lo_u32 v7, s15, v4
	v_add3_u32 v39, v7, v39, v5
	v_accvgpr_write_b32 a69, v39
	v_accvgpr_write_b32 a68, v38
	v_mov_b64_e32 v[38:39], s[18:19]
	v_mad_u64_u32 v[168:169], s[26:27], s14, v4, v[38:39]
	v_add3_u32 v169, v7, v169, v5
	v_lshl_add_u64 v[4:5], v[0:1], 0, 31
	v_mul_lo_u32 v11, s15, v6
	v_mad_u64_u32 v[166:167], s[26:27], s14, v6, v[38:39]
	v_mul_lo_u32 v6, s15, v4
	v_mul_lo_u32 v7, s14, v5
	v_mad_u64_u32 v[4:5], s[28:29], s14, v4, 0
	v_add3_u32 v5, v5, v7, v6
	v_lshlrev_b64 v[4:5], 2, v[4:5]
	v_lshl_add_u64 v[170:171], s[16:17], 0, v[4:5]
	v_lshl_add_u64 v[172:173], s[18:19], 0, v[4:5]
	v_lshl_add_u64 v[4:5], v[0:1], 0, 30
	v_mul_lo_u32 v6, s15, v4
	v_mul_lo_u32 v7, s14, v5
	v_mad_u64_u32 v[4:5], s[28:29], s14, v4, 0
	v_add3_u32 v5, v5, v7, v6
	v_lshlrev_b64 v[4:5], 2, v[4:5]
	v_lshl_add_u64 v[174:175], s[16:17], 0, v[4:5]
	v_lshl_add_u64 v[176:177], s[18:19], 0, v[4:5]
	v_lshl_add_u64 v[4:5], v[0:1], 0, 29
	;; [unrolled: 8-line block ×9, first 2 shown]
	v_mul_lo_u32 v6, s15, v4
	v_mul_lo_u32 v7, s14, v5
	v_mad_u64_u32 v[4:5], s[28:29], s14, v4, 0
	v_add3_u32 v5, v5, v7, v6
	v_lshl_add_u64 v[6:7], v[0:1], 0, 21
	v_add3_u32 v105, v11, v105, v9
	v_mad_u64_u32 v[164:165], s[26:27], s14, v8, v[38:39]
	v_add3_u32 v167, v11, v167, v9
	v_mul_lo_u32 v8, s15, v6
	v_mul_lo_u32 v9, s14, v7
	v_mad_u64_u32 v[6:7], s[28:29], s14, v6, 0
	v_add3_u32 v7, v7, v9, v8
	v_lshl_add_u64 v[8:9], v[0:1], 0, 20
	v_mad_u64_u32 v[162:163], s[26:27], s14, v10, v[38:39]
	v_mul_lo_u32 v10, s15, v8
	v_mul_lo_u32 v11, s14, v9
	v_mad_u64_u32 v[8:9], s[28:29], s14, v8, 0
	v_add3_u32 v9, v9, v11, v10
	v_lshl_add_u64 v[10:11], v[0:1], 0, 19
	v_mad_u64_u32 v[160:161], s[26:27], s14, v12, v[38:39]
	v_add3_u32 v165, v15, v165, v13
	v_mul_lo_u32 v12, s15, v10
	v_mul_lo_u32 v13, s14, v11
	v_mad_u64_u32 v[10:11], s[28:29], s14, v10, 0
	v_add3_u32 v11, v11, v13, v12
	v_lshl_add_u64 v[12:13], v[0:1], 0, 18
	v_mad_u64_u32 v[158:159], s[26:27], s14, v14, v[38:39]
	v_mul_lo_u32 v14, s15, v12
	v_mul_lo_u32 v15, s14, v13
	v_mad_u64_u32 v[12:13], s[28:29], s14, v12, 0
	v_add3_u32 v13, v13, v15, v14
	v_lshl_add_u64 v[14:15], v[0:1], 0, 17
	;; [unrolled: 13-line block ×4, first 2 shown]
	v_mad_u64_u32 v[148:149], s[26:27], s14, v24, v[38:39]
	v_add3_u32 v159, v27, v159, v25
	v_mul_lo_u32 v24, s15, v22
	v_mul_lo_u32 v25, s14, v23
	v_mad_u64_u32 v[22:23], s[28:29], s14, v22, 0
	v_add3_u32 v23, v23, v25, v24
	v_lshl_add_u64 v[24:25], v[0:1], 0, 12
	v_mad_u64_u32 v[146:147], s[26:27], s14, v26, v[38:39]
	v_mul_lo_u32 v26, s15, v24
	v_mul_lo_u32 v27, s14, v25
	v_mad_u64_u32 v[24:25], s[28:29], s14, v24, 0
	v_accvgpr_write_b32 a66, v104
	v_add3_u32 v25, v25, v27, v26
	v_lshl_add_u64 v[26:27], v[0:1], 0, 11
	v_accvgpr_write_b32 a67, v105
	v_mad_u64_u32 v[104:105], s[26:27], s14, v60, v[38:39]
	v_mad_u64_u32 v[144:145], s[26:27], s14, v28, v[38:39]
	v_add3_u32 v157, v31, v157, v29
	v_mul_lo_u32 v28, s15, v26
	v_mul_lo_u32 v29, s14, v27
	v_mad_u64_u32 v[26:27], s[28:29], s14, v26, 0
	v_add3_u32 v105, v71, v105, v61
	v_mad_u64_u32 v[60:61], s[26:27], s14, v64, v[38:39]
	v_add3_u32 v27, v27, v29, v28
	v_lshl_add_u64 v[28:29], v[0:1], 0, 10
	v_add3_u32 v61, v72, v61, v65
	v_mad_u64_u32 v[142:143], s[26:27], s14, v30, v[38:39]
	v_mul_lo_u32 v30, s15, v28
	v_mul_lo_u32 v31, s14, v29
	v_mad_u64_u32 v[28:29], s[28:29], s14, v28, 0
	v_accvgpr_write_b32 a73, v61
	v_mad_u64_u32 v[140:141], s[26:27], s14, v32, v[38:39]
	v_add3_u32 v29, v29, v31, v30
	v_lshl_add_u64 v[30:31], v[0:1], 0, 9
	v_accvgpr_write_b32 a72, v60
	v_mad_u64_u32 v[60:61], s[26:27], s14, v66, v[38:39]
	v_add3_u32 v141, v87, v141, v33
	v_mul_lo_u32 v32, s15, v30
	v_mul_lo_u32 v33, s14, v31
	v_mad_u64_u32 v[30:31], s[28:29], s14, v30, 0
	v_add3_u32 v61, v73, v61, v67
	v_mad_u64_u32 v[138:139], s[26:27], s14, v34, v[38:39]
	v_add3_u32 v31, v31, v33, v32
	v_lshl_add_u64 v[32:33], v[0:1], 0, 8
	v_accvgpr_write_b32 a75, v61
	v_add3_u32 v139, v86, v139, v35
	v_mul_lo_u32 v34, s15, v32
	v_mul_lo_u32 v35, s14, v33
	v_mad_u64_u32 v[32:33], s[28:29], s14, v32, 0
	v_accvgpr_write_b32 a74, v60
	v_mad_u64_u32 v[60:61], s[26:27], s14, v68, v[38:39]
	v_mad_u64_u32 v[136:137], s[26:27], s14, v36, v[38:39]
	v_add3_u32 v33, v33, v35, v34
	v_lshl_add_u64 v[34:35], v[0:1], 0, 7
	v_add3_u32 v61, v74, v61, v69
	v_add3_u32 v137, v85, v137, v37
	v_mul_lo_u32 v36, s15, v34
	v_mul_lo_u32 v37, s14, v35
	v_mad_u64_u32 v[34:35], s[28:29], s14, v34, 0
	v_accvgpr_write_b32 a77, v61
	v_add3_u32 v35, v35, v37, v36
	v_lshl_add_u64 v[36:37], v[0:1], 0, 6
	v_accvgpr_write_b32 a76, v60
	v_mad_u64_u32 v[60:61], s[26:27], s14, v62, v[38:39]
	v_mad_u64_u32 v[118:119], s[26:27], s14, v58, v[38:39]
	;; [unrolled: 1-line block ×10, first 2 shown]
	v_mul_lo_u32 v38, s15, v36
	v_mul_lo_u32 v39, s14, v37
	v_mad_u64_u32 v[36:37], s[28:29], s14, v36, 0
	v_add3_u32 v37, v37, v39, v38
	v_lshl_add_u64 v[38:39], v[0:1], 0, 5
	v_add3_u32 v135, v84, v135, v43
	v_mul_lo_u32 v42, s15, v38
	v_mul_lo_u32 v43, s14, v39
	v_mad_u64_u32 v[38:39], s[28:29], s14, v38, 0
	v_add3_u32 v39, v39, v43, v42
	v_lshl_add_u64 v[42:43], v[0:1], 0, 4
	v_add3_u32 v133, v83, v133, v45
	;; [unrolled: 6-line block ×4, first 2 shown]
	v_mul_lo_u32 v1, s15, v46
	v_mul_lo_u32 v47, s14, v47
	v_mad_u64_u32 v[74:75], s[28:29], s14, v46, 0
	v_add3_u32 v75, v75, v47, v1
	v_mov_b64_e32 v[46:47], s[14:15]
	v_add3_u32 v123, v78, v123, v55
	v_add3_u32 v125, v79, v125, v53
	v_mad_u64_u32 v[78:79], s[28:29], s14, v0, v[46:47]
	v_lshlrev_b64 v[0:1], 2, v[6:7]
	v_lshl_add_u64 v[210:211], s[16:17], 0, v[0:1]
	v_lshl_add_u64 v[212:213], s[18:19], 0, v[0:1]
	v_lshlrev_b64 v[0:1], 2, v[8:9]
	v_lshl_add_u64 v[214:215], s[16:17], 0, v[0:1]
	v_lshl_add_u64 v[216:217], s[18:19], 0, v[0:1]
	;; [unrolled: 3-line block ×9, first 2 shown]
	v_lshlrev_b64 v[0:1], 2, v[24:25]
	v_lshlrev_b64 v[4:5], 2, v[4:5]
	v_lshl_add_u64 v[246:247], s[16:17], 0, v[0:1]
	v_lshl_add_u64 v[248:249], s[18:19], 0, v[0:1]
	v_lshlrev_b64 v[0:1], 2, v[26:27]
	v_lshl_add_u64 v[206:207], s[16:17], 0, v[4:5]
	v_lshl_add_u64 v[208:209], s[18:19], 0, v[4:5]
	v_lshl_add_u64 v[250:251], s[16:17], 0, v[0:1]
	v_lshl_add_u64 v[252:253], s[18:19], 0, v[0:1]
	v_lshlrev_b64 v[0:1], 2, v[28:29]
	v_lshlrev_b64 v[4:5], 2, v[30:31]
	s_load_dword s3, s[0:1], 0x44
	v_add3_u32 v129, v81, v129, v49
	v_lshl_add_u64 v[254:255], s[16:17], 0, v[0:1]
	v_lshl_add_u64 v[46:47], s[18:19], 0, v[0:1]
	;; [unrolled: 1-line block ×4, first 2 shown]
	v_lshlrev_b64 v[4:5], 2, v[32:33]
	v_add3_u32 v127, v80, v127, v51
	v_lshl_add_u64 v[50:51], s[16:17], 0, v[4:5]
	v_lshl_add_u64 v[52:53], s[18:19], 0, v[4:5]
	v_lshlrev_b64 v[4:5], 2, v[34:35]
	v_accvgpr_write_b32 a79, v61
	v_add3_u32 v121, v77, v121, v57
	v_lshl_add_u64 v[54:55], s[16:17], 0, v[4:5]
	v_lshl_add_u64 v[56:57], s[18:19], 0, v[4:5]
	v_lshlrev_b64 v[4:5], 2, v[36:37]
	v_accvgpr_write_b32 a78, v60
	v_add3_u32 v119, v76, v119, v59
	v_lshl_add_u64 v[58:59], s[16:17], 0, v[4:5]
	v_lshl_add_u64 v[60:61], s[18:19], 0, v[4:5]
	v_lshlrev_b64 v[4:5], 2, v[38:39]
	s_add_u32 s6, s0, 64
	v_lshl_add_u64 v[62:63], s[16:17], 0, v[4:5]
	v_lshl_add_u64 v[64:65], s[18:19], 0, v[4:5]
	v_lshlrev_b64 v[4:5], 2, v[42:43]
	s_addc_u32 s7, s1, 0
	s_waitcnt lgkmcnt(0)
	s_lshl_b32 s4, s3, 5
	v_add3_u32 v79, v3, v79, v70
	v_lshl_add_u64 v[66:67], s[16:17], 0, v[4:5]
	v_lshl_add_u64 v[68:69], s[18:19], 0, v[4:5]
	v_lshlrev_b64 v[4:5], 2, v[44:45]
	v_mbcnt_lo_u32_b32 v3, -1, 0
	s_mul_i32 s3, s15, s4
	s_mul_hi_u32 s9, s14, s4
	v_lshl_add_u64 v[70:71], s[16:17], 0, v[4:5]
	v_lshl_add_u64 v[72:73], s[18:19], 0, v[4:5]
	v_lshlrev_b64 v[4:5], 2, v[74:75]
	v_mbcnt_hi_u32_b32 v3, -1, v3
	s_add_i32 s25, s9, s3
	s_mul_i32 s24, s14, s4
	v_accvgpr_write_b32 a70, v104
	v_lshl_add_u64 v[74:75], s[16:17], 0, v[4:5]
	v_lshl_add_u64 v[76:77], s[18:19], 0, v[4:5]
	v_lshlrev_b64 v[4:5], 2, v[78:79]
	v_lshlrev_b32_e32 v3, 2, v3
	s_mov_b32 s5, 0
	s_lshl_b64 s[24:25], s[24:25], 2
	v_accvgpr_write_b32 a71, v105
	v_add3_u32 v143, v89, v143, v88
	v_add3_u32 v145, v91, v145, v90
	;; [unrolled: 1-line block ×7, first 2 shown]
	s_mov_b64 s[26:27], 31
	v_lshl_add_u64 v[78:79], s[16:17], 0, v[4:5]
	v_lshl_add_u64 v[80:81], s[18:19], 0, v[4:5]
	v_and_b32_e32 v108, 0x100, v3
	v_mov_b32_e32 v37, v2
	v_mov_b32_e32 v36, v2
	s_mov_b64 s[16:17], s[10:11]
.LBB51_149:                             ; =>This Inner Loop Header: Depth=1
	s_add_u32 s18, s10, s26
	s_addc_u32 s19, 0, s27
	v_mov_b64_e32 v[4:5], s[12:13]
	v_cmp_ge_i64_e32 vcc, s[18:19], v[4:5]
	v_accvgpr_write_b32 a2, v102
	v_accvgpr_write_b32 a3, v103
	v_lshl_add_u64 v[42:43], s[10:11], 0, v[102:103]
	s_mov_b64 s[18:19], -1
                                        ; implicit-def: $vgpr6_vgpr7
                                        ; implicit-def: $vgpr4_vgpr5
	s_cbranch_vccz .LBB51_219
; %bb.150:                              ;   in Loop: Header=BB51_149 Depth=1
	s_load_dword s3, s[6:7], 0xc
	v_accvgpr_read_b32 v3, a0
	v_accvgpr_read_b32 v4, a1
	v_mov_b32_e32 v38, 0
	v_mov_b32_e32 v83, 0
	s_waitcnt lgkmcnt(0)
	s_and_b32 s3, s3, 0xffff
	v_mad_u32_u24 v3, v4, s3, v3
	v_and_b32_e32 v4, 63, v3
	v_cmp_gt_u32_e32 vcc, 32, v4
	v_mov_b32_e32 v82, 0
	s_and_saveexec_b64 s[18:19], vcc
	s_cbranch_execz .LBB51_154
; %bb.151:                              ;   in Loop: Header=BB51_149 Depth=1
	v_mov_b32_e32 v5, v2
	v_lshl_add_u64 v[4:5], v[42:43], 0, v[4:5]
	v_cmp_gt_i64_e32 vcc, s[12:13], v[4:5]
	v_mov_b32_e32 v82, 0
	v_mov_b32_e32 v83, 0
	s_and_saveexec_b64 s[28:29], vcc
	s_cbranch_execz .LBB51_153
; %bb.152:                              ;   in Loop: Header=BB51_149 Depth=1
	v_lshlrev_b64 v[4:5], 2, v[4:5]
	v_lshl_add_u64 v[6:7], s[22:23], 0, v[4:5]
	v_lshl_add_u64 v[4:5], s[20:21], 0, v[4:5]
	global_load_dword v82, v[4:5], off
	global_load_dword v83, v[6:7], off
.LBB51_153:                             ;   in Loop: Header=BB51_149 Depth=1
	s_or_b64 exec, exec, s[28:29]
.LBB51_154:                             ;   in Loop: Header=BB51_149 Depth=1
	s_or_b64 exec, exec, s[18:19]
	v_mov_b32_e32 v4, v2
	v_mov_b32_e32 v5, v2
	;; [unrolled: 1-line block ×31, first 2 shown]
	v_mov_b64_e32 v[34:35], v[32:33]
	v_cmp_gt_i64_e32 vcc, s[12:13], v[42:43]
	v_mov_b64_e32 v[32:33], v[30:31]
	v_mov_b64_e32 v[30:31], v[28:29]
	;; [unrolled: 1-line block ×15, first 2 shown]
	s_and_saveexec_b64 s[18:19], vcc
	s_cbranch_execz .LBB51_156
; %bb.155:                              ;   in Loop: Header=BB51_149 Depth=1
	v_accvgpr_read_b32 v4, a4
	v_accvgpr_read_b32 v6, a6
	;; [unrolled: 1-line block ×4, first 2 shown]
	v_lshl_add_u64 v[4:5], v[4:5], 0, v[40:41]
	v_lshl_add_u64 v[6:7], v[6:7], 0, v[40:41]
	global_load_dword v4, v[4:5], off
	v_mov_b32_e32 v5, v2
	global_load_dword v38, v[6:7], off
	v_mov_b32_e32 v6, v2
	v_mov_b32_e32 v7, v2
	;; [unrolled: 1-line block ×30, first 2 shown]
.LBB51_156:                             ;   in Loop: Header=BB51_149 Depth=1
	s_or_b64 exec, exec, s[18:19]
	v_lshl_add_u64 v[44:45], v[42:43], 0, 1
	v_cmp_gt_i64_e32 vcc, s[12:13], v[44:45]
	v_mov_b32_e32 v107, 0
	v_mov_b32_e32 v45, 0
	s_and_saveexec_b64 s[18:19], vcc
	s_cbranch_execz .LBB51_158
; %bb.157:                              ;   in Loop: Header=BB51_149 Depth=1
	v_lshl_add_u64 v[44:45], v[78:79], 0, v[40:41]
	global_load_dword v5, v[44:45], off
	v_lshl_add_u64 v[44:45], v[80:81], 0, v[40:41]
	global_load_dword v45, v[44:45], off
.LBB51_158:                             ;   in Loop: Header=BB51_149 Depth=1
	s_or_b64 exec, exec, s[18:19]
	v_lshl_add_u64 v[84:85], v[42:43], 0, 2
	v_cmp_gt_i64_e32 vcc, s[12:13], v[84:85]
	s_and_saveexec_b64 s[18:19], vcc
	s_cbranch_execz .LBB51_160
; %bb.159:                              ;   in Loop: Header=BB51_149 Depth=1
	v_lshl_add_u64 v[84:85], v[74:75], 0, v[40:41]
	global_load_dword v6, v[84:85], off
	v_lshl_add_u64 v[84:85], v[76:77], 0, v[40:41]
	global_load_dword v107, v[84:85], off
.LBB51_160:                             ;   in Loop: Header=BB51_149 Depth=1
	s_or_b64 exec, exec, s[18:19]
	v_lshl_add_u64 v[84:85], v[42:43], 0, 3
	v_cmp_gt_i64_e32 vcc, s[12:13], v[84:85]
	v_mov_b32_e32 v106, 0
	v_mov_b32_e32 v85, 0
	s_and_saveexec_b64 s[18:19], vcc
	s_cbranch_execz .LBB51_162
; %bb.161:                              ;   in Loop: Header=BB51_149 Depth=1
	v_lshl_add_u64 v[84:85], v[70:71], 0, v[40:41]
	global_load_dword v7, v[84:85], off
	v_lshl_add_u64 v[84:85], v[72:73], 0, v[40:41]
	global_load_dword v85, v[84:85], off
.LBB51_162:                             ;   in Loop: Header=BB51_149 Depth=1
	s_or_b64 exec, exec, s[18:19]
	v_lshl_add_u64 v[86:87], v[42:43], 0, 4
	v_cmp_gt_i64_e32 vcc, s[12:13], v[86:87]
	s_and_saveexec_b64 s[18:19], vcc
	s_cbranch_execz .LBB51_164
; %bb.163:                              ;   in Loop: Header=BB51_149 Depth=1
	v_lshl_add_u64 v[86:87], v[66:67], 0, v[40:41]
	global_load_dword v8, v[86:87], off
	v_lshl_add_u64 v[86:87], v[68:69], 0, v[40:41]
	global_load_dword v106, v[86:87], off
.LBB51_164:                             ;   in Loop: Header=BB51_149 Depth=1
	;; [unrolled: 24-line block ×10, first 2 shown]
	s_or_b64 exec, exec, s[18:19]
	v_lshl_add_u64 v[86:87], v[42:43], 0, 21
	v_cmp_gt_i64_e32 vcc, s[12:13], v[86:87]
	v_accvgpr_write_b32 a87, 0
	v_mov_b32_e32 v94, 0
	s_and_saveexec_b64 s[18:19], vcc
	s_cbranch_execz .LBB51_198
; %bb.197:                              ;   in Loop: Header=BB51_149 Depth=1
	v_lshl_add_u64 v[86:87], v[210:211], 0, v[40:41]
	global_load_dword v25, v[86:87], off
	v_lshl_add_u64 v[86:87], v[212:213], 0, v[40:41]
	global_load_dword v94, v[86:87], off
.LBB51_198:                             ;   in Loop: Header=BB51_149 Depth=1
	s_or_b64 exec, exec, s[18:19]
	v_lshl_add_u64 v[86:87], v[42:43], 0, 22
	v_cmp_gt_i64_e32 vcc, s[12:13], v[86:87]
	s_and_saveexec_b64 s[18:19], vcc
	s_cbranch_execz .LBB51_200
; %bb.199:                              ;   in Loop: Header=BB51_149 Depth=1
	v_lshl_add_u64 v[86:87], v[206:207], 0, v[40:41]
	global_load_dword v26, v[86:87], off
	v_lshl_add_u64 v[86:87], v[208:209], 0, v[40:41]
	global_load_dword a87, v[86:87], off
.LBB51_200:                             ;   in Loop: Header=BB51_149 Depth=1
	s_or_b64 exec, exec, s[18:19]
	v_lshl_add_u64 v[86:87], v[42:43], 0, 23
	v_cmp_gt_i64_e32 vcc, s[12:13], v[86:87]
	v_accvgpr_write_b32 a85, 0
	v_mov_b32_e32 v92, 0
	s_and_saveexec_b64 s[18:19], vcc
	s_cbranch_execz .LBB51_202
; %bb.201:                              ;   in Loop: Header=BB51_149 Depth=1
	v_lshl_add_u64 v[86:87], v[202:203], 0, v[40:41]
	global_load_dword v27, v[86:87], off
	v_lshl_add_u64 v[86:87], v[204:205], 0, v[40:41]
	global_load_dword v92, v[86:87], off
.LBB51_202:                             ;   in Loop: Header=BB51_149 Depth=1
	s_or_b64 exec, exec, s[18:19]
	v_lshl_add_u64 v[86:87], v[42:43], 0, 24
	v_cmp_gt_i64_e32 vcc, s[12:13], v[86:87]
	s_and_saveexec_b64 s[18:19], vcc
	s_cbranch_execz .LBB51_204
; %bb.203:                              ;   in Loop: Header=BB51_149 Depth=1
	v_lshl_add_u64 v[86:87], v[198:199], 0, v[40:41]
	global_load_dword v28, v[86:87], off
	v_lshl_add_u64 v[86:87], v[200:201], 0, v[40:41]
	global_load_dword a85, v[86:87], off
.LBB51_204:                             ;   in Loop: Header=BB51_149 Depth=1
	s_or_b64 exec, exec, s[18:19]
	v_lshl_add_u64 v[86:87], v[42:43], 0, 25
	v_cmp_gt_i64_e32 vcc, s[12:13], v[86:87]
	v_accvgpr_write_b32 a83, 0
	v_accvgpr_write_b32 a86, 0
	s_and_saveexec_b64 s[18:19], vcc
	s_cbranch_execz .LBB51_206
; %bb.205:                              ;   in Loop: Header=BB51_149 Depth=1
	v_lshl_add_u64 v[110:111], v[194:195], 0, v[40:41]
	global_load_dword v29, v[110:111], off
	v_lshl_add_u64 v[110:111], v[196:197], 0, v[40:41]
	global_load_dword a86, v[110:111], off
.LBB51_206:                             ;   in Loop: Header=BB51_149 Depth=1
	s_or_b64 exec, exec, s[18:19]
	v_lshl_add_u64 v[110:111], v[42:43], 0, 26
	v_cmp_gt_i64_e32 vcc, s[12:13], v[110:111]
	s_and_saveexec_b64 s[18:19], vcc
	s_cbranch_execz .LBB51_208
; %bb.207:                              ;   in Loop: Header=BB51_149 Depth=1
	v_lshl_add_u64 v[86:87], v[190:191], 0, v[40:41]
	global_load_dword v30, v[86:87], off
	v_lshl_add_u64 v[86:87], v[192:193], 0, v[40:41]
	global_load_dword a83, v[86:87], off
.LBB51_208:                             ;   in Loop: Header=BB51_149 Depth=1
	s_or_b64 exec, exec, s[18:19]
	v_lshl_add_u64 v[110:111], v[42:43], 0, 27
	v_cmp_gt_i64_e32 vcc, s[12:13], v[110:111]
	v_accvgpr_write_b32 a81, 0
	v_accvgpr_write_b32 a84, 0
	s_and_saveexec_b64 s[18:19], vcc
	s_cbranch_execz .LBB51_210
; %bb.209:                              ;   in Loop: Header=BB51_149 Depth=1
	v_lshl_add_u64 v[110:111], v[186:187], 0, v[40:41]
	global_load_dword v31, v[110:111], off
	v_lshl_add_u64 v[110:111], v[188:189], 0, v[40:41]
	global_load_dword a84, v[110:111], off
.LBB51_210:                             ;   in Loop: Header=BB51_149 Depth=1
	s_or_b64 exec, exec, s[18:19]
	v_lshl_add_u64 v[110:111], v[42:43], 0, 28
	v_cmp_gt_i64_e32 vcc, s[12:13], v[110:111]
	s_and_saveexec_b64 s[18:19], vcc
	s_cbranch_execz .LBB51_212
; %bb.211:                              ;   in Loop: Header=BB51_149 Depth=1
	v_lshl_add_u64 v[110:111], v[182:183], 0, v[40:41]
	global_load_dword v32, v[110:111], off
	v_lshl_add_u64 v[110:111], v[184:185], 0, v[40:41]
	global_load_dword a81, v[110:111], off
.LBB51_212:                             ;   in Loop: Header=BB51_149 Depth=1
	s_or_b64 exec, exec, s[18:19]
	v_lshl_add_u64 v[110:111], v[42:43], 0, 29
	v_cmp_gt_i64_e32 vcc, s[12:13], v[110:111]
	v_mov_b32_e32 v116, 0
	v_accvgpr_write_b32 a82, 0
	s_and_saveexec_b64 s[18:19], vcc
	s_cbranch_execz .LBB51_214
; %bb.213:                              ;   in Loop: Header=BB51_149 Depth=1
	v_lshl_add_u64 v[110:111], v[178:179], 0, v[40:41]
	global_load_dword v33, v[110:111], off
	v_lshl_add_u64 v[110:111], v[180:181], 0, v[40:41]
	global_load_dword a82, v[110:111], off
.LBB51_214:                             ;   in Loop: Header=BB51_149 Depth=1
	s_or_b64 exec, exec, s[18:19]
	v_lshl_add_u64 v[110:111], v[42:43], 0, 30
	v_cmp_gt_i64_e32 vcc, s[12:13], v[110:111]
	s_and_saveexec_b64 s[18:19], vcc
	s_cbranch_execz .LBB51_216
; %bb.215:                              ;   in Loop: Header=BB51_149 Depth=1
	v_lshl_add_u64 v[110:111], v[174:175], 0, v[40:41]
	global_load_dword v34, v[110:111], off
	v_lshl_add_u64 v[110:111], v[176:177], 0, v[40:41]
	global_load_dword v116, v[110:111], off
.LBB51_216:                             ;   in Loop: Header=BB51_149 Depth=1
	s_or_b64 exec, exec, s[18:19]
	v_lshl_add_u64 v[110:111], v[42:43], 0, 31
	v_cmp_gt_i64_e32 vcc, s[12:13], v[110:111]
	v_mov_b32_e32 v117, 0
	s_and_saveexec_b64 s[18:19], vcc
	s_cbranch_execz .LBB51_218
; %bb.217:                              ;   in Loop: Header=BB51_149 Depth=1
	v_lshl_add_u64 v[110:111], v[170:171], 0, v[40:41]
	global_load_dword v35, v[110:111], off
	v_lshl_add_u64 v[110:111], v[172:173], 0, v[40:41]
	global_load_dword v117, v[110:111], off
.LBB51_218:                             ;   in Loop: Header=BB51_149 Depth=1
	s_or_b64 exec, exec, s[18:19]
	s_waitcnt vmcnt(1)
	ds_bpermute_b32 v86, v108, v82
	s_waitcnt vmcnt(0)
	ds_bpermute_b32 v39, v108, v83
	v_mov_b32_e32 v88, v11
	v_mov_b32_e32 v112, v13
	;; [unrolled: 1-line block ×3, first 2 shown]
	s_waitcnt lgkmcnt(1)
	v_sub_f32_e32 v38, v38, v86
	ds_bpermute_b32 v86, v108, v82 offset:4
	v_mul_f32_e32 v38, v4, v38
	s_waitcnt lgkmcnt(1)
	v_mul_f32_e32 v39, v38, v39
	ds_bpermute_b32 v38, v108, v83 offset:4
	v_mov_b32_e32 v90, v12
	s_waitcnt lgkmcnt(1)
	v_sub_f32_e32 v45, v45, v86
	ds_bpermute_b32 v86, v108, v82 offset:8
	v_mul_f32_e32 v45, v5, v45
	s_waitcnt lgkmcnt(1)
	v_mul_f32_e32 v45, v45, v38
	ds_bpermute_b32 v38, v108, v83 offset:8
	v_mov_b32_e32 v114, v14
	s_waitcnt lgkmcnt(1)
	v_sub_f32_e32 v86, v107, v86
	v_mul_f32_e32 v86, v6, v86
	s_mov_b64 s[18:19], 0
	s_waitcnt lgkmcnt(0)
	v_mul_f32_e32 v107, v86, v38
	ds_bpermute_b32 v86, v108, v82 offset:12
	ds_bpermute_b32 v38, v108, v83 offset:12
	s_waitcnt lgkmcnt(1)
	v_sub_f32_e32 v85, v85, v86
	ds_bpermute_b32 v86, v108, v82 offset:16
	v_mul_f32_e32 v85, v7, v85
	s_waitcnt lgkmcnt(1)
	v_mul_f32_e32 v85, v85, v38
	ds_bpermute_b32 v38, v108, v83 offset:16
	s_waitcnt lgkmcnt(1)
	v_sub_f32_e32 v86, v106, v86
	v_mul_f32_e32 v86, v8, v86
	v_mov_b32_e32 v106, v6
	s_waitcnt lgkmcnt(0)
	v_mul_f32_e32 v111, v86, v38
	ds_bpermute_b32 v86, v108, v82 offset:20
	ds_bpermute_b32 v38, v108, v83 offset:20
	;; [unrolled: 1-line block ×3, first 2 shown]
	v_mov_b32_e32 v8, v16
	s_waitcnt lgkmcnt(2)
	v_sub_f32_e32 v84, v84, v86
	v_mul_f32_e32 v84, v9, v84
	s_waitcnt lgkmcnt(1)
	v_mul_f32_e32 v87, v84, v38
	ds_bpermute_b32 v84, v108, v82 offset:24
	ds_bpermute_b32 v38, v108, v83 offset:24
	s_waitcnt lgkmcnt(2)
	v_sub_f32_e32 v6, v103, v6
	v_mul_f32_e32 v6, v15, v6
	v_mov_b32_e32 v86, v9
	s_waitcnt lgkmcnt(1)
	v_sub_f32_e32 v84, v105, v84
	v_mul_f32_e32 v84, v10, v84
	s_waitcnt lgkmcnt(0)
	v_mul_f32_e32 v105, v84, v38
	ds_bpermute_b32 v84, v108, v82 offset:28
	ds_bpermute_b32 v38, v108, v83 offset:28
	s_waitcnt lgkmcnt(1)
	v_sub_f32_e32 v3, v3, v84
	v_mul_f32_e32 v3, v11, v3
	s_waitcnt lgkmcnt(0)
	v_mul_f32_e32 v89, v3, v38
	ds_bpermute_b32 v38, v108, v82 offset:32
	ds_bpermute_b32 v3, v108, v83 offset:32
	v_mov_b32_e32 v84, v7
	s_waitcnt lgkmcnt(1)
	v_sub_f32_e32 v38, v104, v38
	v_mul_f32_e32 v38, v12, v38
	s_waitcnt lgkmcnt(0)
	v_mul_f32_e32 v91, v38, v3
	ds_bpermute_b32 v38, v108, v82 offset:36
	ds_bpermute_b32 v3, v108, v83 offset:36
	v_mov_b32_e32 v104, v10
	v_mov_b32_e32 v10, v17
	;; [unrolled: 1-line block ×3, first 2 shown]
	s_waitcnt lgkmcnt(1)
	v_sub_f32_e32 v38, v109, v38
	v_mul_f32_e32 v38, v13, v38
	s_waitcnt lgkmcnt(0)
	v_mul_f32_e32 v113, v38, v3
	ds_bpermute_b32 v38, v108, v82 offset:40
	ds_bpermute_b32 v3, v108, v83 offset:40
	s_waitcnt lgkmcnt(1)
	v_sub_f32_e32 v38, v44, v38
	v_mul_f32_e32 v38, v14, v38
	s_waitcnt lgkmcnt(0)
	v_mul_f32_e32 v115, v38, v3
	ds_bpermute_b32 v3, v108, v83 offset:44
	v_mov_b32_e32 v38, v4
	v_pk_add_f32 v[38:39], v[36:37], v[38:39]
	v_mov_b32_e32 v44, v5
	v_pk_add_f32 v[4:5], v[44:45], v[38:39]
	s_waitcnt lgkmcnt(0)
	v_mul_f32_e32 v7, v6, v3
	ds_bpermute_b32 v6, v108, v82 offset:48
	ds_bpermute_b32 v3, v108, v83 offset:48
	v_pk_add_f32 v[4:5], v[106:107], v[4:5]
	v_mov_b32_e32 v38, v19
	v_pk_add_f32 v[4:5], v[84:85], v[4:5]
	s_waitcnt lgkmcnt(1)
	v_sub_f32_e32 v6, v101, v6
	v_mul_f32_e32 v6, v16, v6
	s_waitcnt lgkmcnt(0)
	v_mul_f32_e32 v9, v6, v3
	ds_bpermute_b32 v6, v108, v82 offset:52
	ds_bpermute_b32 v3, v108, v83 offset:52
	v_pk_add_f32 v[4:5], v[110:111], v[4:5]
	v_mov_b32_e32 v44, v20
	v_pk_add_f32 v[4:5], v[86:87], v[4:5]
	s_waitcnt lgkmcnt(1)
	v_sub_f32_e32 v6, v102, v6
	v_mul_f32_e32 v6, v17, v6
	;; [unrolled: 10-line block ×4, first 2 shown]
	s_waitcnt lgkmcnt(0)
	v_mul_f32_e32 v39, v6, v3
	ds_bpermute_b32 v6, v108, v82 offset:64
	ds_bpermute_b32 v3, v108, v83 offset:64
	v_pk_add_f32 v[4:5], v[114:115], v[4:5]
	v_mov_b32_e32 v88, v23
	v_mov_b32_e32 v90, v24
	s_waitcnt lgkmcnt(1)
	v_sub_f32_e32 v6, v97, v6
	v_mul_f32_e32 v6, v20, v6
	s_waitcnt lgkmcnt(0)
	v_mul_f32_e32 v45, v6, v3
	ds_bpermute_b32 v6, v108, v82 offset:68
	ds_bpermute_b32 v3, v108, v83 offset:68
	v_mov_b32_e32 v14, v30
	v_mov_b32_e32 v16, v31
	;; [unrolled: 1-line block ×3, first 2 shown]
	s_waitcnt lgkmcnt(1)
	v_sub_f32_e32 v6, v98, v6
	v_mul_f32_e32 v6, v21, v6
	s_waitcnt lgkmcnt(0)
	v_mul_f32_e32 v85, v6, v3
	ds_bpermute_b32 v6, v108, v82 offset:72
	ds_bpermute_b32 v3, v108, v83 offset:72
	v_mov_b32_e32 v20, v33
	s_waitcnt lgkmcnt(1)
	v_sub_f32_e32 v6, v95, v6
	v_mul_f32_e32 v6, v22, v6
	s_waitcnt lgkmcnt(0)
	v_mul_f32_e32 v87, v6, v3
	ds_bpermute_b32 v6, v108, v82 offset:76
	ds_bpermute_b32 v3, v108, v83 offset:76
	s_waitcnt lgkmcnt(1)
	v_sub_f32_e32 v6, v96, v6
	v_mul_f32_e32 v6, v23, v6
	s_waitcnt lgkmcnt(0)
	v_mul_f32_e32 v89, v6, v3
	ds_bpermute_b32 v6, v108, v82 offset:80
	ds_bpermute_b32 v3, v108, v83 offset:80
	;; [unrolled: 7-line block ×3, first 2 shown]
	s_waitcnt lgkmcnt(1)
	v_sub_f32_e32 v6, v94, v6
	v_mul_f32_e32 v6, v25, v6
	s_waitcnt lgkmcnt(0)
	v_mul_f32_e32 v95, v6, v3
	v_mov_b32_e32 v6, v15
	v_pk_add_f32 v[4:5], v[6:7], v[4:5]
	ds_bpermute_b32 v6, v108, v82 offset:88
	ds_bpermute_b32 v3, v108, v83 offset:88
	v_accvgpr_read_b32 v7, a87
	v_pk_add_f32 v[4:5], v[8:9], v[4:5]
	v_accvgpr_read_b32 v8, a85
	s_waitcnt lgkmcnt(1)
	v_sub_f32_e32 v6, v7, v6
	v_mul_f32_e32 v6, v26, v6
	s_waitcnt lgkmcnt(0)
	v_mul_f32_e32 v7, v6, v3
	ds_bpermute_b32 v6, v108, v82 offset:92
	ds_bpermute_b32 v3, v108, v83 offset:92
	v_pk_add_f32 v[4:5], v[10:11], v[4:5]
	v_mov_b32_e32 v94, v25
	v_pk_add_f32 v[4:5], v[12:13], v[4:5]
	s_waitcnt lgkmcnt(1)
	v_sub_f32_e32 v6, v92, v6
	v_mul_f32_e32 v6, v27, v6
	s_waitcnt lgkmcnt(0)
	v_mul_f32_e32 v9, v6, v3
	ds_bpermute_b32 v6, v108, v82 offset:96
	ds_bpermute_b32 v3, v108, v83 offset:96
	v_pk_add_f32 v[4:5], v[38:39], v[4:5]
	v_mov_b32_e32 v10, v28
	v_pk_add_f32 v[4:5], v[44:45], v[4:5]
	s_waitcnt lgkmcnt(1)
	v_sub_f32_e32 v6, v8, v6
	v_mul_f32_e32 v6, v28, v6
	s_waitcnt lgkmcnt(0)
	v_mul_f32_e32 v11, v6, v3
	ds_bpermute_b32 v6, v108, v82 offset:100
	ds_bpermute_b32 v3, v108, v83 offset:100
	v_accvgpr_read_b32 v8, a86
	v_pk_add_f32 v[4:5], v[84:85], v[4:5]
	v_mov_b32_e32 v12, v29
	s_waitcnt lgkmcnt(1)
	v_sub_f32_e32 v6, v8, v6
	v_mul_f32_e32 v6, v29, v6
	s_waitcnt lgkmcnt(0)
	v_mul_f32_e32 v13, v6, v3
	ds_bpermute_b32 v6, v108, v82 offset:104
	ds_bpermute_b32 v3, v108, v83 offset:104
	v_accvgpr_read_b32 v8, a83
	v_pk_add_f32 v[4:5], v[86:87], v[4:5]
	s_waitcnt lgkmcnt(1)
	v_sub_f32_e32 v6, v8, v6
	v_mul_f32_e32 v6, v30, v6
	s_waitcnt lgkmcnt(0)
	v_mul_f32_e32 v15, v6, v3
	ds_bpermute_b32 v6, v108, v82 offset:108
	ds_bpermute_b32 v3, v108, v83 offset:108
	v_accvgpr_read_b32 v8, a84
	v_pk_add_f32 v[4:5], v[88:89], v[4:5]
	;; [unrolled: 9-line block ×4, first 2 shown]
	s_waitcnt lgkmcnt(1)
	v_sub_f32_e32 v6, v8, v6
	v_mul_f32_e32 v6, v33, v6
	s_waitcnt lgkmcnt(0)
	v_mul_f32_e32 v21, v6, v3
	v_mov_b32_e32 v6, v26
	v_pk_add_f32 v[4:5], v[6:7], v[4:5]
	v_mov_b32_e32 v8, v27
	ds_bpermute_b32 v6, v108, v82 offset:120
	v_pk_add_f32 v[4:5], v[8:9], v[4:5]
	ds_bpermute_b32 v3, v108, v83 offset:120
	v_pk_add_f32 v[4:5], v[10:11], v[4:5]
	s_waitcnt lgkmcnt(1)
	v_sub_f32_e32 v6, v116, v6
	v_pk_add_f32 v[4:5], v[12:13], v[4:5]
	v_mul_f32_e32 v6, v34, v6
	v_pk_add_f32 v[4:5], v[14:15], v[4:5]
	s_waitcnt lgkmcnt(0)
	v_mul_f32_e32 v7, v6, v3
	v_pk_add_f32 v[4:5], v[16:17], v[4:5]
	v_mov_b32_e32 v6, v34
	v_pk_add_f32 v[4:5], v[18:19], v[4:5]
	ds_bpermute_b32 v3, v108, v83 offset:124
	v_pk_add_f32 v[4:5], v[20:21], v[4:5]
	s_nop 0
	v_pk_add_f32 v[6:7], v[6:7], v[4:5]
	ds_bpermute_b32 v4, v108, v82 offset:124
	s_waitcnt lgkmcnt(0)
	v_sub_f32_e32 v4, v117, v4
	v_mul_f32_e32 v4, v35, v4
	v_mul_f32_e32 v5, v4, v3
	v_mov_b32_e32 v4, v35
.LBB51_219:                             ;   in Loop: Header=BB51_149 Depth=1
	s_and_b64 vcc, exec, s[18:19]
	s_cbranch_vccz .LBB51_225
; %bb.220:                              ;   in Loop: Header=BB51_149 Depth=1
	s_load_dword s3, s[6:7], 0x0
	v_accvgpr_read_b32 v4, a0
	v_accvgpr_read_b32 v5, a1
	v_mov_b32_e32 v109, 0
	s_waitcnt lgkmcnt(0)
	s_cmp_lt_u32 s2, s3
	s_cselect_b32 s3, 12, 18
	s_add_u32 s18, s6, s3
	s_addc_u32 s19, s7, 0
	global_load_ushort v3, v2, s[18:19]
	s_waitcnt vmcnt(0)
	v_mad_u32_u24 v3, v5, v3, v4
	v_and_b32_e32 v4, 63, v3
	v_cmp_gt_u32_e32 vcc, 32, v4
	v_mov_b32_e32 v3, 0
	s_and_saveexec_b64 s[18:19], vcc
	s_cbranch_execz .LBB51_224
; %bb.221:                              ;   in Loop: Header=BB51_149 Depth=1
	v_mov_b32_e32 v5, v2
	v_lshl_add_u64 v[4:5], v[42:43], 0, v[4:5]
	v_cmp_gt_i64_e32 vcc, s[12:13], v[4:5]
	v_mov_b32_e32 v3, 0
	v_mov_b32_e32 v109, 0
	s_and_saveexec_b64 s[28:29], vcc
	s_cbranch_execz .LBB51_223
; %bb.222:                              ;   in Loop: Header=BB51_149 Depth=1
	v_lshlrev_b64 v[4:5], 2, v[4:5]
	v_lshl_add_u64 v[6:7], s[22:23], 0, v[4:5]
	v_lshl_add_u64 v[4:5], s[20:21], 0, v[4:5]
	global_load_dword v3, v[4:5], off
	global_load_dword v109, v[6:7], off
.LBB51_223:                             ;   in Loop: Header=BB51_149 Depth=1
	s_or_b64 exec, exec, s[28:29]
.LBB51_224:                             ;   in Loop: Header=BB51_149 Depth=1
	s_or_b64 exec, exec, s[18:19]
	v_accvgpr_read_b32 v4, a4
	v_accvgpr_read_b32 v5, a5
	v_lshl_add_u64 v[4:5], v[4:5], 0, v[40:41]
	global_load_dword v88, v[4:5], off
	v_accvgpr_read_b32 v4, a6
	v_accvgpr_read_b32 v5, a7
	v_lshl_add_u64 v[4:5], v[4:5], 0, v[40:41]
	global_load_dword v25, v[4:5], off
	;; [unrolled: 4-line block ×13, first 2 shown]
	v_lshl_add_u64 v[4:5], v[118:119], 0, v[40:41]
	global_load_dword v101, v[4:5], off
	v_accvgpr_read_b32 v4, a20
	v_accvgpr_read_b32 v5, a21
	v_lshl_add_u64 v[4:5], v[4:5], 0, v[40:41]
	global_load_dword v102, v[4:5], off
	v_lshl_add_u64 v[4:5], v[120:121], 0, v[40:41]
	global_load_dword v103, v[4:5], off
	v_accvgpr_read_b32 v4, a22
	v_accvgpr_read_b32 v5, a23
	v_lshl_add_u64 v[4:5], v[4:5], 0, v[40:41]
	global_load_dword v104, v[4:5], off
	;; [unrolled: 6-line block ×8, first 2 shown]
	v_lshl_add_u64 v[4:5], v[134:135], 0, v[40:41]
	global_load_dword v116, v[4:5], off
	v_accvgpr_read_b32 v4, a36
	s_waitcnt vmcnt(31)
	ds_bpermute_b32 v91, v108, v3
	v_accvgpr_read_b32 v5, a37
	v_lshl_add_u64 v[4:5], v[4:5], 0, v[40:41]
	s_waitcnt vmcnt(30)
	ds_bpermute_b32 v89, v108, v109
	global_load_dword v32, v[4:5], off
	v_lshl_add_u64 v[4:5], v[136:137], 0, v[40:41]
	global_load_dword v33, v[4:5], off
	v_accvgpr_read_b32 v4, a38
	v_accvgpr_read_b32 v5, a39
	s_waitcnt vmcnt(30) lgkmcnt(1)
	v_sub_f32_e32 v25, v25, v91
	ds_bpermute_b32 v91, v108, v3 offset:4
	v_lshl_add_u64 v[4:5], v[4:5], 0, v[40:41]
	v_mul_f32_e32 v25, v88, v25
	global_load_dword v34, v[4:5], off
	v_lshl_add_u64 v[4:5], v[138:139], 0, v[40:41]
	s_waitcnt lgkmcnt(1)
	v_mul_f32_e32 v89, v25, v89
	ds_bpermute_b32 v25, v108, v109 offset:4
	global_load_dword v35, v[4:5], off
	v_accvgpr_read_b32 v4, a40
	v_accvgpr_read_b32 v5, a41
	v_lshl_add_u64 v[4:5], v[4:5], 0, v[40:41]
	s_waitcnt vmcnt(30) lgkmcnt(1)
	v_sub_f32_e32 v27, v27, v91
	global_load_dword v42, v[4:5], off
	v_lshl_add_u64 v[4:5], v[140:141], 0, v[40:41]
	v_mul_f32_e32 v27, v90, v27
	global_load_dword v43, v[4:5], off
	v_accvgpr_read_b32 v4, a42
	s_waitcnt lgkmcnt(0)
	v_mul_f32_e32 v91, v27, v25
	ds_bpermute_b32 v27, v108, v3 offset:8
	v_accvgpr_read_b32 v5, a43
	v_lshl_add_u64 v[4:5], v[4:5], 0, v[40:41]
	ds_bpermute_b32 v25, v108, v109 offset:8
	global_load_dword v82, v[4:5], off
	v_lshl_add_u64 v[4:5], v[142:143], 0, v[40:41]
	global_load_dword v83, v[4:5], off
	v_accvgpr_read_b32 v4, a44
	v_accvgpr_read_b32 v5, a45
	s_waitcnt vmcnt(32) lgkmcnt(1)
	v_sub_f32_e32 v27, v29, v27
	v_lshl_add_u64 v[4:5], v[4:5], 0, v[40:41]
	v_mul_f32_e32 v27, v92, v27
	global_load_dword v44, v[4:5], off
	v_lshl_add_u64 v[4:5], v[144:145], 0, v[40:41]
	s_waitcnt lgkmcnt(0)
	v_mul_f32_e32 v93, v27, v25
	ds_bpermute_b32 v27, v108, v3 offset:12
	global_load_dword v45, v[4:5], off
	v_accvgpr_read_b32 v4, a46
	v_accvgpr_read_b32 v5, a47
	ds_bpermute_b32 v25, v108, v109 offset:12
	v_lshl_add_u64 v[4:5], v[4:5], 0, v[40:41]
	global_load_dword v84, v[4:5], off
	v_lshl_add_u64 v[4:5], v[146:147], 0, v[40:41]
	global_load_dword v85, v[4:5], off
	v_accvgpr_read_b32 v4, a48
	s_waitcnt vmcnt(34) lgkmcnt(1)
	v_sub_f32_e32 v27, v31, v27
	v_accvgpr_read_b32 v5, a49
	v_mul_f32_e32 v27, v94, v27
	v_lshl_add_u64 v[4:5], v[4:5], 0, v[40:41]
	s_waitcnt lgkmcnt(0)
	v_mul_f32_e32 v95, v27, v25
	ds_bpermute_b32 v27, v108, v3 offset:16
	global_load_dword v86, v[4:5], off
	v_lshl_add_u64 v[4:5], v[148:149], 0, v[40:41]
	global_load_dword v87, v[4:5], off
	v_accvgpr_read_b32 v4, a50
	ds_bpermute_b32 v25, v108, v109 offset:16
	v_accvgpr_read_b32 v5, a51
	v_lshl_add_u64 v[4:5], v[4:5], 0, v[40:41]
	global_load_dword v8, v[4:5], off
	v_lshl_add_u64 v[4:5], v[150:151], 0, v[40:41]
	s_waitcnt vmcnt(35) lgkmcnt(1)
	v_sub_f32_e32 v27, v39, v27
	global_load_dword v9, v[4:5], off
	v_mul_f32_e32 v27, v96, v27
	v_accvgpr_read_b32 v4, a52
	s_waitcnt lgkmcnt(0)
	v_mul_f32_e32 v97, v27, v25
	ds_bpermute_b32 v27, v108, v3 offset:20
	v_accvgpr_read_b32 v5, a53
	v_lshl_add_u64 v[4:5], v[4:5], 0, v[40:41]
	ds_bpermute_b32 v25, v108, v109 offset:20
	global_load_dword v10, v[4:5], off
	v_lshl_add_u64 v[4:5], v[152:153], 0, v[40:41]
	global_load_dword v11, v[4:5], off
	v_accvgpr_read_b32 v4, a54
	s_waitcnt vmcnt(36) lgkmcnt(1)
	v_sub_f32_e32 v27, v99, v27
	v_accvgpr_read_b32 v5, a55
	v_mul_f32_e32 v27, v98, v27
	v_lshl_add_u64 v[4:5], v[4:5], 0, v[40:41]
	s_waitcnt lgkmcnt(0)
	v_mul_f32_e32 v99, v27, v25
	ds_bpermute_b32 v27, v108, v3 offset:24
	global_load_dword v12, v[4:5], off
	v_lshl_add_u64 v[4:5], v[154:155], 0, v[40:41]
	global_load_dword v13, v[4:5], off
	ds_bpermute_b32 v25, v108, v109 offset:24
	v_accvgpr_read_b32 v4, a56
	v_accvgpr_read_b32 v5, a57
	v_lshl_add_u64 v[4:5], v[4:5], 0, v[40:41]
	s_waitcnt vmcnt(36) lgkmcnt(1)
	v_sub_f32_e32 v27, v101, v27
	global_load_dword v14, v[4:5], off
	v_lshl_add_u64 v[4:5], v[156:157], 0, v[40:41]
	v_mul_f32_e32 v27, v100, v27
	global_load_dword v15, v[4:5], off
	s_waitcnt lgkmcnt(0)
	v_mul_f32_e32 v101, v27, v25
	ds_bpermute_b32 v27, v108, v3 offset:28
	v_accvgpr_read_b32 v4, a58
	v_accvgpr_read_b32 v5, a59
	ds_bpermute_b32 v25, v108, v109 offset:28
	v_lshl_add_u64 v[4:5], v[4:5], 0, v[40:41]
	global_load_dword v16, v[4:5], off
	v_lshl_add_u64 v[4:5], v[158:159], 0, v[40:41]
	global_load_dword v17, v[4:5], off
	v_accvgpr_read_b32 v4, a60
	s_waitcnt vmcnt(38) lgkmcnt(1)
	v_sub_f32_e32 v27, v103, v27
	v_accvgpr_read_b32 v5, a61
	v_mul_f32_e32 v27, v102, v27
	v_lshl_add_u64 v[4:5], v[4:5], 0, v[40:41]
	s_waitcnt lgkmcnt(0)
	v_mul_f32_e32 v103, v27, v25
	ds_bpermute_b32 v27, v108, v3 offset:32
	global_load_dword v18, v[4:5], off
	v_lshl_add_u64 v[4:5], v[160:161], 0, v[40:41]
	global_load_dword v19, v[4:5], off
	v_accvgpr_read_b32 v4, a62
	ds_bpermute_b32 v25, v108, v109 offset:32
	v_accvgpr_read_b32 v5, a63
	v_lshl_add_u64 v[4:5], v[4:5], 0, v[40:41]
	global_load_dword v20, v[4:5], off
	v_lshl_add_u64 v[4:5], v[162:163], 0, v[40:41]
	s_waitcnt vmcnt(39) lgkmcnt(1)
	v_sub_f32_e32 v27, v105, v27
	global_load_dword v21, v[4:5], off
	v_accvgpr_read_b32 v4, a64
	v_mul_f32_e32 v27, v104, v27
	v_accvgpr_read_b32 v5, a65
	s_waitcnt lgkmcnt(0)
	v_mul_f32_e32 v105, v27, v25
	ds_bpermute_b32 v27, v108, v3 offset:36
	v_lshl_add_u64 v[4:5], v[4:5], 0, v[40:41]
	global_load_dword v22, v[4:5], off
	v_lshl_add_u64 v[4:5], v[164:165], 0, v[40:41]
	ds_bpermute_b32 v25, v108, v109 offset:36
	global_load_dword v23, v[4:5], off
	v_accvgpr_read_b32 v4, a66
	v_accvgpr_read_b32 v5, a67
	v_lshl_add_u64 v[4:5], v[4:5], 0, v[40:41]
	s_waitcnt vmcnt(40) lgkmcnt(1)
	v_sub_f32_e32 v27, v107, v27
	global_load_dword v6, v[4:5], off
	v_lshl_add_u64 v[4:5], v[166:167], 0, v[40:41]
	v_mul_f32_e32 v27, v106, v27
	global_load_dword v7, v[4:5], off
	s_waitcnt lgkmcnt(0)
	v_mul_f32_e32 v107, v27, v25
	ds_bpermute_b32 v27, v108, v3 offset:40
	ds_bpermute_b32 v25, v108, v109 offset:40
	v_accvgpr_read_b32 v4, a68
	v_accvgpr_read_b32 v5, a69
	v_lshl_add_u64 v[4:5], v[4:5], 0, v[40:41]
	v_lshl_add_u64 v[110:111], v[168:169], 0, v[40:41]
	s_waitcnt vmcnt(40) lgkmcnt(1)
	v_sub_f32_e32 v27, v112, v27
	global_load_dword v4, v[4:5], off
	v_mul_f32_e32 v27, v38, v27
	global_load_dword v5, v[110:111], off
	s_waitcnt lgkmcnt(0)
	v_mul_f32_e32 v39, v27, v25
	ds_bpermute_b32 v27, v108, v3 offset:44
	ds_bpermute_b32 v25, v108, v109 offset:44
	v_pk_add_f32 v[36:37], v[36:37], v[88:89]
	ds_bpermute_b32 v29, v108, v3 offset:48
	v_pk_add_f32 v[36:37], v[36:37], v[90:91]
	s_waitcnt vmcnt(40) lgkmcnt(2)
	v_sub_f32_e32 v27, v113, v27
	v_mul_f32_e32 v27, v24, v27
	v_pk_add_f32 v[36:37], v[36:37], v[92:93]
	s_waitcnt lgkmcnt(1)
	v_mul_f32_e32 v25, v27, v25
	ds_bpermute_b32 v27, v108, v109 offset:48
	v_pk_add_f32 v[36:37], v[36:37], v[94:95]
	s_waitcnt vmcnt(38) lgkmcnt(1)
	v_sub_f32_e32 v29, v114, v29
	v_pk_add_f32 v[36:37], v[36:37], v[96:97]
	ds_bpermute_b32 v31, v108, v3 offset:52
	v_pk_add_f32 v[36:37], v[36:37], v[98:99]
	v_mul_f32_e32 v29, v26, v29
	v_pk_add_f32 v[36:37], v[36:37], v[100:101]
	s_waitcnt lgkmcnt(1)
	v_mul_f32_e32 v27, v29, v27
	v_pk_add_f32 v[36:37], v[36:37], v[102:103]
	ds_bpermute_b32 v29, v108, v109 offset:52
	v_pk_add_f32 v[36:37], v[36:37], v[104:105]
	s_waitcnt vmcnt(36) lgkmcnt(1)
	v_sub_f32_e32 v31, v115, v31
	v_pk_add_f32 v[36:37], v[36:37], v[106:107]
	v_mul_f32_e32 v31, v28, v31
	v_pk_add_f32 v[36:37], v[36:37], v[38:39]
	ds_bpermute_b32 v38, v108, v3 offset:56
	s_waitcnt lgkmcnt(1)
	v_mul_f32_e32 v29, v31, v29
	ds_bpermute_b32 v31, v108, v109 offset:56
	ds_bpermute_b32 v39, v108, v3 offset:60
	v_pk_add_f32 v[24:25], v[36:37], v[24:25]
	s_waitcnt vmcnt(34) lgkmcnt(2)
	v_sub_f32_e32 v38, v116, v38
	v_mul_f32_e32 v38, v30, v38
	s_waitcnt lgkmcnt(1)
	v_mul_f32_e32 v31, v38, v31
	ds_bpermute_b32 v38, v108, v109 offset:60
	s_waitcnt vmcnt(32) lgkmcnt(1)
	v_sub_f32_e32 v33, v33, v39
	ds_bpermute_b32 v39, v108, v3 offset:64
	v_mul_f32_e32 v33, v32, v33
	v_pk_add_f32 v[24:25], v[24:25], v[26:27]
	s_waitcnt lgkmcnt(1)
	v_mul_f32_e32 v33, v33, v38
	ds_bpermute_b32 v38, v108, v109 offset:64
	s_waitcnt vmcnt(30) lgkmcnt(1)
	v_sub_f32_e32 v35, v35, v39
	ds_bpermute_b32 v39, v108, v3 offset:68
	v_mul_f32_e32 v35, v34, v35
	ds_bpermute_b32 v27, v108, v3 offset:88
	s_waitcnt lgkmcnt(2)
	v_mul_f32_e32 v35, v35, v38
	ds_bpermute_b32 v38, v108, v109 offset:68
	ds_bpermute_b32 v26, v108, v109 offset:88
	s_waitcnt vmcnt(28) lgkmcnt(3)
	v_sub_f32_e32 v39, v43, v39
	v_mul_f32_e32 v39, v42, v39
	s_waitcnt vmcnt(18) lgkmcnt(2)
	v_sub_f32_e32 v9, v9, v27
	s_waitcnt lgkmcnt(1)
	v_mul_f32_e32 v43, v39, v38
	ds_bpermute_b32 v39, v108, v3 offset:72
	ds_bpermute_b32 v27, v108, v3 offset:92
	v_mul_f32_e32 v9, v8, v9
	ds_bpermute_b32 v38, v108, v109 offset:72
	s_waitcnt lgkmcnt(3)
	v_mul_f32_e32 v9, v9, v26
	ds_bpermute_b32 v26, v108, v109 offset:92
	s_waitcnt lgkmcnt(3)
	v_sub_f32_e32 v39, v83, v39
	s_waitcnt vmcnt(16) lgkmcnt(2)
	v_sub_f32_e32 v11, v11, v27
	ds_bpermute_b32 v27, v108, v3 offset:96
	v_mul_f32_e32 v39, v82, v39
	v_mul_f32_e32 v11, v10, v11
	s_waitcnt lgkmcnt(2)
	v_mul_f32_e32 v83, v39, v38
	ds_bpermute_b32 v39, v108, v3 offset:76
	s_waitcnt lgkmcnt(2)
	v_mul_f32_e32 v11, v11, v26
	ds_bpermute_b32 v26, v108, v109 offset:96
	ds_bpermute_b32 v38, v108, v109 offset:76
	s_waitcnt vmcnt(14) lgkmcnt(3)
	v_sub_f32_e32 v13, v13, v27
	ds_bpermute_b32 v27, v108, v3 offset:100
	v_mul_f32_e32 v13, v12, v13
	s_waitcnt lgkmcnt(3)
	v_sub_f32_e32 v39, v45, v39
	s_waitcnt lgkmcnt(2)
	v_mul_f32_e32 v13, v13, v26
	ds_bpermute_b32 v26, v108, v109 offset:100
	v_mul_f32_e32 v39, v44, v39
	s_waitcnt lgkmcnt(2)
	v_mul_f32_e32 v45, v39, v38
	ds_bpermute_b32 v39, v108, v3 offset:80
	s_waitcnt vmcnt(12) lgkmcnt(2)
	v_sub_f32_e32 v15, v15, v27
	ds_bpermute_b32 v27, v108, v3 offset:104
	ds_bpermute_b32 v38, v108, v109 offset:80
	v_mul_f32_e32 v15, v14, v15
	s_waitcnt lgkmcnt(3)
	v_mul_f32_e32 v15, v15, v26
	ds_bpermute_b32 v26, v108, v109 offset:104
	s_waitcnt lgkmcnt(3)
	v_sub_f32_e32 v39, v85, v39
	v_mul_f32_e32 v39, v84, v39
	s_waitcnt vmcnt(10) lgkmcnt(2)
	v_sub_f32_e32 v17, v17, v27
	ds_bpermute_b32 v27, v108, v3 offset:108
	s_waitcnt lgkmcnt(2)
	v_mul_f32_e32 v85, v39, v38
	ds_bpermute_b32 v39, v108, v3 offset:84
	v_pk_add_f32 v[24:25], v[24:25], v[28:29]
	v_mul_f32_e32 v17, v16, v17
	v_pk_add_f32 v[24:25], v[24:25], v[30:31]
	s_waitcnt lgkmcnt(2)
	v_mul_f32_e32 v17, v17, v26
	ds_bpermute_b32 v26, v108, v109 offset:108
	ds_bpermute_b32 v38, v108, v109 offset:84
	v_pk_add_f32 v[24:25], v[24:25], v[32:33]
	s_waitcnt vmcnt(8) lgkmcnt(3)
	v_sub_f32_e32 v19, v19, v27
	v_pk_add_f32 v[24:25], v[24:25], v[34:35]
	ds_bpermute_b32 v27, v108, v3 offset:112
	v_pk_add_f32 v[24:25], v[24:25], v[42:43]
	s_waitcnt lgkmcnt(3)
	v_sub_f32_e32 v39, v87, v39
	v_pk_add_f32 v[24:25], v[24:25], v[82:83]
	v_mul_f32_e32 v19, v18, v19
	v_mul_f32_e32 v39, v86, v39
	v_pk_add_f32 v[24:25], v[24:25], v[44:45]
	s_waitcnt lgkmcnt(2)
	v_mul_f32_e32 v19, v19, v26
	ds_bpermute_b32 v26, v108, v109 offset:112
	s_waitcnt lgkmcnt(2)
	v_mul_f32_e32 v87, v39, v38
	v_pk_add_f32 v[24:25], v[24:25], v[84:85]
	s_waitcnt vmcnt(6) lgkmcnt(1)
	v_sub_f32_e32 v21, v21, v27
	v_pk_add_f32 v[24:25], v[24:25], v[86:87]
	ds_bpermute_b32 v27, v108, v3 offset:116
	v_pk_add_f32 v[8:9], v[24:25], v[8:9]
	v_mul_f32_e32 v21, v20, v21
	v_pk_add_f32 v[8:9], v[8:9], v[10:11]
	ds_bpermute_b32 v11, v108, v3 offset:120
	s_waitcnt lgkmcnt(2)
	v_mul_f32_e32 v21, v21, v26
	ds_bpermute_b32 v26, v108, v109 offset:116
	v_pk_add_f32 v[8:9], v[8:9], v[12:13]
	ds_bpermute_b32 v10, v108, v109 offset:120
	v_pk_add_f32 v[8:9], v[8:9], v[14:15]
	s_waitcnt vmcnt(4) lgkmcnt(3)
	v_sub_f32_e32 v23, v23, v27
	v_pk_add_f32 v[8:9], v[8:9], v[16:17]
	v_mul_f32_e32 v23, v22, v23
	v_pk_add_f32 v[8:9], v[8:9], v[18:19]
	s_waitcnt vmcnt(2) lgkmcnt(2)
	v_sub_f32_e32 v7, v7, v11
	s_waitcnt lgkmcnt(1)
	v_mul_f32_e32 v23, v23, v26
	v_pk_add_f32 v[8:9], v[8:9], v[20:21]
	v_mul_f32_e32 v7, v6, v7
	ds_bpermute_b32 v3, v108, v3 offset:124
	v_pk_add_f32 v[8:9], v[8:9], v[22:23]
	s_waitcnt lgkmcnt(1)
	v_mul_f32_e32 v7, v7, v10
	v_pk_add_f32 v[6:7], v[8:9], v[6:7]
	ds_bpermute_b32 v8, v108, v109 offset:124
	s_waitcnt vmcnt(0) lgkmcnt(1)
	v_sub_f32_e32 v3, v5, v3
	v_mul_f32_e32 v3, v4, v3
	s_waitcnt lgkmcnt(0)
	v_mul_f32_e32 v5, v3, v8
.LBB51_225:                             ;   in Loop: Header=BB51_149 Depth=1
	s_add_u32 s16, s16, s4
	v_pk_add_f32 v[36:37], v[6:7], v[4:5]
	s_addc_u32 s17, s17, 0
	v_mov_b64_e32 v[4:5], s[12:13]
	v_cmp_ge_i64_e32 vcc, s[16:17], v[4:5]
	v_accvgpr_read_b32 v4, a4
	v_accvgpr_read_b32 v5, a5
	v_lshl_add_u64 v[4:5], v[4:5], 0, s[24:25]
	v_accvgpr_write_b32 a4, v4
	v_accvgpr_write_b32 a5, v5
	v_accvgpr_read_b32 v4, a6
	v_accvgpr_read_b32 v5, a7
	v_lshl_add_u64 v[4:5], v[4:5], 0, s[24:25]
	v_accvgpr_write_b32 a7, v5
	v_accvgpr_write_b32 a6, v4
	;; [unrolled: 5-line block ×36, first 2 shown]
	v_accvgpr_read_b32 v4, a76
	v_accvgpr_read_b32 v5, a77
	v_lshl_add_u64 v[4:5], v[4:5], 0, s[24:25]
	v_accvgpr_write_b32 a77, v5
	v_accvgpr_read_b32 v103, a3
	v_accvgpr_write_b32 a76, v4
	v_accvgpr_read_b32 v4, a78
	v_accvgpr_read_b32 v102, a2
	;; [unrolled: 1-line block ×3, first 2 shown]
	s_add_u32 s26, s26, s4
	v_lshl_add_u64 v[102:103], v[102:103], 0, s[4:5]
	v_lshl_add_u64 v[4:5], v[4:5], 0, s[24:25]
	;; [unrolled: 1-line block ×90, first 2 shown]
	s_addc_u32 s27, 0, s27
	s_cbranch_vccnz .LBB51_227
; %bb.226:                              ;   in Loop: Header=BB51_149 Depth=1
	v_accvgpr_write_b32 a79, v5
	v_accvgpr_write_b32 a78, v4
	s_branch .LBB51_149
.LBB51_227:
	v_accvgpr_read_b32 v0, a80
.LBB51_228:
	s_mov_b32 s3, 0
	s_lshl_b64 s[2:3], s[2:3], 6
	v_and_b32_e32 v1, 0x3ff, v0
	v_or_b32_e32 v8, s2, v1
	v_mov_b32_e32 v9, s3
	v_cmp_gt_i64_e32 vcc, s[14:15], v[8:9]
	s_and_saveexec_b64 s[2:3], vcc
	s_cbranch_execz .LBB51_233
; %bb.229:
	s_load_dword s2, s[0:1], 0x4c
	s_load_dwordx4 s[4:7], s[0:1], 0x30
	v_bfe_u32 v2, v0, 10, 10
	v_mov_b32_e32 v3, 0
	v_mov_b32_e32 v4, s8
	s_waitcnt lgkmcnt(0)
	s_lshr_b32 s0, s2, 16
	v_mad_u64_u32 v[2:3], s[0:1], s0, v4, v[2:3]
	s_cmp_eq_u64 s[4:5], 0
	v_mul_lo_u32 v3, v3, s14
	v_mul_lo_u32 v4, v2, s15
	s_cbranch_scc1 .LBB51_231
; %bb.230:
	v_mad_u64_u32 v[6:7], s[0:1], v2, s14, 0
	v_add3_u32 v7, v7, v4, v3
	v_lshl_add_u64 v[6:7], v[6:7], 2, s[4:5]
	v_lshl_add_u64 v[6:7], v[8:9], 2, v[6:7]
	global_store_dword v[6:7], v37, off
.LBB51_231:
	s_cmp_eq_u64 s[6:7], 0
	s_cbranch_scc1 .LBB51_233
; %bb.232:
	v_mad_u64_u32 v[6:7], s[0:1], v2, s14, 0
	v_add3_u32 v7, v7, v4, v3
	v_lshl_add_u64 v[2:3], v[6:7], 2, s[6:7]
	v_lshl_add_u64 v[0:1], v[8:9], 2, v[2:3]
	global_store_dword v[0:1], v36, off
.LBB51_233:
	s_endpgm
	.section	.rodata,"a",@progbits
	.p2align	6, 0x0
	.amdhsa_kernel _ZN2at6native12_GLOBAL__N_135GammaBetaBackwardCUDAKernelTemplateIffLj64ELj1ELj32ELb1ELb0ELb0EEEvllPKT_S5_PKT0_S8_PS3_S9_
		.amdhsa_group_segment_fixed_size 0
		.amdhsa_private_segment_fixed_size 0
		.amdhsa_kernarg_size 320
		.amdhsa_user_sgpr_count 2
		.amdhsa_user_sgpr_dispatch_ptr 0
		.amdhsa_user_sgpr_queue_ptr 0
		.amdhsa_user_sgpr_kernarg_segment_ptr 1
		.amdhsa_user_sgpr_dispatch_id 0
		.amdhsa_user_sgpr_kernarg_preload_length 0
		.amdhsa_user_sgpr_kernarg_preload_offset 0
		.amdhsa_user_sgpr_private_segment_size 0
		.amdhsa_uses_dynamic_stack 0
		.amdhsa_enable_private_segment 0
		.amdhsa_system_sgpr_workgroup_id_x 1
		.amdhsa_system_sgpr_workgroup_id_y 1
		.amdhsa_system_sgpr_workgroup_id_z 0
		.amdhsa_system_sgpr_workgroup_info 0
		.amdhsa_system_vgpr_workitem_id 1
		.amdhsa_next_free_vgpr 344
		.amdhsa_next_free_sgpr 40
		.amdhsa_accum_offset 256
		.amdhsa_reserve_vcc 1
		.amdhsa_float_round_mode_32 0
		.amdhsa_float_round_mode_16_64 0
		.amdhsa_float_denorm_mode_32 3
		.amdhsa_float_denorm_mode_16_64 3
		.amdhsa_dx10_clamp 1
		.amdhsa_ieee_mode 1
		.amdhsa_fp16_overflow 0
		.amdhsa_tg_split 0
		.amdhsa_exception_fp_ieee_invalid_op 0
		.amdhsa_exception_fp_denorm_src 0
		.amdhsa_exception_fp_ieee_div_zero 0
		.amdhsa_exception_fp_ieee_overflow 0
		.amdhsa_exception_fp_ieee_underflow 0
		.amdhsa_exception_fp_ieee_inexact 0
		.amdhsa_exception_int_div_zero 0
	.end_amdhsa_kernel
	.section	.text._ZN2at6native12_GLOBAL__N_135GammaBetaBackwardCUDAKernelTemplateIffLj64ELj1ELj32ELb1ELb0ELb0EEEvllPKT_S5_PKT0_S8_PS3_S9_,"axG",@progbits,_ZN2at6native12_GLOBAL__N_135GammaBetaBackwardCUDAKernelTemplateIffLj64ELj1ELj32ELb1ELb0ELb0EEEvllPKT_S5_PKT0_S8_PS3_S9_,comdat
.Lfunc_end51:
	.size	_ZN2at6native12_GLOBAL__N_135GammaBetaBackwardCUDAKernelTemplateIffLj64ELj1ELj32ELb1ELb0ELb0EEEvllPKT_S5_PKT0_S8_PS3_S9_, .Lfunc_end51-_ZN2at6native12_GLOBAL__N_135GammaBetaBackwardCUDAKernelTemplateIffLj64ELj1ELj32ELb1ELb0ELb0EEEvllPKT_S5_PKT0_S8_PS3_S9_
                                        ; -- End function
	.set _ZN2at6native12_GLOBAL__N_135GammaBetaBackwardCUDAKernelTemplateIffLj64ELj1ELj32ELb1ELb0ELb0EEEvllPKT_S5_PKT0_S8_PS3_S9_.num_vgpr, 256
	.set _ZN2at6native12_GLOBAL__N_135GammaBetaBackwardCUDAKernelTemplateIffLj64ELj1ELj32ELb1ELb0ELb0EEEvllPKT_S5_PKT0_S8_PS3_S9_.num_agpr, 88
	.set _ZN2at6native12_GLOBAL__N_135GammaBetaBackwardCUDAKernelTemplateIffLj64ELj1ELj32ELb1ELb0ELb0EEEvllPKT_S5_PKT0_S8_PS3_S9_.numbered_sgpr, 40
	.set _ZN2at6native12_GLOBAL__N_135GammaBetaBackwardCUDAKernelTemplateIffLj64ELj1ELj32ELb1ELb0ELb0EEEvllPKT_S5_PKT0_S8_PS3_S9_.num_named_barrier, 0
	.set _ZN2at6native12_GLOBAL__N_135GammaBetaBackwardCUDAKernelTemplateIffLj64ELj1ELj32ELb1ELb0ELb0EEEvllPKT_S5_PKT0_S8_PS3_S9_.private_seg_size, 0
	.set _ZN2at6native12_GLOBAL__N_135GammaBetaBackwardCUDAKernelTemplateIffLj64ELj1ELj32ELb1ELb0ELb0EEEvllPKT_S5_PKT0_S8_PS3_S9_.uses_vcc, 1
	.set _ZN2at6native12_GLOBAL__N_135GammaBetaBackwardCUDAKernelTemplateIffLj64ELj1ELj32ELb1ELb0ELb0EEEvllPKT_S5_PKT0_S8_PS3_S9_.uses_flat_scratch, 0
	.set _ZN2at6native12_GLOBAL__N_135GammaBetaBackwardCUDAKernelTemplateIffLj64ELj1ELj32ELb1ELb0ELb0EEEvllPKT_S5_PKT0_S8_PS3_S9_.has_dyn_sized_stack, 0
	.set _ZN2at6native12_GLOBAL__N_135GammaBetaBackwardCUDAKernelTemplateIffLj64ELj1ELj32ELb1ELb0ELb0EEEvllPKT_S5_PKT0_S8_PS3_S9_.has_recursion, 0
	.set _ZN2at6native12_GLOBAL__N_135GammaBetaBackwardCUDAKernelTemplateIffLj64ELj1ELj32ELb1ELb0ELb0EEEvllPKT_S5_PKT0_S8_PS3_S9_.has_indirect_call, 0
	.section	.AMDGPU.csdata,"",@progbits
; Kernel info:
; codeLenInByte = 24940
; TotalNumSgprs: 46
; NumVgprs: 256
; NumAgprs: 88
; TotalNumVgprs: 344
; ScratchSize: 0
; MemoryBound: 0
; FloatMode: 240
; IeeeMode: 1
; LDSByteSize: 0 bytes/workgroup (compile time only)
; SGPRBlocks: 5
; VGPRBlocks: 42
; NumSGPRsForWavesPerEU: 46
; NumVGPRsForWavesPerEU: 344
; AccumOffset: 256
; Occupancy: 1
; WaveLimiterHint : 0
; COMPUTE_PGM_RSRC2:SCRATCH_EN: 0
; COMPUTE_PGM_RSRC2:USER_SGPR: 2
; COMPUTE_PGM_RSRC2:TRAP_HANDLER: 0
; COMPUTE_PGM_RSRC2:TGID_X_EN: 1
; COMPUTE_PGM_RSRC2:TGID_Y_EN: 1
; COMPUTE_PGM_RSRC2:TGID_Z_EN: 0
; COMPUTE_PGM_RSRC2:TIDIG_COMP_CNT: 1
; COMPUTE_PGM_RSRC3_GFX90A:ACCUM_OFFSET: 63
; COMPUTE_PGM_RSRC3_GFX90A:TG_SPLIT: 0
	.section	.text._ZN2at6native12_GLOBAL__N_135GammaBetaBackwardCUDAKernelTemplateIffLj64ELj1ELj8ELb1ELb1ELb0EEEvllPKT_S5_PKT0_S8_PS3_S9_,"axG",@progbits,_ZN2at6native12_GLOBAL__N_135GammaBetaBackwardCUDAKernelTemplateIffLj64ELj1ELj8ELb1ELb1ELb0EEEvllPKT_S5_PKT0_S8_PS3_S9_,comdat
	.globl	_ZN2at6native12_GLOBAL__N_135GammaBetaBackwardCUDAKernelTemplateIffLj64ELj1ELj8ELb1ELb1ELb0EEEvllPKT_S5_PKT0_S8_PS3_S9_ ; -- Begin function _ZN2at6native12_GLOBAL__N_135GammaBetaBackwardCUDAKernelTemplateIffLj64ELj1ELj8ELb1ELb1ELb0EEEvllPKT_S5_PKT0_S8_PS3_S9_
	.p2align	8
	.type	_ZN2at6native12_GLOBAL__N_135GammaBetaBackwardCUDAKernelTemplateIffLj64ELj1ELj8ELb1ELb1ELb0EEEvllPKT_S5_PKT0_S8_PS3_S9_,@function
_ZN2at6native12_GLOBAL__N_135GammaBetaBackwardCUDAKernelTemplateIffLj64ELj1ELj8ELb1ELb1ELb0EEEvllPKT_S5_PKT0_S8_PS3_S9_: ; @_ZN2at6native12_GLOBAL__N_135GammaBetaBackwardCUDAKernelTemplateIffLj64ELj1ELj8ELb1ELb1ELb0EEEvllPKT_S5_PKT0_S8_PS3_S9_
; %bb.0:
	s_load_dwordx4 s[16:19], s[0:1], 0x0
	s_lshl_b32 s6, s3, 3
	s_mov_b32 s7, 0
	v_mov_b64_e32 v[2:3], s[6:7]
	s_mov_b32 s4, s3
	s_waitcnt lgkmcnt(0)
	v_cmp_gt_i64_e32 vcc, s[16:17], v[2:3]
	v_bfe_u32 v1, v0, 10, 10
	s_cbranch_vccnz .LBB52_2
; %bb.1:
	s_add_u32 s24, s0, 64
	s_addc_u32 s25, s1, 0
	s_mov_b64 s[8:9], 0
	v_bfe_u32 v4, v0, 10, 10
	s_branch .LBB52_3
.LBB52_2:
	s_mov_b64 s[8:9], -1
                                        ; implicit-def: $sgpr24_sgpr25
                                        ; implicit-def: $vgpr4
.LBB52_3:
	s_load_dwordx4 s[20:23], s[0:1], 0x30
	v_mov_b32_e32 v3, 0
	v_and_b32_e32 v0, 0x3ff, v0
	s_andn2_b64 vcc, exec, s[8:9]
	v_mov_b32_e32 v2, v3
	s_cbranch_vccnz .LBB52_11
; %bb.4:
	s_load_dword s3, s[0:1], 0x4c
	s_load_dword s5, s[0:1], 0x44
	s_load_dwordx8 s[8:15], s[0:1], 0x10
	s_add_u32 s24, s0, 64
	s_addc_u32 s25, s1, 0
	s_waitcnt lgkmcnt(0)
	s_and_b32 s0, s3, 0xffff
	v_mad_u32_u24 v2, v1, s0, v0
	v_and_b32_e32 v4, 63, v2
	v_lshlrev_b32_e32 v2, 3, v1
	v_mov_b32_e32 v3, 0
	v_mbcnt_lo_u32_b32 v6, -1, 0
	v_mov_b32_e32 v5, v3
	v_mbcnt_hi_u32_b32 v6, -1, v6
	s_lshl_b32 s26, s5, 3
	v_lshl_add_u64 v[10:11], v[2:3], 0, s[6:7]
	v_cmp_gt_u32_e64 s[0:1], 8, v4
	v_lshl_add_u32 v8, s2, 6, v0
	v_mov_b32_e32 v9, v3
	v_lshlrev_b32_e32 v6, 2, v6
	v_lshl_add_u64 v[4:5], v[10:11], 0, v[4:5]
	v_mul_lo_u32 v2, s19, v10
	v_mul_lo_u32 v20, s18, v11
	v_mad_u64_u32 v[10:11], s[30:31], s18, v10, 0
	s_mul_i32 s3, s19, s26
	s_mul_hi_u32 s5, s18, s26
	s_mov_b32 s27, 0
	v_and_b32_e32 v12, 0x100, v6
	v_add3_u32 v11, v11, v20, v2
	v_lshlrev_b64 v[8:9], 2, v[8:9]
	s_add_i32 s31, s5, s3
	s_mul_i32 s30, s18, s26
	v_or_b32_e32 v13, 4, v12
	v_or_b32_e32 v14, 8, v12
	;; [unrolled: 1-line block ×7, first 2 shown]
	v_lshlrev_b64 v[6:7], 2, v[4:5]
	s_lshl_b64 s[28:29], s[26:27], 2
	v_lshl_add_u64 v[8:9], v[10:11], 2, v[8:9]
	s_lshl_b64 s[30:31], s[30:31], 2
	s_lshl_b64 s[34:35], s[18:19], 2
	v_mov_b64_e32 v[10:11], s[16:17]
	v_mov_b32_e32 v2, v3
	s_branch .LBB52_7
.LBB52_5:                               ;   in Loop: Header=BB52_7 Depth=1
	s_or_b64 exec, exec, s[38:39]
.LBB52_6:                               ;   in Loop: Header=BB52_7 Depth=1
	s_or_b64 exec, exec, s[36:37]
	v_lshl_add_u64 v[26:27], s[10:11], 0, v[8:9]
	v_lshl_add_u64 v[22:23], s[8:9], 0, v[8:9]
	global_load_dword v25, v[26:27], off
	v_lshl_add_u64 v[26:27], v[26:27], 0, s[34:35]
	global_load_dword v24, v[22:23], off
	;; [unrolled: 2-line block ×5, first 2 shown]
	global_load_dword v30, v[22:23], off
	v_lshl_add_u64 v[26:27], v[26:27], 0, s[34:35]
	global_load_dword v33, v[26:27], off
	v_lshl_add_u64 v[22:23], v[22:23], 0, s[34:35]
	v_lshl_add_u64 v[26:27], v[26:27], 0, s[34:35]
	global_load_dword v32, v[22:23], off
	global_load_dword v35, v[26:27], off
	v_lshl_add_u64 v[22:23], v[22:23], 0, s[34:35]
	v_lshl_add_u64 v[26:27], v[26:27], 0, s[34:35]
	global_load_dword v34, v[22:23], off
	;; [unrolled: 4-line block ×4, first 2 shown]
	v_lshl_add_u64 v[22:23], v[22:23], 0, s[34:35]
	global_load_dword v26, v[26:27], off
	s_waitcnt vmcnt(16)
	ds_bpermute_b32 v27, v12, v20
	global_load_dword v22, v[22:23], off
	ds_bpermute_b32 v41, v13, v20
	s_waitcnt vmcnt(16)
	ds_bpermute_b32 v23, v12, v21
	ds_bpermute_b32 v43, v14, v20
	ds_bpermute_b32 v40, v13, v21
	ds_bpermute_b32 v45, v15, v20
	ds_bpermute_b32 v42, v14, v21
	ds_bpermute_b32 v47, v16, v20
	ds_bpermute_b32 v44, v15, v21
	ds_bpermute_b32 v49, v17, v20
	ds_bpermute_b32 v46, v16, v21
	ds_bpermute_b32 v51, v18, v20
	ds_bpermute_b32 v48, v17, v21
	ds_bpermute_b32 v20, v19, v20
	ds_bpermute_b32 v50, v18, v21
	ds_bpermute_b32 v21, v19, v21
	s_add_u32 s6, s6, s26
	s_addc_u32 s7, s7, 0
	v_cmp_lt_i64_e32 vcc, s[6:7], v[10:11]
	v_lshl_add_u64 v[6:7], v[6:7], 0, s[28:29]
	v_lshl_add_u64 v[4:5], v[4:5], 0, s[26:27]
	;; [unrolled: 1-line block ×3, first 2 shown]
	s_and_b64 vcc, exec, vcc
	s_waitcnt vmcnt(15) lgkmcnt(14)
	v_sub_f32_e32 v25, v25, v27
	s_waitcnt vmcnt(14)
	v_mul_f32_e32 v25, v24, v25
	s_waitcnt lgkmcnt(13)
	v_mul_f32_e32 v25, v25, v23
	s_waitcnt vmcnt(13)
	v_sub_f32_e32 v27, v29, v41
	v_pk_add_f32 v[2:3], v[2:3], v[24:25]
	s_waitcnt vmcnt(12)
	v_mul_f32_e32 v23, v28, v27
	s_waitcnt vmcnt(11) lgkmcnt(12)
	v_sub_f32_e32 v27, v31, v43
	s_waitcnt lgkmcnt(11)
	v_mul_f32_e32 v29, v23, v40
	s_waitcnt vmcnt(10)
	v_mul_f32_e32 v23, v30, v27
	s_waitcnt vmcnt(9) lgkmcnt(10)
	v_sub_f32_e32 v27, v33, v45
	s_waitcnt lgkmcnt(9)
	v_mul_f32_e32 v31, v23, v42
	v_pk_add_f32 v[2:3], v[2:3], v[28:29]
	s_waitcnt vmcnt(8)
	v_mul_f32_e32 v23, v32, v27
	s_waitcnt vmcnt(7) lgkmcnt(8)
	v_sub_f32_e32 v24, v35, v47
	s_waitcnt lgkmcnt(7)
	v_mul_f32_e32 v33, v23, v44
	v_pk_add_f32 v[2:3], v[2:3], v[30:31]
	;; [unrolled: 7-line block ×4, first 2 shown]
	s_waitcnt vmcnt(2)
	v_mul_f32_e32 v23, v38, v24
	s_waitcnt lgkmcnt(1)
	v_mul_f32_e32 v39, v23, v50
	s_waitcnt vmcnt(1)
	v_sub_f32_e32 v20, v26, v20
	v_pk_add_f32 v[2:3], v[2:3], v[36:37]
	s_waitcnt vmcnt(0)
	v_mul_f32_e32 v20, v22, v20
	v_pk_add_f32 v[2:3], v[2:3], v[38:39]
	s_waitcnt lgkmcnt(0)
	v_mul_f32_e32 v23, v20, v21
	v_pk_add_f32 v[2:3], v[2:3], v[22:23]
	s_cbranch_vccz .LBB52_10
.LBB52_7:                               ; =>This Inner Loop Header: Depth=1
	v_mov_b32_e32 v21, 0
	v_mov_b32_e32 v20, 0
	s_and_saveexec_b64 s[36:37], s[0:1]
	s_cbranch_execz .LBB52_6
; %bb.8:                                ;   in Loop: Header=BB52_7 Depth=1
	v_cmp_gt_i64_e32 vcc, s[16:17], v[4:5]
	v_mov_b32_e32 v20, 0
	v_mov_b32_e32 v21, 0
	s_and_saveexec_b64 s[38:39], vcc
	s_cbranch_execz .LBB52_5
; %bb.9:                                ;   in Loop: Header=BB52_7 Depth=1
	v_lshl_add_u64 v[24:25], s[12:13], 0, v[6:7]
	v_lshl_add_u64 v[22:23], s[14:15], 0, v[6:7]
	global_load_dword v20, v[24:25], off
	global_load_dword v21, v[22:23], off
	s_branch .LBB52_5
.LBB52_10:
	v_mov_b32_e32 v4, v1
.LBB52_11:
	s_load_dword s5, s[24:25], 0xc
	s_mov_b32 s3, 0
	v_mov_b32_e32 v1, 0
	s_lshl_b64 s[0:1], s[2:3], 6
	v_lshl_add_u64 v[6:7], s[0:1], 0, v[0:1]
	s_waitcnt lgkmcnt(0)
	s_lshr_b32 s0, s5, 16
	v_mov_b32_e32 v5, v1
	v_mov_b32_e32 v0, s4
	v_mad_u64_u32 v[0:1], s[0:1], s0, v0, v[4:5]
	s_cmp_eq_u64 s[20:21], 0
	v_mul_lo_u32 v1, v1, s18
	v_mul_lo_u32 v4, v0, s19
	s_cbranch_scc1 .LBB52_13
; %bb.12:
	v_mad_u64_u32 v[8:9], s[0:1], v0, s18, 0
	v_add3_u32 v9, v9, v4, v1
	v_lshl_add_u64 v[8:9], v[8:9], 2, s[20:21]
	v_lshl_add_u64 v[8:9], v[6:7], 2, v[8:9]
	global_store_dword v[8:9], v3, off
.LBB52_13:
	s_cmp_eq_u64 s[22:23], 0
	s_cbranch_scc1 .LBB52_15
; %bb.14:
	v_mad_u64_u32 v[8:9], s[0:1], v0, s18, 0
	v_add3_u32 v9, v9, v4, v1
	v_lshl_add_u64 v[0:1], v[8:9], 2, s[22:23]
	v_lshl_add_u64 v[0:1], v[6:7], 2, v[0:1]
	global_store_dword v[0:1], v2, off
.LBB52_15:
	s_endpgm
	.section	.rodata,"a",@progbits
	.p2align	6, 0x0
	.amdhsa_kernel _ZN2at6native12_GLOBAL__N_135GammaBetaBackwardCUDAKernelTemplateIffLj64ELj1ELj8ELb1ELb1ELb0EEEvllPKT_S5_PKT0_S8_PS3_S9_
		.amdhsa_group_segment_fixed_size 0
		.amdhsa_private_segment_fixed_size 0
		.amdhsa_kernarg_size 320
		.amdhsa_user_sgpr_count 2
		.amdhsa_user_sgpr_dispatch_ptr 0
		.amdhsa_user_sgpr_queue_ptr 0
		.amdhsa_user_sgpr_kernarg_segment_ptr 1
		.amdhsa_user_sgpr_dispatch_id 0
		.amdhsa_user_sgpr_kernarg_preload_length 0
		.amdhsa_user_sgpr_kernarg_preload_offset 0
		.amdhsa_user_sgpr_private_segment_size 0
		.amdhsa_uses_dynamic_stack 0
		.amdhsa_enable_private_segment 0
		.amdhsa_system_sgpr_workgroup_id_x 1
		.amdhsa_system_sgpr_workgroup_id_y 1
		.amdhsa_system_sgpr_workgroup_id_z 0
		.amdhsa_system_sgpr_workgroup_info 0
		.amdhsa_system_vgpr_workitem_id 1
		.amdhsa_next_free_vgpr 52
		.amdhsa_next_free_sgpr 40
		.amdhsa_accum_offset 52
		.amdhsa_reserve_vcc 1
		.amdhsa_float_round_mode_32 0
		.amdhsa_float_round_mode_16_64 0
		.amdhsa_float_denorm_mode_32 3
		.amdhsa_float_denorm_mode_16_64 3
		.amdhsa_dx10_clamp 1
		.amdhsa_ieee_mode 1
		.amdhsa_fp16_overflow 0
		.amdhsa_tg_split 0
		.amdhsa_exception_fp_ieee_invalid_op 0
		.amdhsa_exception_fp_denorm_src 0
		.amdhsa_exception_fp_ieee_div_zero 0
		.amdhsa_exception_fp_ieee_overflow 0
		.amdhsa_exception_fp_ieee_underflow 0
		.amdhsa_exception_fp_ieee_inexact 0
		.amdhsa_exception_int_div_zero 0
	.end_amdhsa_kernel
	.section	.text._ZN2at6native12_GLOBAL__N_135GammaBetaBackwardCUDAKernelTemplateIffLj64ELj1ELj8ELb1ELb1ELb0EEEvllPKT_S5_PKT0_S8_PS3_S9_,"axG",@progbits,_ZN2at6native12_GLOBAL__N_135GammaBetaBackwardCUDAKernelTemplateIffLj64ELj1ELj8ELb1ELb1ELb0EEEvllPKT_S5_PKT0_S8_PS3_S9_,comdat
.Lfunc_end52:
	.size	_ZN2at6native12_GLOBAL__N_135GammaBetaBackwardCUDAKernelTemplateIffLj64ELj1ELj8ELb1ELb1ELb0EEEvllPKT_S5_PKT0_S8_PS3_S9_, .Lfunc_end52-_ZN2at6native12_GLOBAL__N_135GammaBetaBackwardCUDAKernelTemplateIffLj64ELj1ELj8ELb1ELb1ELb0EEEvllPKT_S5_PKT0_S8_PS3_S9_
                                        ; -- End function
	.set _ZN2at6native12_GLOBAL__N_135GammaBetaBackwardCUDAKernelTemplateIffLj64ELj1ELj8ELb1ELb1ELb0EEEvllPKT_S5_PKT0_S8_PS3_S9_.num_vgpr, 52
	.set _ZN2at6native12_GLOBAL__N_135GammaBetaBackwardCUDAKernelTemplateIffLj64ELj1ELj8ELb1ELb1ELb0EEEvllPKT_S5_PKT0_S8_PS3_S9_.num_agpr, 0
	.set _ZN2at6native12_GLOBAL__N_135GammaBetaBackwardCUDAKernelTemplateIffLj64ELj1ELj8ELb1ELb1ELb0EEEvllPKT_S5_PKT0_S8_PS3_S9_.numbered_sgpr, 40
	.set _ZN2at6native12_GLOBAL__N_135GammaBetaBackwardCUDAKernelTemplateIffLj64ELj1ELj8ELb1ELb1ELb0EEEvllPKT_S5_PKT0_S8_PS3_S9_.num_named_barrier, 0
	.set _ZN2at6native12_GLOBAL__N_135GammaBetaBackwardCUDAKernelTemplateIffLj64ELj1ELj8ELb1ELb1ELb0EEEvllPKT_S5_PKT0_S8_PS3_S9_.private_seg_size, 0
	.set _ZN2at6native12_GLOBAL__N_135GammaBetaBackwardCUDAKernelTemplateIffLj64ELj1ELj8ELb1ELb1ELb0EEEvllPKT_S5_PKT0_S8_PS3_S9_.uses_vcc, 1
	.set _ZN2at6native12_GLOBAL__N_135GammaBetaBackwardCUDAKernelTemplateIffLj64ELj1ELj8ELb1ELb1ELb0EEEvllPKT_S5_PKT0_S8_PS3_S9_.uses_flat_scratch, 0
	.set _ZN2at6native12_GLOBAL__N_135GammaBetaBackwardCUDAKernelTemplateIffLj64ELj1ELj8ELb1ELb1ELb0EEEvllPKT_S5_PKT0_S8_PS3_S9_.has_dyn_sized_stack, 0
	.set _ZN2at6native12_GLOBAL__N_135GammaBetaBackwardCUDAKernelTemplateIffLj64ELj1ELj8ELb1ELb1ELb0EEEvllPKT_S5_PKT0_S8_PS3_S9_.has_recursion, 0
	.set _ZN2at6native12_GLOBAL__N_135GammaBetaBackwardCUDAKernelTemplateIffLj64ELj1ELj8ELb1ELb1ELb0EEEvllPKT_S5_PKT0_S8_PS3_S9_.has_indirect_call, 0
	.section	.AMDGPU.csdata,"",@progbits
; Kernel info:
; codeLenInByte = 1312
; TotalNumSgprs: 46
; NumVgprs: 52
; NumAgprs: 0
; TotalNumVgprs: 52
; ScratchSize: 0
; MemoryBound: 0
; FloatMode: 240
; IeeeMode: 1
; LDSByteSize: 0 bytes/workgroup (compile time only)
; SGPRBlocks: 5
; VGPRBlocks: 6
; NumSGPRsForWavesPerEU: 46
; NumVGPRsForWavesPerEU: 52
; AccumOffset: 52
; Occupancy: 8
; WaveLimiterHint : 0
; COMPUTE_PGM_RSRC2:SCRATCH_EN: 0
; COMPUTE_PGM_RSRC2:USER_SGPR: 2
; COMPUTE_PGM_RSRC2:TRAP_HANDLER: 0
; COMPUTE_PGM_RSRC2:TGID_X_EN: 1
; COMPUTE_PGM_RSRC2:TGID_Y_EN: 1
; COMPUTE_PGM_RSRC2:TGID_Z_EN: 0
; COMPUTE_PGM_RSRC2:TIDIG_COMP_CNT: 1
; COMPUTE_PGM_RSRC3_GFX90A:ACCUM_OFFSET: 12
; COMPUTE_PGM_RSRC3_GFX90A:TG_SPLIT: 0
	.section	.text._ZN2at6native12_GLOBAL__N_135GammaBetaBackwardCUDAKernelTemplateIffLj64ELj1ELj8ELb1ELb0ELb0EEEvllPKT_S5_PKT0_S8_PS3_S9_,"axG",@progbits,_ZN2at6native12_GLOBAL__N_135GammaBetaBackwardCUDAKernelTemplateIffLj64ELj1ELj8ELb1ELb0ELb0EEEvllPKT_S5_PKT0_S8_PS3_S9_,comdat
	.globl	_ZN2at6native12_GLOBAL__N_135GammaBetaBackwardCUDAKernelTemplateIffLj64ELj1ELj8ELb1ELb0ELb0EEEvllPKT_S5_PKT0_S8_PS3_S9_ ; -- Begin function _ZN2at6native12_GLOBAL__N_135GammaBetaBackwardCUDAKernelTemplateIffLj64ELj1ELj8ELb1ELb0ELb0EEEvllPKT_S5_PKT0_S8_PS3_S9_
	.p2align	8
	.type	_ZN2at6native12_GLOBAL__N_135GammaBetaBackwardCUDAKernelTemplateIffLj64ELj1ELj8ELb1ELb0ELb0EEEvllPKT_S5_PKT0_S8_PS3_S9_,@function
_ZN2at6native12_GLOBAL__N_135GammaBetaBackwardCUDAKernelTemplateIffLj64ELj1ELj8ELb1ELb0ELb0EEEvllPKT_S5_PKT0_S8_PS3_S9_: ; @_ZN2at6native12_GLOBAL__N_135GammaBetaBackwardCUDAKernelTemplateIffLj64ELj1ELj8ELb1ELb0ELb0EEEvllPKT_S5_PKT0_S8_PS3_S9_
; %bb.0:
	s_load_dwordx8 s[12:19], s[0:1], 0x0
	s_load_dwordx4 s[20:23], s[0:1], 0x20
	s_mov_b32 s8, s3
	s_lshl_b32 s3, s2, 6
	s_mov_b32 s11, 0
	s_lshl_b32 s10, s8, 3
	s_or_b32 s4, s3, 63
	v_mov_b64_e32 v[2:3], s[10:11]
	v_mov_b32_e32 v20, s4
	v_mov_b32_e32 v21, 0
	s_waitcnt lgkmcnt(0)
	v_cmp_gt_i64_e64 s[4:5], s[12:13], v[2:3]
	v_cmp_le_i64_e32 vcc, s[14:15], v[20:21]
	s_nop 0
	v_cndmask_b32_e64 v1, 0, 1, s[4:5]
	v_cmp_ne_u32_e64 s[4:5], 1, v1
	s_cbranch_vccz .LBB53_48
; %bb.1:
	s_and_b64 vcc, exec, s[4:5]
	v_mov_b32_e32 v20, 0
	s_cbranch_vccnz .LBB53_49
; %bb.2:
	v_and_b32_e32 v1, 0x3ff, v0
	v_mov_b32_e32 v2, 0
	v_bfe_u32 v62, v0, 10, 10
	v_add_u32_e32 v4, s3, v1
	v_mov_b32_e32 v5, v2
	v_lshlrev_b32_e32 v22, 3, v62
	v_mov_b32_e32 v23, v2
	v_cmp_gt_i64_e64 s[6:7], s[14:15], v[4:5]
	v_lshlrev_b64 v[24:25], 2, v[4:5]
	v_lshl_add_u64 v[4:5], v[22:23], 0, s[10:11]
	v_mul_lo_u32 v3, s15, v4
	v_mul_lo_u32 v8, s14, v5
	v_mad_u64_u32 v[6:7], s[28:29], s14, v4, 0
	v_add3_u32 v7, v7, v8, v3
	v_lshlrev_b64 v[6:7], 2, v[6:7]
	v_lshl_add_u64 v[26:27], s[16:17], 0, v[6:7]
	v_lshl_add_u64 v[28:29], s[18:19], 0, v[6:7]
	v_lshl_add_u64 v[6:7], v[4:5], 0, 7
	v_mul_lo_u32 v9, s15, v6
	v_mul_lo_u32 v10, s14, v7
	v_mad_u64_u32 v[6:7], s[34:35], s14, v6, 0
	v_add3_u32 v7, v7, v10, v9
	v_lshlrev_b64 v[6:7], 2, v[6:7]
	v_lshl_add_u64 v[30:31], s[16:17], 0, v[6:7]
	v_lshl_add_u64 v[32:33], s[18:19], 0, v[6:7]
	;; [unrolled: 8-line block ×6, first 2 shown]
	v_lshl_add_u64 v[6:7], v[4:5], 0, 2
	s_load_dword s9, s[0:1], 0x44
	v_mul_lo_u32 v5, s15, v6
	v_mul_lo_u32 v9, s14, v7
	v_mad_u64_u32 v[6:7], s[34:35], s14, v6, 0
	v_add3_u32 v7, v7, v9, v5
	v_lshlrev_b64 v[6:7], 2, v[6:7]
	v_lshl_add_u64 v[50:51], s[16:17], 0, v[6:7]
	v_lshl_add_u64 v[52:53], s[18:19], 0, v[6:7]
	v_mov_b64_e32 v[6:7], s[14:15]
	s_add_u32 s26, s0, 64
	v_mad_u64_u32 v[4:5], s[34:35], s14, v4, v[6:7]
	s_addc_u32 s27, s1, 0
	s_waitcnt lgkmcnt(0)
	s_lshl_b32 s24, s9, 3
	v_add3_u32 v5, v3, v5, v8
	v_mbcnt_lo_u32_b32 v3, -1, 0
	s_mul_i32 s9, s15, s24
	s_mul_hi_u32 s28, s14, s24
	v_mbcnt_hi_u32_b32 v3, -1, v3
	s_add_i32 s29, s28, s9
	s_mul_i32 s28, s14, s24
	v_lshlrev_b64 v[4:5], 2, v[4:5]
	v_lshlrev_b32_e32 v3, 2, v3
	s_mov_b32 s25, 0
	s_lshl_b64 s[28:29], s[28:29], 2
	s_mov_b64 s[30:31], 7
	v_lshl_add_u64 v[54:55], s[16:17], 0, v[4:5]
	v_lshl_add_u64 v[56:57], s[18:19], 0, v[4:5]
	v_and_b32_e32 v63, 0x100, v3
	s_mov_b64 s[34:35], s[10:11]
	v_mov_b32_e32 v20, 0
	v_mov_b32_e32 v21, v2
	s_branch .LBB53_5
.LBB53_3:                               ;   in Loop: Header=BB53_5 Depth=1
	s_or_b64 exec, exec, s[36:37]
	s_waitcnt vmcnt(1)
	ds_bpermute_b32 v3, v63, v61
	ds_bpermute_b32 v58, v63, v61 offset:4
	s_waitcnt vmcnt(0)
	ds_bpermute_b32 v59, v63, v60
	ds_bpermute_b32 v64, v63, v60 offset:4
	v_mov_b32_e32 v66, v8
	s_waitcnt lgkmcnt(3)
	v_sub_f32_e32 v3, v12, v3
	v_mul_f32_e32 v3, v4, v3
	s_waitcnt lgkmcnt(2)
	v_sub_f32_e32 v12, v13, v58
	s_waitcnt lgkmcnt(1)
	v_mul_f32_e32 v13, v3, v59
	ds_bpermute_b32 v3, v63, v61 offset:8
	v_mul_f32_e32 v12, v5, v12
	s_waitcnt lgkmcnt(1)
	v_mul_f32_e32 v59, v12, v64
	ds_bpermute_b32 v12, v63, v60 offset:8
	ds_bpermute_b32 v58, v63, v61 offset:12
	s_waitcnt lgkmcnt(2)
	v_sub_f32_e32 v3, v14, v3
	ds_bpermute_b32 v14, v63, v60 offset:12
	v_mul_f32_e32 v3, v6, v3
	s_waitcnt lgkmcnt(2)
	v_mul_f32_e32 v65, v3, v12
	s_waitcnt lgkmcnt(1)
	v_sub_f32_e32 v3, v15, v58
	ds_bpermute_b32 v12, v63, v61 offset:16
	v_mul_f32_e32 v3, v7, v3
	s_waitcnt lgkmcnt(1)
	v_mul_f32_e32 v15, v3, v14
	ds_bpermute_b32 v3, v63, v60 offset:16
	ds_bpermute_b32 v14, v63, v61 offset:20
	s_waitcnt lgkmcnt(2)
	v_sub_f32_e32 v12, v16, v12
	ds_bpermute_b32 v16, v63, v60 offset:20
	v_mul_f32_e32 v12, v8, v12
	s_waitcnt lgkmcnt(2)
	v_mul_f32_e32 v67, v12, v3
	v_mov_b32_e32 v12, v4
	s_waitcnt lgkmcnt(1)
	v_sub_f32_e32 v3, v17, v14
	v_pk_add_f32 v[12:13], v[20:21], v[12:13]
	v_mov_b32_e32 v58, v5
	v_mul_f32_e32 v3, v9, v3
	v_pk_add_f32 v[4:5], v[58:59], v[12:13]
	v_mov_b32_e32 v64, v6
	s_waitcnt lgkmcnt(0)
	v_mul_f32_e32 v17, v3, v16
	v_pk_add_f32 v[4:5], v[64:65], v[4:5]
	v_mov_b32_e32 v14, v7
	ds_bpermute_b32 v3, v63, v61 offset:24
	v_pk_add_f32 v[4:5], v[14:15], v[4:5]
	v_mov_b32_e32 v16, v9
	v_pk_add_f32 v[4:5], v[66:67], v[4:5]
	s_waitcnt lgkmcnt(0)
	v_sub_f32_e32 v8, v18, v3
	v_pk_add_f32 v[6:7], v[16:17], v[4:5]
	ds_bpermute_b32 v5, v63, v60 offset:24
	ds_bpermute_b32 v3, v63, v60 offset:28
	;; [unrolled: 1-line block ×3, first 2 shown]
	v_mul_f32_e32 v8, v10, v8
	s_waitcnt lgkmcnt(2)
	v_mul_f32_e32 v9, v8, v5
	v_mov_b32_e32 v8, v10
	v_pk_add_f32 v[60:61], v[8:9], v[6:7]
.LBB53_4:                               ;   in Loop: Header=BB53_5 Depth=1
	s_waitcnt lgkmcnt(0)
	v_sub_f32_e32 v4, v19, v4
	v_mul_f32_e32 v4, v11, v4
	v_mul_f32_e32 v5, v4, v3
	v_mov_b32_e32 v4, v11
	s_add_u32 s34, s34, s24
	v_pk_add_f32 v[20:21], v[60:61], v[4:5]
	s_addc_u32 s35, s35, 0
	v_mov_b64_e32 v[4:5], s[12:13]
	s_add_u32 s30, s30, s24
	v_cmp_lt_i64_e32 vcc, s[34:35], v[4:5]
	v_lshl_add_u64 v[26:27], v[26:27], 0, s[28:29]
	v_lshl_add_u64 v[28:29], v[28:29], 0, s[28:29]
	;; [unrolled: 1-line block ×17, first 2 shown]
	s_addc_u32 s31, 0, s31
	s_cbranch_vccz .LBB53_49
.LBB53_5:                               ; =>This Inner Loop Header: Depth=1
	s_add_u32 s36, s10, s30
	s_addc_u32 s37, 0, s31
	v_mov_b64_e32 v[4:5], s[12:13]
	v_cmp_ge_i64_e32 vcc, s[36:37], v[4:5]
	v_lshl_add_u64 v[58:59], s[10:11], 0, v[22:23]
	s_mov_b64 s[36:37], -1
	s_and_b64 vcc, exec, vcc
                                        ; implicit-def: $vgpr4_vgpr5_vgpr6_vgpr7_vgpr8_vgpr9_vgpr10_vgpr11
                                        ; implicit-def: $vgpr60_vgpr61
                                        ; implicit-def: $vgpr3
                                        ; implicit-def: $vgpr12_vgpr13_vgpr14_vgpr15_vgpr16_vgpr17_vgpr18_vgpr19
                                        ; implicit-def: $vgpr4
	s_cbranch_vccz .LBB53_27
; %bb.6:                                ;   in Loop: Header=BB53_5 Depth=1
	s_load_dword s9, s[26:27], 0xc
	v_mov_b32_e32 v60, 0
	v_mov_b32_e32 v61, 0
	s_waitcnt lgkmcnt(0)
	s_and_b32 s9, s9, 0xffff
	v_mad_u32_u24 v3, v62, s9, v1
	v_and_b32_e32 v4, 63, v3
	v_cmp_gt_u32_e32 vcc, 8, v4
	s_and_saveexec_b64 s[36:37], vcc
	s_cbranch_execz .LBB53_10
; %bb.7:                                ;   in Loop: Header=BB53_5 Depth=1
	v_mov_b32_e32 v5, v2
	v_lshl_add_u64 v[4:5], v[58:59], 0, v[4:5]
	v_cmp_gt_i64_e32 vcc, s[12:13], v[4:5]
	v_mov_b32_e32 v61, 0
	v_mov_b32_e32 v60, 0
	s_and_saveexec_b64 s[38:39], vcc
	s_cbranch_execz .LBB53_9
; %bb.8:                                ;   in Loop: Header=BB53_5 Depth=1
	v_lshlrev_b64 v[4:5], 2, v[4:5]
	v_lshl_add_u64 v[6:7], s[22:23], 0, v[4:5]
	v_lshl_add_u64 v[4:5], s[20:21], 0, v[4:5]
	global_load_dword v61, v[4:5], off
	global_load_dword v60, v[6:7], off
.LBB53_9:                               ;   in Loop: Header=BB53_5 Depth=1
	s_or_b64 exec, exec, s[38:39]
.LBB53_10:                              ;   in Loop: Header=BB53_5 Depth=1
	s_or_b64 exec, exec, s[36:37]
	v_mov_b32_e32 v8, v2
	v_mov_b32_e32 v9, v2
	;; [unrolled: 1-line block ×7, first 2 shown]
	v_mov_b64_e32 v[18:19], v[8:9]
	v_cmp_gt_i64_e32 vcc, s[12:13], v[58:59]
	v_mov_b64_e32 v[16:17], v[6:7]
	v_mov_b64_e32 v[14:15], v[4:5]
	;; [unrolled: 1-line block ×4, first 2 shown]
	s_and_b64 s[38:39], s[6:7], vcc
	v_mov_b64_e32 v[8:9], v[6:7]
	v_mov_b64_e32 v[6:7], v[4:5]
	;; [unrolled: 1-line block ×3, first 2 shown]
	s_and_saveexec_b64 s[36:37], s[38:39]
	s_cbranch_execz .LBB53_12
; %bb.11:                               ;   in Loop: Header=BB53_5 Depth=1
	v_lshl_add_u64 v[4:5], v[26:27], 0, v[24:25]
	v_lshl_add_u64 v[6:7], v[28:29], 0, v[24:25]
	global_load_dword v4, v[4:5], off
	v_mov_b32_e32 v5, v2
	global_load_dword v12, v[6:7], off
	v_mov_b32_e32 v6, v2
	v_mov_b32_e32 v7, v2
	;; [unrolled: 1-line block ×13, first 2 shown]
.LBB53_12:                              ;   in Loop: Header=BB53_5 Depth=1
	s_or_b64 exec, exec, s[36:37]
	v_lshl_add_u64 v[64:65], v[58:59], 0, 1
	v_cmp_gt_i64_e32 vcc, s[12:13], v[64:65]
	s_and_b64 s[38:39], s[6:7], vcc
	s_and_saveexec_b64 s[36:37], s[38:39]
	s_cbranch_execz .LBB53_14
; %bb.13:                               ;   in Loop: Header=BB53_5 Depth=1
	v_lshl_add_u64 v[64:65], v[54:55], 0, v[24:25]
	global_load_dword v5, v[64:65], off
	v_lshl_add_u64 v[64:65], v[56:57], 0, v[24:25]
	global_load_dword v13, v[64:65], off
.LBB53_14:                              ;   in Loop: Header=BB53_5 Depth=1
	s_or_b64 exec, exec, s[36:37]
	v_lshl_add_u64 v[64:65], v[58:59], 0, 2
	v_cmp_gt_i64_e32 vcc, s[12:13], v[64:65]
	s_and_b64 s[38:39], s[6:7], vcc
	s_and_saveexec_b64 s[36:37], s[38:39]
	s_cbranch_execz .LBB53_16
; %bb.15:                               ;   in Loop: Header=BB53_5 Depth=1
	v_lshl_add_u64 v[64:65], v[50:51], 0, v[24:25]
	global_load_dword v6, v[64:65], off
	v_lshl_add_u64 v[64:65], v[52:53], 0, v[24:25]
	global_load_dword v14, v[64:65], off
.LBB53_16:                              ;   in Loop: Header=BB53_5 Depth=1
	s_or_b64 exec, exec, s[36:37]
	v_lshl_add_u64 v[64:65], v[58:59], 0, 3
	v_cmp_gt_i64_e32 vcc, s[12:13], v[64:65]
	s_and_b64 s[38:39], s[6:7], vcc
	s_and_saveexec_b64 s[36:37], s[38:39]
	s_cbranch_execz .LBB53_18
; %bb.17:                               ;   in Loop: Header=BB53_5 Depth=1
	v_lshl_add_u64 v[64:65], v[46:47], 0, v[24:25]
	global_load_dword v7, v[64:65], off
	v_lshl_add_u64 v[64:65], v[48:49], 0, v[24:25]
	global_load_dword v15, v[64:65], off
.LBB53_18:                              ;   in Loop: Header=BB53_5 Depth=1
	s_or_b64 exec, exec, s[36:37]
	v_lshl_add_u64 v[64:65], v[58:59], 0, 4
	v_cmp_gt_i64_e32 vcc, s[12:13], v[64:65]
	s_and_b64 s[38:39], s[6:7], vcc
	s_and_saveexec_b64 s[36:37], s[38:39]
	s_cbranch_execz .LBB53_20
; %bb.19:                               ;   in Loop: Header=BB53_5 Depth=1
	v_lshl_add_u64 v[64:65], v[42:43], 0, v[24:25]
	global_load_dword v8, v[64:65], off
	v_lshl_add_u64 v[64:65], v[44:45], 0, v[24:25]
	global_load_dword v16, v[64:65], off
.LBB53_20:                              ;   in Loop: Header=BB53_5 Depth=1
	s_or_b64 exec, exec, s[36:37]
	v_lshl_add_u64 v[64:65], v[58:59], 0, 5
	v_cmp_gt_i64_e32 vcc, s[12:13], v[64:65]
	s_and_b64 s[38:39], s[6:7], vcc
	s_and_saveexec_b64 s[36:37], s[38:39]
	s_cbranch_execz .LBB53_22
; %bb.21:                               ;   in Loop: Header=BB53_5 Depth=1
	v_lshl_add_u64 v[64:65], v[38:39], 0, v[24:25]
	global_load_dword v9, v[64:65], off
	v_lshl_add_u64 v[64:65], v[40:41], 0, v[24:25]
	global_load_dword v17, v[64:65], off
.LBB53_22:                              ;   in Loop: Header=BB53_5 Depth=1
	s_or_b64 exec, exec, s[36:37]
	v_lshl_add_u64 v[64:65], v[58:59], 0, 6
	v_cmp_gt_i64_e32 vcc, s[12:13], v[64:65]
	s_and_b64 s[38:39], s[6:7], vcc
	s_and_saveexec_b64 s[36:37], s[38:39]
	s_cbranch_execz .LBB53_24
; %bb.23:                               ;   in Loop: Header=BB53_5 Depth=1
	v_lshl_add_u64 v[64:65], v[34:35], 0, v[24:25]
	global_load_dword v10, v[64:65], off
	v_lshl_add_u64 v[64:65], v[36:37], 0, v[24:25]
	global_load_dword v18, v[64:65], off
.LBB53_24:                              ;   in Loop: Header=BB53_5 Depth=1
	s_or_b64 exec, exec, s[36:37]
	v_lshl_add_u64 v[64:65], v[58:59], 0, 7
	v_cmp_gt_i64_e32 vcc, s[12:13], v[64:65]
	s_and_b64 s[38:39], s[6:7], vcc
	s_and_saveexec_b64 s[36:37], s[38:39]
	s_cbranch_execz .LBB53_26
; %bb.25:                               ;   in Loop: Header=BB53_5 Depth=1
	v_lshl_add_u64 v[64:65], v[30:31], 0, v[24:25]
	global_load_dword v11, v[64:65], off
	v_lshl_add_u64 v[64:65], v[32:33], 0, v[24:25]
	global_load_dword v19, v[64:65], off
.LBB53_26:                              ;   in Loop: Header=BB53_5 Depth=1
	s_or_b64 exec, exec, s[36:37]
	s_waitcnt vmcnt(1)
	ds_bpermute_b32 v3, v63, v61
	ds_bpermute_b32 v64, v63, v61 offset:4
	s_waitcnt vmcnt(0)
	ds_bpermute_b32 v65, v63, v60
	ds_bpermute_b32 v66, v63, v60 offset:4
	v_mov_b32_e32 v68, v8
	s_waitcnt lgkmcnt(3)
	v_sub_f32_e32 v3, v12, v3
	v_mul_f32_e32 v3, v4, v3
	s_waitcnt lgkmcnt(2)
	v_sub_f32_e32 v12, v13, v64
	s_waitcnt lgkmcnt(1)
	v_mul_f32_e32 v13, v3, v65
	ds_bpermute_b32 v3, v63, v61 offset:8
	v_mul_f32_e32 v12, v5, v12
	s_waitcnt lgkmcnt(1)
	v_mul_f32_e32 v65, v12, v66
	ds_bpermute_b32 v12, v63, v60 offset:8
	ds_bpermute_b32 v64, v63, v61 offset:12
	s_waitcnt lgkmcnt(2)
	v_sub_f32_e32 v3, v14, v3
	ds_bpermute_b32 v14, v63, v60 offset:12
	v_mul_f32_e32 v3, v6, v3
	s_waitcnt lgkmcnt(2)
	v_mul_f32_e32 v67, v3, v12
	ds_bpermute_b32 v12, v63, v61 offset:16
	s_waitcnt lgkmcnt(2)
	v_sub_f32_e32 v3, v15, v64
	v_mul_f32_e32 v3, v7, v3
	s_waitcnt lgkmcnt(1)
	v_mul_f32_e32 v15, v3, v14
	ds_bpermute_b32 v3, v63, v60 offset:16
	ds_bpermute_b32 v14, v63, v61 offset:20
	s_waitcnt lgkmcnt(2)
	v_sub_f32_e32 v12, v16, v12
	ds_bpermute_b32 v16, v63, v60 offset:20
	v_mul_f32_e32 v12, v8, v12
	s_waitcnt lgkmcnt(2)
	v_mul_f32_e32 v69, v12, v3
	s_waitcnt lgkmcnt(1)
	v_sub_f32_e32 v3, v17, v14
	v_mov_b32_e32 v12, v4
	v_mul_f32_e32 v3, v9, v3
	v_pk_add_f32 v[12:13], v[20:21], v[12:13]
	v_mov_b32_e32 v64, v5
	s_waitcnt lgkmcnt(0)
	v_mul_f32_e32 v17, v3, v16
	v_pk_add_f32 v[4:5], v[64:65], v[12:13]
	v_mov_b32_e32 v66, v6
	ds_bpermute_b32 v3, v63, v61 offset:24
	v_pk_add_f32 v[4:5], v[66:67], v[4:5]
	v_mov_b32_e32 v14, v7
	v_pk_add_f32 v[4:5], v[14:15], v[4:5]
	v_mov_b32_e32 v16, v9
	v_pk_add_f32 v[4:5], v[68:69], v[4:5]
	s_waitcnt lgkmcnt(0)
	v_sub_f32_e32 v3, v18, v3
	v_pk_add_f32 v[6:7], v[16:17], v[4:5]
	ds_bpermute_b32 v5, v63, v60 offset:24
	v_mul_f32_e32 v8, v10, v3
	ds_bpermute_b32 v3, v63, v60 offset:28
	ds_bpermute_b32 v4, v63, v61 offset:28
	s_mov_b64 s[36:37], 0
	s_waitcnt lgkmcnt(2)
	v_mul_f32_e32 v9, v8, v5
	v_mov_b32_e32 v8, v10
	v_pk_add_f32 v[60:61], v[8:9], v[6:7]
.LBB53_27:                              ;   in Loop: Header=BB53_5 Depth=1
	s_and_b64 vcc, exec, s[36:37]
	s_cbranch_vccz .LBB53_4
; %bb.28:                               ;   in Loop: Header=BB53_5 Depth=1
	s_load_dword s9, s[26:27], 0x0
	v_mov_b32_e32 v60, 0
	v_mov_b32_e32 v61, 0
	s_waitcnt lgkmcnt(0)
	s_cmp_lt_u32 s2, s9
	s_cselect_b32 s9, 12, 18
	s_add_u32 s36, s26, s9
	s_addc_u32 s37, s27, 0
	global_load_ushort v3, v2, s[36:37]
	s_waitcnt vmcnt(0)
	v_mad_u32_u24 v3, v62, v3, v1
	v_and_b32_e32 v4, 63, v3
	v_cmp_gt_u32_e32 vcc, 8, v4
	s_and_saveexec_b64 s[36:37], vcc
	s_cbranch_execz .LBB53_32
; %bb.29:                               ;   in Loop: Header=BB53_5 Depth=1
	v_mov_b32_e32 v5, v2
	v_lshl_add_u64 v[4:5], v[58:59], 0, v[4:5]
	v_cmp_gt_i64_e32 vcc, s[12:13], v[4:5]
	v_mov_b32_e32 v61, 0
	v_mov_b32_e32 v60, 0
	s_and_saveexec_b64 s[38:39], vcc
	s_cbranch_execz .LBB53_31
; %bb.30:                               ;   in Loop: Header=BB53_5 Depth=1
	v_lshlrev_b64 v[4:5], 2, v[4:5]
	v_lshl_add_u64 v[6:7], s[22:23], 0, v[4:5]
	v_lshl_add_u64 v[4:5], s[20:21], 0, v[4:5]
	global_load_dword v61, v[4:5], off
	global_load_dword v60, v[6:7], off
.LBB53_31:                              ;   in Loop: Header=BB53_5 Depth=1
	s_or_b64 exec, exec, s[38:39]
.LBB53_32:                              ;   in Loop: Header=BB53_5 Depth=1
	s_or_b64 exec, exec, s[36:37]
	v_mov_b32_e32 v8, v2
	v_mov_b32_e32 v9, v2
	;; [unrolled: 1-line block ×7, first 2 shown]
	v_mov_b64_e32 v[18:19], v[8:9]
	v_mov_b64_e32 v[16:17], v[6:7]
	;; [unrolled: 1-line block ×8, first 2 shown]
	s_and_saveexec_b64 s[36:37], s[6:7]
	s_cbranch_execnz .LBB53_40
; %bb.33:                               ;   in Loop: Header=BB53_5 Depth=1
	s_or_b64 exec, exec, s[36:37]
	s_and_saveexec_b64 s[36:37], s[6:7]
	s_cbranch_execnz .LBB53_41
.LBB53_34:                              ;   in Loop: Header=BB53_5 Depth=1
	s_or_b64 exec, exec, s[36:37]
	s_and_saveexec_b64 s[36:37], s[6:7]
	s_cbranch_execnz .LBB53_42
.LBB53_35:                              ;   in Loop: Header=BB53_5 Depth=1
	s_or_b64 exec, exec, s[36:37]
	s_and_saveexec_b64 s[36:37], s[6:7]
	s_cbranch_execnz .LBB53_43
.LBB53_36:                              ;   in Loop: Header=BB53_5 Depth=1
	s_or_b64 exec, exec, s[36:37]
	s_and_saveexec_b64 s[36:37], s[6:7]
	s_cbranch_execnz .LBB53_44
.LBB53_37:                              ;   in Loop: Header=BB53_5 Depth=1
	s_or_b64 exec, exec, s[36:37]
	s_and_saveexec_b64 s[36:37], s[6:7]
	s_cbranch_execnz .LBB53_45
.LBB53_38:                              ;   in Loop: Header=BB53_5 Depth=1
	s_or_b64 exec, exec, s[36:37]
	s_and_saveexec_b64 s[36:37], s[6:7]
	s_cbranch_execnz .LBB53_46
.LBB53_39:                              ;   in Loop: Header=BB53_5 Depth=1
	s_or_b64 exec, exec, s[36:37]
	s_and_saveexec_b64 s[36:37], s[6:7]
	s_cbranch_execz .LBB53_3
	s_branch .LBB53_47
.LBB53_40:                              ;   in Loop: Header=BB53_5 Depth=1
	v_lshl_add_u64 v[4:5], v[26:27], 0, v[24:25]
	v_lshl_add_u64 v[6:7], v[28:29], 0, v[24:25]
	global_load_dword v4, v[4:5], off
	v_mov_b32_e32 v5, v2
	global_load_dword v12, v[6:7], off
	v_mov_b32_e32 v6, v2
	v_mov_b32_e32 v7, v2
	;; [unrolled: 1-line block ×13, first 2 shown]
	s_or_b64 exec, exec, s[36:37]
	s_and_saveexec_b64 s[36:37], s[6:7]
	s_cbranch_execz .LBB53_34
.LBB53_41:                              ;   in Loop: Header=BB53_5 Depth=1
	v_lshl_add_u64 v[58:59], v[54:55], 0, v[24:25]
	global_load_dword v5, v[58:59], off
	v_lshl_add_u64 v[58:59], v[56:57], 0, v[24:25]
	global_load_dword v13, v[58:59], off
	s_or_b64 exec, exec, s[36:37]
	s_and_saveexec_b64 s[36:37], s[6:7]
	s_cbranch_execz .LBB53_35
.LBB53_42:                              ;   in Loop: Header=BB53_5 Depth=1
	v_lshl_add_u64 v[58:59], v[50:51], 0, v[24:25]
	global_load_dword v6, v[58:59], off
	v_lshl_add_u64 v[58:59], v[52:53], 0, v[24:25]
	global_load_dword v14, v[58:59], off
	s_or_b64 exec, exec, s[36:37]
	s_and_saveexec_b64 s[36:37], s[6:7]
	s_cbranch_execz .LBB53_36
.LBB53_43:                              ;   in Loop: Header=BB53_5 Depth=1
	v_lshl_add_u64 v[58:59], v[46:47], 0, v[24:25]
	global_load_dword v7, v[58:59], off
	v_lshl_add_u64 v[58:59], v[48:49], 0, v[24:25]
	global_load_dword v15, v[58:59], off
	s_or_b64 exec, exec, s[36:37]
	s_and_saveexec_b64 s[36:37], s[6:7]
	s_cbranch_execz .LBB53_37
.LBB53_44:                              ;   in Loop: Header=BB53_5 Depth=1
	v_lshl_add_u64 v[58:59], v[42:43], 0, v[24:25]
	global_load_dword v8, v[58:59], off
	v_lshl_add_u64 v[58:59], v[44:45], 0, v[24:25]
	global_load_dword v16, v[58:59], off
	s_or_b64 exec, exec, s[36:37]
	s_and_saveexec_b64 s[36:37], s[6:7]
	s_cbranch_execz .LBB53_38
.LBB53_45:                              ;   in Loop: Header=BB53_5 Depth=1
	v_lshl_add_u64 v[58:59], v[38:39], 0, v[24:25]
	global_load_dword v9, v[58:59], off
	v_lshl_add_u64 v[58:59], v[40:41], 0, v[24:25]
	global_load_dword v17, v[58:59], off
	s_or_b64 exec, exec, s[36:37]
	s_and_saveexec_b64 s[36:37], s[6:7]
	s_cbranch_execz .LBB53_39
.LBB53_46:                              ;   in Loop: Header=BB53_5 Depth=1
	v_lshl_add_u64 v[58:59], v[34:35], 0, v[24:25]
	global_load_dword v10, v[58:59], off
	v_lshl_add_u64 v[58:59], v[36:37], 0, v[24:25]
	global_load_dword v18, v[58:59], off
	s_or_b64 exec, exec, s[36:37]
	s_and_saveexec_b64 s[36:37], s[6:7]
	s_cbranch_execz .LBB53_3
.LBB53_47:                              ;   in Loop: Header=BB53_5 Depth=1
	v_lshl_add_u64 v[58:59], v[30:31], 0, v[24:25]
	global_load_dword v11, v[58:59], off
	v_lshl_add_u64 v[58:59], v[32:33], 0, v[24:25]
	global_load_dword v19, v[58:59], off
	s_branch .LBB53_3
.LBB53_48:
                                        ; implicit-def: $vgpr21
	s_branch .LBB53_50
.LBB53_49:
	s_cbranch_execnz .LBB53_81
.LBB53_50:
	v_mov_b32_e32 v21, 0
	s_and_b64 vcc, exec, s[4:5]
	v_mov_b32_e32 v20, v21
	s_cbranch_vccnz .LBB53_81
; %bb.51:
	v_mov_b32_e32 v2, 0
	v_bfe_u32 v88, v0, 10, 10
	v_lshlrev_b32_e32 v6, 5, v88
	v_mov_b32_e32 v7, v2
	v_lshl_add_u64 v[6:7], s[10:11], 2, v[6:7]
	v_lshl_add_u64 v[8:9], v[6:7], 0, 4
	v_mov_b64_e32 v[10:11], s[16:17]
	v_lshl_add_u64 v[12:13], v[6:7], 0, 8
	v_lshl_add_u64 v[14:15], v[6:7], 0, 12
	;; [unrolled: 1-line block ×6, first 2 shown]
	v_mad_u64_u32 v[24:25], s[4:5], s14, v8, v[10:11]
	v_mad_u64_u32 v[26:27], s[4:5], s14, v12, v[10:11]
	;; [unrolled: 1-line block ×7, first 2 shown]
	v_mov_b64_e32 v[10:11], s[18:19]
	v_mul_lo_u32 v9, s14, v9
	v_mul_lo_u32 v40, s15, v8
	v_mad_u64_u32 v[38:39], s[4:5], s14, v8, v[10:11]
	v_add3_u32 v25, v40, v25, v9
	v_mul_lo_u32 v13, s14, v13
	v_mul_lo_u32 v42, s15, v12
	v_add3_u32 v39, v40, v39, v9
	v_mad_u64_u32 v[40:41], s[4:5], s14, v12, v[10:11]
	v_add3_u32 v27, v42, v27, v13
	v_mul_lo_u32 v15, s14, v15
	v_mul_lo_u32 v44, s15, v14
	v_add3_u32 v41, v42, v41, v13
	;; [unrolled: 5-line block ×4, first 2 shown]
	v_mad_u64_u32 v[46:47], s[4:5], s14, v18, v[10:11]
	v_lshlrev_b32_e32 v22, 3, v88
	v_mov_b32_e32 v23, v2
	v_add3_u32 v33, v48, v33, v19
	v_mul_lo_u32 v21, s14, v21
	v_mul_lo_u32 v50, s15, v20
	v_add3_u32 v47, v48, v47, v19
	v_mad_u64_u32 v[48:49], s[4:5], s14, v20, v[10:11]
	v_lshl_add_u64 v[4:5], v[22:23], 0, s[10:11]
	v_add3_u32 v35, v50, v35, v21
	v_mul_lo_u32 v7, s14, v7
	v_mul_lo_u32 v8, s15, v6
	v_add3_u32 v49, v50, v49, v21
	v_mad_u64_u32 v[50:51], s[4:5], s14, v6, v[10:11]
	v_add3_u32 v37, v8, v37, v7
	v_add3_u32 v51, v8, v51, v7
	v_lshl_add_u64 v[6:7], v[4:5], 0, 7
	v_mul_lo_u32 v8, s15, v6
	v_mul_lo_u32 v9, s14, v7
	v_mad_u64_u32 v[6:7], s[4:5], s14, v6, 0
	v_add3_u32 v7, v7, v9, v8
	v_lshl_add_u64 v[8:9], v[4:5], 0, 6
	v_mul_lo_u32 v10, s15, v8
	v_mul_lo_u32 v11, s14, v9
	v_mad_u64_u32 v[8:9], s[4:5], s14, v8, 0
	;; [unrolled: 5-line block ×5, first 2 shown]
	v_add3_u32 v15, v15, v17, v16
	v_lshl_add_u64 v[16:17], v[4:5], 0, 2
	v_mul_lo_u32 v52, s14, v5
	v_mul_lo_u32 v5, s15, v16
	v_mul_lo_u32 v18, s14, v17
	v_mad_u64_u32 v[16:17], s[4:5], s14, v16, 0
	v_add3_u32 v17, v17, v18, v5
	v_mov_b64_e32 v[18:19], s[14:15]
	v_mul_lo_u32 v3, s15, v4
	v_mad_u64_u32 v[18:19], s[4:5], s14, v4, v[18:19]
	v_mad_u64_u32 v[4:5], s[4:5], s14, v4, 0
	v_and_b32_e32 v1, 0x3ff, v0
	v_add3_u32 v5, v5, v52, v3
	v_add_u32_e32 v20, s3, v1
	s_load_dword s3, s[0:1], 0x44
	v_lshlrev_b64 v[4:5], 2, v[4:5]
	v_lshl_add_u64 v[54:55], s[16:17], 0, v[4:5]
	v_lshl_add_u64 v[56:57], s[18:19], 0, v[4:5]
	v_lshlrev_b64 v[4:5], 2, v[6:7]
	v_lshl_add_u64 v[58:59], s[16:17], 0, v[4:5]
	v_lshl_add_u64 v[60:61], s[18:19], 0, v[4:5]
	;; [unrolled: 3-line block ×3, first 2 shown]
	v_lshlrev_b64 v[4:5], 2, v[10:11]
	s_add_u32 s6, s0, 64
	v_lshl_add_u64 v[66:67], s[16:17], 0, v[4:5]
	v_lshl_add_u64 v[68:69], s[18:19], 0, v[4:5]
	v_lshlrev_b64 v[4:5], 2, v[12:13]
	v_add3_u32 v19, v3, v19, v52
	s_addc_u32 s7, s1, 0
	s_waitcnt lgkmcnt(0)
	s_lshl_b32 s4, s3, 3
	v_lshl_add_u64 v[70:71], s[16:17], 0, v[4:5]
	v_lshl_add_u64 v[72:73], s[18:19], 0, v[4:5]
	v_lshlrev_b64 v[4:5], 2, v[14:15]
	v_mbcnt_lo_u32_b32 v3, -1, 0
	s_mul_i32 s3, s15, s4
	s_mul_hi_u32 s9, s14, s4
	v_lshl_add_u64 v[74:75], s[16:17], 0, v[4:5]
	v_lshl_add_u64 v[76:77], s[18:19], 0, v[4:5]
	v_lshlrev_b64 v[4:5], 2, v[16:17]
	v_mbcnt_hi_u32_b32 v3, -1, v3
	v_mov_b32_e32 v21, v2
	s_add_i32 s25, s9, s3
	s_mul_i32 s24, s14, s4
	v_lshl_add_u64 v[78:79], s[16:17], 0, v[4:5]
	v_lshl_add_u64 v[80:81], s[18:19], 0, v[4:5]
	v_lshlrev_b64 v[4:5], 2, v[18:19]
	v_lshlrev_b32_e32 v3, 2, v3
	s_mov_b32 s5, 0
	v_lshlrev_b64 v[52:53], 2, v[20:21]
	s_lshl_b64 s[24:25], s[24:25], 2
	s_mov_b64 s[26:27], 7
	v_lshl_add_u64 v[82:83], s[16:17], 0, v[4:5]
	v_lshl_add_u64 v[84:85], s[18:19], 0, v[4:5]
	v_and_b32_e32 v89, 0x100, v3
	s_mov_b64 s[16:17], s[10:11]
	v_mov_b32_e32 v20, 0
	s_branch .LBB53_55
.LBB53_52:                              ;   in Loop: Header=BB53_55 Depth=1
	s_or_b64 exec, exec, s[28:29]
.LBB53_53:                              ;   in Loop: Header=BB53_55 Depth=1
	s_or_b64 exec, exec, s[18:19]
	v_lshl_add_u64 v[4:5], v[54:55], 0, v[52:53]
	global_load_dword v8, v[4:5], off
	v_lshl_add_u64 v[4:5], v[56:57], 0, v[52:53]
	global_load_dword v7, v[4:5], off
	;; [unrolled: 2-line block ×16, first 2 shown]
	s_waitcnt vmcnt(17)
	ds_bpermute_b32 v90, v89, v6
	ds_bpermute_b32 v92, v89, v6 offset:4
	s_waitcnt vmcnt(16)
	ds_bpermute_b32 v5, v89, v3
	ds_bpermute_b32 v94, v89, v6 offset:8
	ds_bpermute_b32 v96, v89, v6 offset:12
	;; [unrolled: 1-line block ×13, first 2 shown]
	s_waitcnt vmcnt(14) lgkmcnt(14)
	v_sub_f32_e32 v7, v7, v90
	v_mul_f32_e32 v7, v8, v7
	s_waitcnt vmcnt(12)
	v_sub_f32_e32 v9, v9, v92
	s_waitcnt vmcnt(10) lgkmcnt(12)
	v_sub_f32_e32 v11, v11, v94
	v_mul_f32_e32 v90, v12, v11
	s_waitcnt vmcnt(8) lgkmcnt(11)
	v_sub_f32_e32 v13, v13, v96
	v_mul_f32_e32 v92, v14, v13
	s_waitcnt vmcnt(7) lgkmcnt(10)
	v_sub_f32_e32 v15, v15, v98
	s_waitcnt lgkmcnt(5)
	v_mul_f32_e32 v13, v90, v93
	s_waitcnt vmcnt(6)
	v_sub_f32_e32 v17, v17, v100
	s_waitcnt vmcnt(5)
	v_sub_f32_e32 v19, v19, v102
	;; [unrolled: 2-line block ×3, first 2 shown]
	v_mul_f32_e32 v87, v10, v9
	v_mul_f32_e32 v9, v7, v5
	;; [unrolled: 1-line block ×3, first 2 shown]
	s_waitcnt vmcnt(3)
	v_mul_f32_e32 v94, v16, v15
	s_waitcnt lgkmcnt(4)
	v_mul_f32_e32 v15, v92, v95
	s_waitcnt vmcnt(2)
	v_mul_f32_e32 v96, v18, v17
	s_waitcnt lgkmcnt(3)
	v_mul_f32_e32 v17, v94, v97
	s_waitcnt vmcnt(0)
	v_mul_f32_e32 v100, v4, v6
	v_pk_add_f32 v[6:7], v[20:21], v[8:9]
	v_mul_f32_e32 v98, v86, v19
	v_pk_add_f32 v[6:7], v[6:7], v[10:11]
	s_waitcnt lgkmcnt(2)
	v_mul_f32_e32 v19, v96, v99
	v_pk_add_f32 v[6:7], v[6:7], v[12:13]
	s_waitcnt lgkmcnt(1)
	;; [unrolled: 3-line block ×3, first 2 shown]
	v_mul_f32_e32 v5, v100, v3
	v_pk_add_f32 v[6:7], v[6:7], v[16:17]
	s_nop 0
	v_pk_add_f32 v[6:7], v[6:7], v[18:19]
	s_nop 0
	v_pk_add_f32 v[6:7], v[6:7], v[86:87]
.LBB53_54:                              ;   in Loop: Header=BB53_55 Depth=1
	s_add_u32 s16, s16, s4
	v_pk_add_f32 v[20:21], v[6:7], v[4:5]
	s_addc_u32 s17, s17, 0
	v_mov_b64_e32 v[4:5], s[12:13]
	s_add_u32 s26, s26, s4
	v_cmp_ge_i64_e32 vcc, s[16:17], v[4:5]
	v_lshl_add_u64 v[54:55], v[54:55], 0, s[24:25]
	v_lshl_add_u64 v[56:57], v[56:57], 0, s[24:25]
	;; [unrolled: 1-line block ×31, first 2 shown]
	s_addc_u32 s27, 0, s27
	s_cbranch_vccnz .LBB53_81
.LBB53_55:                              ; =>This Inner Loop Header: Depth=1
	s_add_u32 s18, s10, s26
	s_addc_u32 s19, 0, s27
	v_mov_b64_e32 v[4:5], s[12:13]
	v_cmp_ge_i64_e32 vcc, s[18:19], v[4:5]
	v_lshl_add_u64 v[86:87], s[10:11], 0, v[22:23]
	s_mov_b64 s[18:19], -1
                                        ; implicit-def: $vgpr6_vgpr7
                                        ; implicit-def: $vgpr4_vgpr5
	s_cbranch_vccz .LBB53_77
; %bb.56:                               ;   in Loop: Header=BB53_55 Depth=1
	s_load_dword s3, s[6:7], 0xc
	v_mov_b32_e32 v90, 0
	v_mov_b32_e32 v91, 0
	s_waitcnt lgkmcnt(0)
	s_and_b32 s3, s3, 0xffff
	v_mad_u32_u24 v3, v88, s3, v1
	v_and_b32_e32 v4, 63, v3
	v_cmp_gt_u32_e32 vcc, 8, v4
	s_and_saveexec_b64 s[18:19], vcc
	s_cbranch_execz .LBB53_60
; %bb.57:                               ;   in Loop: Header=BB53_55 Depth=1
	v_mov_b32_e32 v5, v2
	v_lshl_add_u64 v[4:5], v[86:87], 0, v[4:5]
	v_cmp_gt_i64_e32 vcc, s[12:13], v[4:5]
	v_mov_b32_e32 v91, 0
	v_mov_b32_e32 v90, 0
	s_and_saveexec_b64 s[28:29], vcc
	s_cbranch_execz .LBB53_59
; %bb.58:                               ;   in Loop: Header=BB53_55 Depth=1
	v_lshlrev_b64 v[4:5], 2, v[4:5]
	v_lshl_add_u64 v[6:7], s[22:23], 0, v[4:5]
	v_lshl_add_u64 v[4:5], s[20:21], 0, v[4:5]
	global_load_dword v91, v[4:5], off
	global_load_dword v90, v[6:7], off
.LBB53_59:                              ;   in Loop: Header=BB53_55 Depth=1
	s_or_b64 exec, exec, s[28:29]
.LBB53_60:                              ;   in Loop: Header=BB53_55 Depth=1
	s_or_b64 exec, exec, s[18:19]
	v_mov_b32_e32 v8, v2
	v_mov_b32_e32 v9, v2
	;; [unrolled: 1-line block ×7, first 2 shown]
	v_mov_b64_e32 v[18:19], v[8:9]
	v_mov_b64_e32 v[16:17], v[6:7]
	;; [unrolled: 1-line block ×5, first 2 shown]
	v_cmp_gt_i64_e32 vcc, s[12:13], v[86:87]
	v_mov_b64_e32 v[8:9], v[6:7]
	v_mov_b64_e32 v[6:7], v[4:5]
	;; [unrolled: 1-line block ×3, first 2 shown]
	s_and_saveexec_b64 s[18:19], vcc
	s_cbranch_execz .LBB53_62
; %bb.61:                               ;   in Loop: Header=BB53_55 Depth=1
	v_lshl_add_u64 v[4:5], v[54:55], 0, v[52:53]
	v_lshl_add_u64 v[6:7], v[56:57], 0, v[52:53]
	global_load_dword v4, v[4:5], off
	v_mov_b32_e32 v5, v2
	global_load_dword v12, v[6:7], off
	v_mov_b32_e32 v6, v2
	v_mov_b32_e32 v7, v2
	;; [unrolled: 1-line block ×13, first 2 shown]
.LBB53_62:                              ;   in Loop: Header=BB53_55 Depth=1
	s_or_b64 exec, exec, s[18:19]
	v_lshl_add_u64 v[92:93], v[86:87], 0, 1
	v_cmp_gt_i64_e32 vcc, s[12:13], v[92:93]
	s_and_saveexec_b64 s[18:19], vcc
	s_cbranch_execz .LBB53_64
; %bb.63:                               ;   in Loop: Header=BB53_55 Depth=1
	v_lshl_add_u64 v[92:93], v[82:83], 0, v[52:53]
	global_load_dword v5, v[92:93], off
	v_lshl_add_u64 v[92:93], v[84:85], 0, v[52:53]
	global_load_dword v13, v[92:93], off
.LBB53_64:                              ;   in Loop: Header=BB53_55 Depth=1
	s_or_b64 exec, exec, s[18:19]
	v_lshl_add_u64 v[92:93], v[86:87], 0, 2
	v_cmp_gt_i64_e32 vcc, s[12:13], v[92:93]
	s_and_saveexec_b64 s[18:19], vcc
	s_cbranch_execz .LBB53_66
; %bb.65:                               ;   in Loop: Header=BB53_55 Depth=1
	v_lshl_add_u64 v[92:93], v[78:79], 0, v[52:53]
	global_load_dword v6, v[92:93], off
	v_lshl_add_u64 v[92:93], v[80:81], 0, v[52:53]
	global_load_dword v14, v[92:93], off
.LBB53_66:                              ;   in Loop: Header=BB53_55 Depth=1
	;; [unrolled: 11-line block ×7, first 2 shown]
	s_or_b64 exec, exec, s[18:19]
	s_waitcnt vmcnt(1)
	ds_bpermute_b32 v3, v89, v91
	ds_bpermute_b32 v92, v89, v91 offset:4
	s_waitcnt vmcnt(0)
	ds_bpermute_b32 v93, v89, v90
	ds_bpermute_b32 v94, v89, v90 offset:4
	v_mov_b32_e32 v96, v8
	s_waitcnt lgkmcnt(3)
	v_sub_f32_e32 v3, v12, v3
	v_mul_f32_e32 v3, v4, v3
	s_waitcnt lgkmcnt(2)
	v_sub_f32_e32 v12, v13, v92
	s_waitcnt lgkmcnt(1)
	v_mul_f32_e32 v13, v3, v93
	ds_bpermute_b32 v3, v89, v91 offset:8
	v_mul_f32_e32 v12, v5, v12
	s_waitcnt lgkmcnt(1)
	v_mul_f32_e32 v93, v12, v94
	ds_bpermute_b32 v12, v89, v90 offset:8
	ds_bpermute_b32 v92, v89, v91 offset:12
	s_waitcnt lgkmcnt(2)
	v_sub_f32_e32 v3, v14, v3
	ds_bpermute_b32 v14, v89, v90 offset:12
	v_mul_f32_e32 v3, v6, v3
	s_waitcnt lgkmcnt(2)
	v_mul_f32_e32 v95, v3, v12
	ds_bpermute_b32 v12, v89, v91 offset:16
	s_waitcnt lgkmcnt(2)
	v_sub_f32_e32 v3, v15, v92
	v_mul_f32_e32 v3, v7, v3
	s_waitcnt lgkmcnt(1)
	v_mul_f32_e32 v15, v3, v14
	ds_bpermute_b32 v3, v89, v90 offset:16
	ds_bpermute_b32 v14, v89, v91 offset:20
	s_waitcnt lgkmcnt(2)
	v_sub_f32_e32 v12, v16, v12
	ds_bpermute_b32 v16, v89, v90 offset:20
	v_mul_f32_e32 v12, v8, v12
	s_waitcnt lgkmcnt(2)
	v_mul_f32_e32 v97, v12, v3
	s_waitcnt lgkmcnt(1)
	v_sub_f32_e32 v3, v17, v14
	v_mul_f32_e32 v3, v9, v3
	s_waitcnt lgkmcnt(0)
	v_mul_f32_e32 v17, v3, v16
	ds_bpermute_b32 v3, v89, v91 offset:24
	v_mov_b32_e32 v94, v6
	ds_bpermute_b32 v6, v89, v90 offset:24
	v_mov_b32_e32 v12, v4
	v_pk_add_f32 v[12:13], v[20:21], v[12:13]
	v_mov_b32_e32 v92, v5
	v_pk_add_f32 v[4:5], v[92:93], v[12:13]
	s_waitcnt lgkmcnt(1)
	v_sub_f32_e32 v3, v18, v3
	ds_bpermute_b32 v8, v89, v91 offset:28
	v_pk_add_f32 v[4:5], v[94:95], v[4:5]
	v_mov_b32_e32 v14, v7
	v_mul_f32_e32 v3, v10, v3
	v_pk_add_f32 v[4:5], v[14:15], v[4:5]
	s_waitcnt lgkmcnt(1)
	v_mul_f32_e32 v7, v3, v6
	ds_bpermute_b32 v3, v89, v90 offset:28
	v_pk_add_f32 v[4:5], v[96:97], v[4:5]
	v_mov_b32_e32 v16, v9
	v_pk_add_f32 v[4:5], v[16:17], v[4:5]
	v_mov_b32_e32 v6, v10
	v_pk_add_f32 v[6:7], v[6:7], v[4:5]
	s_waitcnt lgkmcnt(1)
	v_sub_f32_e32 v4, v19, v8
	v_mul_f32_e32 v4, v11, v4
	s_waitcnt lgkmcnt(0)
	v_mul_f32_e32 v5, v4, v3
	v_mov_b32_e32 v4, v11
	s_mov_b64 s[18:19], 0
.LBB53_77:                              ;   in Loop: Header=BB53_55 Depth=1
	s_and_b64 vcc, exec, s[18:19]
	s_cbranch_vccz .LBB53_54
; %bb.78:                               ;   in Loop: Header=BB53_55 Depth=1
	s_load_dword s3, s[6:7], 0x0
	v_mov_b32_e32 v3, 0
	v_mov_b32_e32 v6, 0
	s_waitcnt lgkmcnt(0)
	s_cmp_lt_u32 s2, s3
	s_cselect_b32 s3, 12, 18
	s_add_u32 s18, s6, s3
	s_addc_u32 s19, s7, 0
	global_load_ushort v4, v2, s[18:19]
	s_waitcnt vmcnt(0)
	v_mad_u32_u24 v4, v88, v4, v1
	v_and_b32_e32 v4, 63, v4
	v_cmp_gt_u32_e32 vcc, 8, v4
	s_and_saveexec_b64 s[18:19], vcc
	s_cbranch_execz .LBB53_53
; %bb.79:                               ;   in Loop: Header=BB53_55 Depth=1
	v_mov_b32_e32 v5, v2
	v_lshl_add_u64 v[4:5], v[86:87], 0, v[4:5]
	v_cmp_gt_i64_e32 vcc, s[12:13], v[4:5]
	v_mov_b32_e32 v6, 0
	v_mov_b32_e32 v3, 0
	s_and_saveexec_b64 s[28:29], vcc
	s_cbranch_execz .LBB53_52
; %bb.80:                               ;   in Loop: Header=BB53_55 Depth=1
	v_lshlrev_b64 v[4:5], 2, v[4:5]
	v_lshl_add_u64 v[8:9], s[22:23], 0, v[4:5]
	v_lshl_add_u64 v[4:5], s[20:21], 0, v[4:5]
	global_load_dword v6, v[4:5], off
	global_load_dword v3, v[8:9], off
	s_branch .LBB53_52
.LBB53_81:
	s_mov_b32 s3, 0
	s_lshl_b64 s[2:3], s[2:3], 6
	v_and_b32_e32 v1, 0x3ff, v0
	v_or_b32_e32 v2, s2, v1
	v_mov_b32_e32 v3, s3
	v_cmp_gt_i64_e32 vcc, s[14:15], v[2:3]
	s_and_saveexec_b64 s[2:3], vcc
	s_cbranch_execz .LBB53_86
; %bb.82:
	s_load_dword s2, s[0:1], 0x4c
	s_load_dwordx4 s[4:7], s[0:1], 0x30
	v_bfe_u32 v0, v0, 10, 10
	v_mov_b32_e32 v1, 0
	v_mov_b32_e32 v4, s8
	s_waitcnt lgkmcnt(0)
	s_lshr_b32 s0, s2, 16
	v_mad_u64_u32 v[0:1], s[0:1], s0, v4, v[0:1]
	s_cmp_eq_u64 s[4:5], 0
	v_mul_lo_u32 v1, v1, s14
	v_mul_lo_u32 v4, v0, s15
	s_cbranch_scc1 .LBB53_84
; %bb.83:
	v_mad_u64_u32 v[6:7], s[0:1], v0, s14, 0
	v_add3_u32 v7, v7, v4, v1
	v_lshl_add_u64 v[6:7], v[6:7], 2, s[4:5]
	v_lshl_add_u64 v[6:7], v[2:3], 2, v[6:7]
	global_store_dword v[6:7], v21, off
.LBB53_84:
	s_cmp_eq_u64 s[6:7], 0
	s_cbranch_scc1 .LBB53_86
; %bb.85:
	v_mad_u64_u32 v[6:7], s[0:1], v0, s14, 0
	v_add3_u32 v7, v7, v4, v1
	v_lshl_add_u64 v[0:1], v[6:7], 2, s[6:7]
	v_lshl_add_u64 v[0:1], v[2:3], 2, v[0:1]
	global_store_dword v[0:1], v20, off
.LBB53_86:
	s_endpgm
	.section	.rodata,"a",@progbits
	.p2align	6, 0x0
	.amdhsa_kernel _ZN2at6native12_GLOBAL__N_135GammaBetaBackwardCUDAKernelTemplateIffLj64ELj1ELj8ELb1ELb0ELb0EEEvllPKT_S5_PKT0_S8_PS3_S9_
		.amdhsa_group_segment_fixed_size 0
		.amdhsa_private_segment_fixed_size 0
		.amdhsa_kernarg_size 320
		.amdhsa_user_sgpr_count 2
		.amdhsa_user_sgpr_dispatch_ptr 0
		.amdhsa_user_sgpr_queue_ptr 0
		.amdhsa_user_sgpr_kernarg_segment_ptr 1
		.amdhsa_user_sgpr_dispatch_id 0
		.amdhsa_user_sgpr_kernarg_preload_length 0
		.amdhsa_user_sgpr_kernarg_preload_offset 0
		.amdhsa_user_sgpr_private_segment_size 0
		.amdhsa_uses_dynamic_stack 0
		.amdhsa_enable_private_segment 0
		.amdhsa_system_sgpr_workgroup_id_x 1
		.amdhsa_system_sgpr_workgroup_id_y 1
		.amdhsa_system_sgpr_workgroup_id_z 0
		.amdhsa_system_sgpr_workgroup_info 0
		.amdhsa_system_vgpr_workitem_id 1
		.amdhsa_next_free_vgpr 103
		.amdhsa_next_free_sgpr 40
		.amdhsa_accum_offset 104
		.amdhsa_reserve_vcc 1
		.amdhsa_float_round_mode_32 0
		.amdhsa_float_round_mode_16_64 0
		.amdhsa_float_denorm_mode_32 3
		.amdhsa_float_denorm_mode_16_64 3
		.amdhsa_dx10_clamp 1
		.amdhsa_ieee_mode 1
		.amdhsa_fp16_overflow 0
		.amdhsa_tg_split 0
		.amdhsa_exception_fp_ieee_invalid_op 0
		.amdhsa_exception_fp_denorm_src 0
		.amdhsa_exception_fp_ieee_div_zero 0
		.amdhsa_exception_fp_ieee_overflow 0
		.amdhsa_exception_fp_ieee_underflow 0
		.amdhsa_exception_fp_ieee_inexact 0
		.amdhsa_exception_int_div_zero 0
	.end_amdhsa_kernel
	.section	.text._ZN2at6native12_GLOBAL__N_135GammaBetaBackwardCUDAKernelTemplateIffLj64ELj1ELj8ELb1ELb0ELb0EEEvllPKT_S5_PKT0_S8_PS3_S9_,"axG",@progbits,_ZN2at6native12_GLOBAL__N_135GammaBetaBackwardCUDAKernelTemplateIffLj64ELj1ELj8ELb1ELb0ELb0EEEvllPKT_S5_PKT0_S8_PS3_S9_,comdat
.Lfunc_end53:
	.size	_ZN2at6native12_GLOBAL__N_135GammaBetaBackwardCUDAKernelTemplateIffLj64ELj1ELj8ELb1ELb0ELb0EEEvllPKT_S5_PKT0_S8_PS3_S9_, .Lfunc_end53-_ZN2at6native12_GLOBAL__N_135GammaBetaBackwardCUDAKernelTemplateIffLj64ELj1ELj8ELb1ELb0ELb0EEEvllPKT_S5_PKT0_S8_PS3_S9_
                                        ; -- End function
	.set _ZN2at6native12_GLOBAL__N_135GammaBetaBackwardCUDAKernelTemplateIffLj64ELj1ELj8ELb1ELb0ELb0EEEvllPKT_S5_PKT0_S8_PS3_S9_.num_vgpr, 103
	.set _ZN2at6native12_GLOBAL__N_135GammaBetaBackwardCUDAKernelTemplateIffLj64ELj1ELj8ELb1ELb0ELb0EEEvllPKT_S5_PKT0_S8_PS3_S9_.num_agpr, 0
	.set _ZN2at6native12_GLOBAL__N_135GammaBetaBackwardCUDAKernelTemplateIffLj64ELj1ELj8ELb1ELb0ELb0EEEvllPKT_S5_PKT0_S8_PS3_S9_.numbered_sgpr, 40
	.set _ZN2at6native12_GLOBAL__N_135GammaBetaBackwardCUDAKernelTemplateIffLj64ELj1ELj8ELb1ELb0ELb0EEEvllPKT_S5_PKT0_S8_PS3_S9_.num_named_barrier, 0
	.set _ZN2at6native12_GLOBAL__N_135GammaBetaBackwardCUDAKernelTemplateIffLj64ELj1ELj8ELb1ELb0ELb0EEEvllPKT_S5_PKT0_S8_PS3_S9_.private_seg_size, 0
	.set _ZN2at6native12_GLOBAL__N_135GammaBetaBackwardCUDAKernelTemplateIffLj64ELj1ELj8ELb1ELb0ELb0EEEvllPKT_S5_PKT0_S8_PS3_S9_.uses_vcc, 1
	.set _ZN2at6native12_GLOBAL__N_135GammaBetaBackwardCUDAKernelTemplateIffLj64ELj1ELj8ELb1ELb0ELb0EEEvllPKT_S5_PKT0_S8_PS3_S9_.uses_flat_scratch, 0
	.set _ZN2at6native12_GLOBAL__N_135GammaBetaBackwardCUDAKernelTemplateIffLj64ELj1ELj8ELb1ELb0ELb0EEEvllPKT_S5_PKT0_S8_PS3_S9_.has_dyn_sized_stack, 0
	.set _ZN2at6native12_GLOBAL__N_135GammaBetaBackwardCUDAKernelTemplateIffLj64ELj1ELj8ELb1ELb0ELb0EEEvllPKT_S5_PKT0_S8_PS3_S9_.has_recursion, 0
	.set _ZN2at6native12_GLOBAL__N_135GammaBetaBackwardCUDAKernelTemplateIffLj64ELj1ELj8ELb1ELb0ELb0EEEvllPKT_S5_PKT0_S8_PS3_S9_.has_indirect_call, 0
	.section	.AMDGPU.csdata,"",@progbits
; Kernel info:
; codeLenInByte = 6576
; TotalNumSgprs: 46
; NumVgprs: 103
; NumAgprs: 0
; TotalNumVgprs: 103
; ScratchSize: 0
; MemoryBound: 0
; FloatMode: 240
; IeeeMode: 1
; LDSByteSize: 0 bytes/workgroup (compile time only)
; SGPRBlocks: 5
; VGPRBlocks: 12
; NumSGPRsForWavesPerEU: 46
; NumVGPRsForWavesPerEU: 103
; AccumOffset: 104
; Occupancy: 4
; WaveLimiterHint : 0
; COMPUTE_PGM_RSRC2:SCRATCH_EN: 0
; COMPUTE_PGM_RSRC2:USER_SGPR: 2
; COMPUTE_PGM_RSRC2:TRAP_HANDLER: 0
; COMPUTE_PGM_RSRC2:TGID_X_EN: 1
; COMPUTE_PGM_RSRC2:TGID_Y_EN: 1
; COMPUTE_PGM_RSRC2:TGID_Z_EN: 0
; COMPUTE_PGM_RSRC2:TIDIG_COMP_CNT: 1
; COMPUTE_PGM_RSRC3_GFX90A:ACCUM_OFFSET: 25
; COMPUTE_PGM_RSRC3_GFX90A:TG_SPLIT: 0
	.section	.text._ZN2at6native12_GLOBAL__N_135GammaBetaBackwardCUDAKernelTemplateIffLj64ELj8ELj64ELb0ELb1ELb0EEEvllPKT_S5_PKT0_S8_PS3_S9_,"axG",@progbits,_ZN2at6native12_GLOBAL__N_135GammaBetaBackwardCUDAKernelTemplateIffLj64ELj8ELj64ELb0ELb1ELb0EEEvllPKT_S5_PKT0_S8_PS3_S9_,comdat
	.globl	_ZN2at6native12_GLOBAL__N_135GammaBetaBackwardCUDAKernelTemplateIffLj64ELj8ELj64ELb0ELb1ELb0EEEvllPKT_S5_PKT0_S8_PS3_S9_ ; -- Begin function _ZN2at6native12_GLOBAL__N_135GammaBetaBackwardCUDAKernelTemplateIffLj64ELj8ELj64ELb0ELb1ELb0EEEvllPKT_S5_PKT0_S8_PS3_S9_
	.p2align	8
	.type	_ZN2at6native12_GLOBAL__N_135GammaBetaBackwardCUDAKernelTemplateIffLj64ELj8ELj64ELb0ELb1ELb0EEEvllPKT_S5_PKT0_S8_PS3_S9_,@function
_ZN2at6native12_GLOBAL__N_135GammaBetaBackwardCUDAKernelTemplateIffLj64ELj8ELj64ELb0ELb1ELb0EEEvllPKT_S5_PKT0_S8_PS3_S9_: ; @_ZN2at6native12_GLOBAL__N_135GammaBetaBackwardCUDAKernelTemplateIffLj64ELj8ELj64ELb0ELb1ELb0EEEvllPKT_S5_PKT0_S8_PS3_S9_
; %bb.0:
	s_load_dwordx4 s[16:19], s[0:1], 0x0
	s_lshl_b32 s20, s3, 6
	s_mov_b32 s21, 0
	v_mov_b64_e32 v[2:3], s[20:21]
	v_bfe_u32 v12, v0, 10, 10
	s_waitcnt lgkmcnt(0)
	v_cmp_gt_i64_e32 vcc, s[16:17], v[2:3]
	s_cbranch_vccnz .LBB54_2
; %bb.1:
	s_mov_b64 s[4:5], 0
	v_bfe_u32 v2, v0, 10, 10
	s_branch .LBB54_3
.LBB54_2:
	s_mov_b64 s[4:5], -1
                                        ; implicit-def: $vgpr2
.LBB54_3:
	s_load_dwordx4 s[12:15], s[0:1], 0x30
	v_mov_b32_e32 v1, 0
	v_and_b32_e32 v10, 0x3ff, v0
	s_andn2_b64 vcc, exec, s[4:5]
	v_mbcnt_lo_u32_b32 v11, -1, 0
	v_mov_b32_e32 v0, v1
	s_cbranch_vccnz .LBB54_11
; %bb.4:
	s_load_dword s3, s[0:1], 0x4c
	s_load_dword s22, s[0:1], 0x44
	s_load_dwordx8 s[4:11], s[0:1], 0x10
	v_lshlrev_b32_e32 v0, 3, v12
	v_mbcnt_hi_u32_b32 v4, -1, v11
	s_waitcnt lgkmcnt(0)
	s_and_b32 s0, s3, 0xffff
	v_mad_u32_u24 v1, v12, s0, v10
	v_and_b32_e32 v2, 63, v1
	v_mov_b32_e32 v1, 0
	v_mov_b32_e32 v3, v1
	v_lshl_add_u64 v[8:9], v[0:1], 0, s[20:21]
	v_cmp_gt_u32_e64 s[0:1], 8, v2
	s_lshl_b32 s22, s22, 6
	v_lshl_add_u64 v[2:3], v[8:9], 0, v[2:3]
	v_mul_lo_u32 v0, s19, v8
	v_mul_lo_u32 v21, s18, v9
	v_mad_u64_u32 v[8:9], s[26:27], s18, v8, 0
	v_lshl_add_u32 v6, s2, 6, v10
	v_mov_b32_e32 v7, v1
	v_lshlrev_b32_e32 v4, 2, v4
	s_mul_i32 s3, s19, s22
	s_mul_hi_u32 s26, s18, s22
	s_mov_b32 s23, 0
	v_and_b32_e32 v13, 0x100, v4
	v_add3_u32 v9, v9, v21, v0
	v_lshlrev_b64 v[6:7], 2, v[6:7]
	s_add_i32 s27, s26, s3
	s_mul_i32 s26, s18, s22
	v_or_b32_e32 v14, 4, v13
	v_or_b32_e32 v15, 8, v13
	;; [unrolled: 1-line block ×7, first 2 shown]
	v_lshlrev_b64 v[4:5], 2, v[2:3]
	s_lshl_b64 s[24:25], s[22:23], 2
	v_lshl_add_u64 v[6:7], v[8:9], 2, v[6:7]
	s_lshl_b64 s[26:27], s[26:27], 2
	s_lshl_b64 s[18:19], s[18:19], 2
	v_mov_b64_e32 v[8:9], s[16:17]
	v_mov_b32_e32 v0, v1
	s_branch .LBB54_7
.LBB54_5:                               ;   in Loop: Header=BB54_7 Depth=1
	s_or_b64 exec, exec, s[30:31]
.LBB54_6:                               ;   in Loop: Header=BB54_7 Depth=1
	s_or_b64 exec, exec, s[28:29]
	v_lshl_add_u64 v[26:27], s[6:7], 0, v[6:7]
	v_lshl_add_u64 v[24:25], s[4:5], 0, v[6:7]
	global_load_dword v28, v[26:27], off
	v_lshl_add_u64 v[26:27], v[26:27], 0, s[18:19]
	global_load_dword v23, v[24:25], off
	v_lshl_add_u64 v[24:25], v[24:25], 0, s[18:19]
	global_load_dword v30, v[26:27], off
	v_lshl_add_u64 v[26:27], v[26:27], 0, s[18:19]
	global_load_dword v29, v[24:25], off
	v_lshl_add_u64 v[24:25], v[24:25], 0, s[18:19]
	global_load_dword v32, v[26:27], off
	global_load_dword v31, v[24:25], off
	v_lshl_add_u64 v[26:27], v[26:27], 0, s[18:19]
	global_load_dword v34, v[26:27], off
	v_lshl_add_u64 v[24:25], v[24:25], 0, s[18:19]
	v_lshl_add_u64 v[26:27], v[26:27], 0, s[18:19]
	global_load_dword v33, v[24:25], off
	global_load_dword v36, v[26:27], off
	v_lshl_add_u64 v[24:25], v[24:25], 0, s[18:19]
	v_lshl_add_u64 v[26:27], v[26:27], 0, s[18:19]
	global_load_dword v35, v[24:25], off
	;; [unrolled: 4-line block ×4, first 2 shown]
	v_lshl_add_u64 v[24:25], v[24:25], 0, s[18:19]
	global_load_dword v26, v[26:27], off
	s_waitcnt vmcnt(16)
	ds_bpermute_b32 v27, v13, v21
	global_load_dword v25, v[24:25], off
	ds_bpermute_b32 v42, v14, v21
	s_waitcnt vmcnt(16)
	ds_bpermute_b32 v24, v13, v22
	ds_bpermute_b32 v44, v15, v21
	;; [unrolled: 1-line block ×14, first 2 shown]
	s_add_u32 s20, s20, s22
	s_addc_u32 s21, s21, 0
	v_cmp_lt_i64_e32 vcc, s[20:21], v[8:9]
	v_lshl_add_u64 v[4:5], v[4:5], 0, s[24:25]
	v_lshl_add_u64 v[2:3], v[2:3], 0, s[22:23]
	;; [unrolled: 1-line block ×3, first 2 shown]
	s_and_b64 vcc, exec, vcc
	s_waitcnt vmcnt(15) lgkmcnt(14)
	v_sub_f32_e32 v22, v28, v27
	s_waitcnt vmcnt(14)
	v_mul_f32_e32 v22, v23, v22
	s_waitcnt lgkmcnt(13)
	v_mul_f32_e32 v22, v22, v24
	s_waitcnt vmcnt(13)
	v_sub_f32_e32 v27, v30, v42
	v_pk_add_f32 v[0:1], v[0:1], v[22:23]
	s_waitcnt vmcnt(12)
	v_mul_f32_e32 v24, v29, v27
	s_waitcnt vmcnt(11) lgkmcnt(12)
	v_sub_f32_e32 v27, v32, v44
	s_waitcnt lgkmcnt(11)
	v_mul_f32_e32 v28, v24, v41
	s_waitcnt vmcnt(10)
	v_mul_f32_e32 v24, v31, v27
	s_waitcnt vmcnt(9) lgkmcnt(10)
	v_sub_f32_e32 v27, v34, v46
	s_waitcnt lgkmcnt(9)
	v_mul_f32_e32 v30, v24, v43
	v_pk_add_f32 v[0:1], v[0:1], v[28:29]
	s_waitcnt vmcnt(8)
	v_mul_f32_e32 v22, v33, v27
	s_waitcnt vmcnt(7) lgkmcnt(8)
	v_sub_f32_e32 v23, v36, v48
	s_waitcnt lgkmcnt(7)
	v_mul_f32_e32 v32, v22, v45
	v_pk_add_f32 v[0:1], v[0:1], v[30:31]
	s_waitcnt vmcnt(6)
	v_mul_f32_e32 v22, v35, v23
	s_waitcnt vmcnt(5) lgkmcnt(4)
	v_sub_f32_e32 v23, v38, v50
	v_mul_f32_e32 v34, v22, v47
	v_pk_add_f32 v[0:1], v[0:1], v[32:33]
	s_waitcnt vmcnt(4)
	v_mul_f32_e32 v22, v37, v23
	s_waitcnt vmcnt(3) lgkmcnt(1)
	v_sub_f32_e32 v23, v40, v52
	v_mul_f32_e32 v36, v22, v49
	v_pk_add_f32 v[0:1], v[0:1], v[34:35]
	s_waitcnt vmcnt(2)
	v_mul_f32_e32 v22, v39, v23
	v_mul_f32_e32 v38, v22, v51
	s_waitcnt vmcnt(1) lgkmcnt(0)
	v_sub_f32_e32 v21, v26, v21
	v_pk_add_f32 v[0:1], v[0:1], v[36:37]
	s_waitcnt vmcnt(0)
	v_mul_f32_e32 v21, v25, v21
	v_pk_add_f32 v[0:1], v[0:1], v[38:39]
	v_mul_f32_e32 v24, v21, v53
	v_pk_add_f32 v[0:1], v[0:1], v[24:25]
	s_cbranch_vccz .LBB54_10
.LBB54_7:                               ; =>This Inner Loop Header: Depth=1
	v_mov_b32_e32 v22, 0
	v_mov_b32_e32 v21, 0
	s_and_saveexec_b64 s[28:29], s[0:1]
	s_cbranch_execz .LBB54_6
; %bb.8:                                ;   in Loop: Header=BB54_7 Depth=1
	v_cmp_gt_i64_e32 vcc, s[16:17], v[2:3]
	v_mov_b32_e32 v21, 0
	v_mov_b32_e32 v22, 0
	s_and_saveexec_b64 s[30:31], vcc
	s_cbranch_execz .LBB54_5
; %bb.9:                                ;   in Loop: Header=BB54_7 Depth=1
	v_lshl_add_u64 v[26:27], s[8:9], 0, v[4:5]
	v_lshl_add_u64 v[24:25], s[10:11], 0, v[4:5]
	global_load_dword v21, v[26:27], off
	global_load_dword v22, v[24:25], off
	s_branch .LBB54_5
.LBB54_10:
	v_mov_b32_e32 v2, v12
.LBB54_11:
	s_movk_i32 s0, 0x41
	v_mad_u32_u24 v3, v2, s0, v10
	v_lshl_add_u32 v3, v3, 2, 0
	ds_write_b32 v3, v0
	ds_write_b32 v3, v1 offset:2080
	v_lshrrev_b32_e32 v0, 6, v10
	v_add_u32_e32 v0, v0, v2
	v_cmp_gt_u32_e32 vcc, 64, v0
	s_waitcnt lgkmcnt(0)
	s_barrier
	s_and_saveexec_b64 s[0:1], vcc
	s_cbranch_execz .LBB54_75
; %bb.12:
	v_and_b32_e32 v1, 63, v10
	v_cmp_lt_u32_e64 s[4:5], 7, v1
	v_cmp_gt_u32_e64 s[6:7], 8, v1
	v_mul_u32_u24_e32 v6, 0x41, v1
                                        ; implicit-def: $vgpr2
	s_and_saveexec_b64 s[0:1], s[6:7]
	s_cbranch_execz .LBB54_14
; %bb.13:
	v_add_u32_e32 v1, v0, v6
	v_lshl_add_u32 v1, v1, 2, 0
	ds_read_b32 v3, v1
	ds_read_b32 v2, v1 offset:2080
.LBB54_14:
	s_or_b64 exec, exec, s[0:1]
	v_mbcnt_hi_u32_b32 v1, -1, v11
	v_and_b32_e32 v4, 64, v1
	v_add_u32_e32 v9, 64, v4
	v_xor_b32_e32 v4, 4, v1
	v_cmp_lt_i32_e32 vcc, v4, v9
	v_xor_b32_e32 v8, 2, v1
	v_cmp_eq_u32_e64 s[0:1], 0, v10
	v_cndmask_b32_e32 v4, v1, v4, vcc
	v_lshlrev_b32_e32 v7, 2, v4
	s_waitcnt lgkmcnt(1)
	ds_bpermute_b32 v5, v7, v3
	s_waitcnt lgkmcnt(1)
	ds_bpermute_b32 v4, v7, v2
	v_cmp_lt_i32_e32 vcc, v8, v9
	v_xor_b32_e32 v10, 1, v1
	s_mov_b32 s3, 0
	v_cndmask_b32_e32 v8, v1, v8, vcc
	v_lshlrev_b32_e32 v8, 2, v8
	s_waitcnt lgkmcnt(0)
	v_pk_add_f32 v[2:3], v[2:3], v[4:5]
	ds_bpermute_b32 v5, v8, v3
	ds_bpermute_b32 v4, v8, v2
	v_cmp_lt_i32_e32 vcc, v10, v9
	s_lshl_b64 s[2:3], s[2:3], 6
	s_cmp_lg_u64 s[12:13], 0
	v_cndmask_b32_e32 v1, v1, v10, vcc
	v_lshlrev_b32_e32 v9, 2, v1
	s_waitcnt lgkmcnt(0)
	v_pk_add_f32 v[2:3], v[2:3], v[4:5]
	ds_bpermute_b32 v5, v9, v3
	ds_bpermute_b32 v4, v9, v2
	s_cselect_b64 s[10:11], -1, 0
	s_cmp_lg_u64 s[14:15], 0
	s_cselect_b64 s[8:9], -1, 0
	v_mov_b32_e32 v1, 0
	s_waitcnt lgkmcnt(0)
	v_pk_add_f32 v[2:3], v[2:3], v[4:5]
	s_and_saveexec_b64 s[16:17], s[0:1]
	s_cbranch_execz .LBB54_19
; %bb.15:
	v_mov_b32_e32 v5, s3
	s_andn2_b64 vcc, exec, s[10:11]
	v_or_b32_e32 v4, s2, v0
	s_cbranch_vccnz .LBB54_17
; %bb.16:
	v_lshl_add_u64 v[10:11], v[4:5], 2, s[12:13]
	global_store_dword v[10:11], v3, off
.LBB54_17:
	s_andn2_b64 vcc, exec, s[8:9]
	s_cbranch_vccnz .LBB54_19
; %bb.18:
	v_lshl_add_u64 v[4:5], v[4:5], 2, s[14:15]
	global_store_dword v[4:5], v2, off
.LBB54_19:
	s_or_b64 exec, exec, s[16:17]
	v_cmp_gt_u32_e32 vcc, 56, v0
	s_and_b64 exec, exec, vcc
	s_cbranch_execz .LBB54_75
; %bb.20:
	s_and_saveexec_b64 s[16:17], s[4:5]
	s_xor_b64 s[16:17], exec, s[16:17]
	s_andn2_saveexec_b64 s[16:17], s[16:17]
	s_cbranch_execz .LBB54_22
; %bb.21:
	v_add_u32_e32 v2, v0, v6
	v_lshl_add_u32 v2, v2, 2, 0
	ds_read_b32 v3, v2 offset:32
	ds_read_b32 v2, v2 offset:2112
.LBB54_22:
	s_or_b64 exec, exec, s[16:17]
	s_waitcnt lgkmcnt(1)
	ds_bpermute_b32 v5, v7, v3
	s_waitcnt lgkmcnt(1)
	ds_bpermute_b32 v4, v7, v2
	s_waitcnt lgkmcnt(0)
	v_pk_add_f32 v[2:3], v[2:3], v[4:5]
	ds_bpermute_b32 v5, v8, v3
	ds_bpermute_b32 v4, v8, v2
	s_waitcnt lgkmcnt(0)
	v_pk_add_f32 v[2:3], v[2:3], v[4:5]
	ds_bpermute_b32 v5, v9, v3
	ds_bpermute_b32 v4, v9, v2
	s_waitcnt lgkmcnt(0)
	v_pk_add_f32 v[2:3], v[2:3], v[4:5]
	s_and_saveexec_b64 s[16:17], s[0:1]
	s_cbranch_execz .LBB54_27
; %bb.23:
	s_andn2_b64 vcc, exec, s[10:11]
	s_cbranch_vccnz .LBB54_25
; %bb.24:
	v_lshl_add_u64 v[4:5], s[2:3], 0, v[0:1]
	v_lshl_add_u64 v[4:5], v[4:5], 2, s[12:13]
	global_store_dword v[4:5], v3, off offset:32
.LBB54_25:
	s_andn2_b64 vcc, exec, s[8:9]
	s_cbranch_vccnz .LBB54_27
; %bb.26:
	v_lshl_add_u64 v[4:5], s[2:3], 0, v[0:1]
	v_lshl_add_u64 v[4:5], v[4:5], 2, s[14:15]
	global_store_dword v[4:5], v2, off offset:32
.LBB54_27:
	s_or_b64 exec, exec, s[16:17]
	v_cmp_gt_u32_e32 vcc, 48, v0
	s_and_b64 exec, exec, vcc
	s_cbranch_execz .LBB54_75
; %bb.28:
	s_and_saveexec_b64 s[16:17], s[4:5]
	s_xor_b64 s[16:17], exec, s[16:17]
	s_andn2_saveexec_b64 s[16:17], s[16:17]
	s_cbranch_execz .LBB54_30
; %bb.29:
	v_add_u32_e32 v2, v0, v6
	v_lshl_add_u32 v2, v2, 2, 0
	ds_read_b32 v3, v2 offset:64
	ds_read_b32 v2, v2 offset:2144
.LBB54_30:
	s_or_b64 exec, exec, s[16:17]
	s_waitcnt lgkmcnt(1)
	ds_bpermute_b32 v5, v7, v3
	s_waitcnt lgkmcnt(1)
	ds_bpermute_b32 v4, v7, v2
	s_waitcnt lgkmcnt(0)
	v_pk_add_f32 v[2:3], v[2:3], v[4:5]
	ds_bpermute_b32 v5, v8, v3
	ds_bpermute_b32 v4, v8, v2
	s_waitcnt lgkmcnt(0)
	v_pk_add_f32 v[2:3], v[2:3], v[4:5]
	ds_bpermute_b32 v5, v9, v3
	ds_bpermute_b32 v4, v9, v2
	s_waitcnt lgkmcnt(0)
	v_pk_add_f32 v[2:3], v[2:3], v[4:5]
	s_and_saveexec_b64 s[16:17], s[0:1]
	s_cbranch_execz .LBB54_35
; %bb.31:
	s_andn2_b64 vcc, exec, s[10:11]
	s_cbranch_vccnz .LBB54_33
; %bb.32:
	v_lshl_add_u64 v[4:5], s[2:3], 0, v[0:1]
	v_lshl_add_u64 v[4:5], v[4:5], 2, s[12:13]
	global_store_dword v[4:5], v3, off offset:64
.LBB54_33:
	s_andn2_b64 vcc, exec, s[8:9]
	s_cbranch_vccnz .LBB54_35
; %bb.34:
	v_lshl_add_u64 v[4:5], s[2:3], 0, v[0:1]
	v_lshl_add_u64 v[4:5], v[4:5], 2, s[14:15]
	global_store_dword v[4:5], v2, off offset:64
.LBB54_35:
	;; [unrolled: 47-line block ×6, first 2 shown]
	s_or_b64 exec, exec, s[4:5]
	v_cmp_gt_u32_e32 vcc, 8, v0
	s_and_b64 exec, exec, vcc
	s_cbranch_execz .LBB54_75
; %bb.68:
	s_and_saveexec_b64 s[4:5], s[6:7]
	s_cbranch_execz .LBB54_70
; %bb.69:
	v_add_u32_e32 v2, v0, v6
	v_lshl_add_u32 v2, v2, 2, 0
	ds_read_b32 v3, v2 offset:224
	ds_read_b32 v2, v2 offset:2304
.LBB54_70:
	s_or_b64 exec, exec, s[4:5]
	s_waitcnt lgkmcnt(1)
	ds_bpermute_b32 v4, v7, v3
	s_waitcnt lgkmcnt(1)
	ds_bpermute_b32 v5, v7, v2
	s_waitcnt lgkmcnt(1)
	v_add_f32_e32 v3, v3, v4
	s_waitcnt lgkmcnt(0)
	v_add_f32_e32 v2, v2, v5
	ds_bpermute_b32 v4, v8, v3
	ds_bpermute_b32 v5, v8, v2
	s_waitcnt lgkmcnt(1)
	v_add_f32_e32 v4, v3, v4
	s_waitcnt lgkmcnt(0)
	v_add_f32_e32 v2, v2, v5
	ds_bpermute_b32 v5, v9, v4
	ds_bpermute_b32 v3, v9, v2
	s_and_b64 exec, exec, s[0:1]
	s_cbranch_execz .LBB54_75
; %bb.71:
	s_andn2_b64 vcc, exec, s[10:11]
	v_lshl_add_u64 v[0:1], s[2:3], 0, v[0:1]
	s_cbranch_vccnz .LBB54_73
; %bb.72:
	s_waitcnt lgkmcnt(1)
	v_add_f32_e32 v6, v4, v5
	v_lshl_add_u64 v[4:5], v[0:1], 2, s[12:13]
	global_store_dword v[4:5], v6, off offset:224
.LBB54_73:
	s_andn2_b64 vcc, exec, s[8:9]
	s_cbranch_vccnz .LBB54_75
; %bb.74:
	s_waitcnt lgkmcnt(0)
	v_add_f32_e32 v2, v2, v3
	v_lshl_add_u64 v[0:1], v[0:1], 2, s[14:15]
	global_store_dword v[0:1], v2, off offset:224
.LBB54_75:
	s_endpgm
	.section	.rodata,"a",@progbits
	.p2align	6, 0x0
	.amdhsa_kernel _ZN2at6native12_GLOBAL__N_135GammaBetaBackwardCUDAKernelTemplateIffLj64ELj8ELj64ELb0ELb1ELb0EEEvllPKT_S5_PKT0_S8_PS3_S9_
		.amdhsa_group_segment_fixed_size 0
		.amdhsa_private_segment_fixed_size 0
		.amdhsa_kernarg_size 320
		.amdhsa_user_sgpr_count 2
		.amdhsa_user_sgpr_dispatch_ptr 0
		.amdhsa_user_sgpr_queue_ptr 0
		.amdhsa_user_sgpr_kernarg_segment_ptr 1
		.amdhsa_user_sgpr_dispatch_id 0
		.amdhsa_user_sgpr_kernarg_preload_length 0
		.amdhsa_user_sgpr_kernarg_preload_offset 0
		.amdhsa_user_sgpr_private_segment_size 0
		.amdhsa_uses_dynamic_stack 0
		.amdhsa_enable_private_segment 0
		.amdhsa_system_sgpr_workgroup_id_x 1
		.amdhsa_system_sgpr_workgroup_id_y 1
		.amdhsa_system_sgpr_workgroup_id_z 0
		.amdhsa_system_sgpr_workgroup_info 0
		.amdhsa_system_vgpr_workitem_id 1
		.amdhsa_next_free_vgpr 54
		.amdhsa_next_free_sgpr 32
		.amdhsa_accum_offset 56
		.amdhsa_reserve_vcc 1
		.amdhsa_float_round_mode_32 0
		.amdhsa_float_round_mode_16_64 0
		.amdhsa_float_denorm_mode_32 3
		.amdhsa_float_denorm_mode_16_64 3
		.amdhsa_dx10_clamp 1
		.amdhsa_ieee_mode 1
		.amdhsa_fp16_overflow 0
		.amdhsa_tg_split 0
		.amdhsa_exception_fp_ieee_invalid_op 0
		.amdhsa_exception_fp_denorm_src 0
		.amdhsa_exception_fp_ieee_div_zero 0
		.amdhsa_exception_fp_ieee_overflow 0
		.amdhsa_exception_fp_ieee_underflow 0
		.amdhsa_exception_fp_ieee_inexact 0
		.amdhsa_exception_int_div_zero 0
	.end_amdhsa_kernel
	.section	.text._ZN2at6native12_GLOBAL__N_135GammaBetaBackwardCUDAKernelTemplateIffLj64ELj8ELj64ELb0ELb1ELb0EEEvllPKT_S5_PKT0_S8_PS3_S9_,"axG",@progbits,_ZN2at6native12_GLOBAL__N_135GammaBetaBackwardCUDAKernelTemplateIffLj64ELj8ELj64ELb0ELb1ELb0EEEvllPKT_S5_PKT0_S8_PS3_S9_,comdat
.Lfunc_end54:
	.size	_ZN2at6native12_GLOBAL__N_135GammaBetaBackwardCUDAKernelTemplateIffLj64ELj8ELj64ELb0ELb1ELb0EEEvllPKT_S5_PKT0_S8_PS3_S9_, .Lfunc_end54-_ZN2at6native12_GLOBAL__N_135GammaBetaBackwardCUDAKernelTemplateIffLj64ELj8ELj64ELb0ELb1ELb0EEEvllPKT_S5_PKT0_S8_PS3_S9_
                                        ; -- End function
	.set _ZN2at6native12_GLOBAL__N_135GammaBetaBackwardCUDAKernelTemplateIffLj64ELj8ELj64ELb0ELb1ELb0EEEvllPKT_S5_PKT0_S8_PS3_S9_.num_vgpr, 54
	.set _ZN2at6native12_GLOBAL__N_135GammaBetaBackwardCUDAKernelTemplateIffLj64ELj8ELj64ELb0ELb1ELb0EEEvllPKT_S5_PKT0_S8_PS3_S9_.num_agpr, 0
	.set _ZN2at6native12_GLOBAL__N_135GammaBetaBackwardCUDAKernelTemplateIffLj64ELj8ELj64ELb0ELb1ELb0EEEvllPKT_S5_PKT0_S8_PS3_S9_.numbered_sgpr, 32
	.set _ZN2at6native12_GLOBAL__N_135GammaBetaBackwardCUDAKernelTemplateIffLj64ELj8ELj64ELb0ELb1ELb0EEEvllPKT_S5_PKT0_S8_PS3_S9_.num_named_barrier, 0
	.set _ZN2at6native12_GLOBAL__N_135GammaBetaBackwardCUDAKernelTemplateIffLj64ELj8ELj64ELb0ELb1ELb0EEEvllPKT_S5_PKT0_S8_PS3_S9_.private_seg_size, 0
	.set _ZN2at6native12_GLOBAL__N_135GammaBetaBackwardCUDAKernelTemplateIffLj64ELj8ELj64ELb0ELb1ELb0EEEvllPKT_S5_PKT0_S8_PS3_S9_.uses_vcc, 1
	.set _ZN2at6native12_GLOBAL__N_135GammaBetaBackwardCUDAKernelTemplateIffLj64ELj8ELj64ELb0ELb1ELb0EEEvllPKT_S5_PKT0_S8_PS3_S9_.uses_flat_scratch, 0
	.set _ZN2at6native12_GLOBAL__N_135GammaBetaBackwardCUDAKernelTemplateIffLj64ELj8ELj64ELb0ELb1ELb0EEEvllPKT_S5_PKT0_S8_PS3_S9_.has_dyn_sized_stack, 0
	.set _ZN2at6native12_GLOBAL__N_135GammaBetaBackwardCUDAKernelTemplateIffLj64ELj8ELj64ELb0ELb1ELb0EEEvllPKT_S5_PKT0_S8_PS3_S9_.has_recursion, 0
	.set _ZN2at6native12_GLOBAL__N_135GammaBetaBackwardCUDAKernelTemplateIffLj64ELj8ELj64ELb0ELb1ELb0EEEvllPKT_S5_PKT0_S8_PS3_S9_.has_indirect_call, 0
	.section	.AMDGPU.csdata,"",@progbits
; Kernel info:
; codeLenInByte = 3092
; TotalNumSgprs: 38
; NumVgprs: 54
; NumAgprs: 0
; TotalNumVgprs: 54
; ScratchSize: 0
; MemoryBound: 0
; FloatMode: 240
; IeeeMode: 1
; LDSByteSize: 0 bytes/workgroup (compile time only)
; SGPRBlocks: 4
; VGPRBlocks: 6
; NumSGPRsForWavesPerEU: 38
; NumVGPRsForWavesPerEU: 54
; AccumOffset: 56
; Occupancy: 8
; WaveLimiterHint : 0
; COMPUTE_PGM_RSRC2:SCRATCH_EN: 0
; COMPUTE_PGM_RSRC2:USER_SGPR: 2
; COMPUTE_PGM_RSRC2:TRAP_HANDLER: 0
; COMPUTE_PGM_RSRC2:TGID_X_EN: 1
; COMPUTE_PGM_RSRC2:TGID_Y_EN: 1
; COMPUTE_PGM_RSRC2:TGID_Z_EN: 0
; COMPUTE_PGM_RSRC2:TIDIG_COMP_CNT: 1
; COMPUTE_PGM_RSRC3_GFX90A:ACCUM_OFFSET: 13
; COMPUTE_PGM_RSRC3_GFX90A:TG_SPLIT: 0
	.section	.text._ZN2at6native12_GLOBAL__N_135GammaBetaBackwardCUDAKernelTemplateIffLj64ELj8ELj64ELb0ELb0ELb0EEEvllPKT_S5_PKT0_S8_PS3_S9_,"axG",@progbits,_ZN2at6native12_GLOBAL__N_135GammaBetaBackwardCUDAKernelTemplateIffLj64ELj8ELj64ELb0ELb0ELb0EEEvllPKT_S5_PKT0_S8_PS3_S9_,comdat
	.globl	_ZN2at6native12_GLOBAL__N_135GammaBetaBackwardCUDAKernelTemplateIffLj64ELj8ELj64ELb0ELb0ELb0EEEvllPKT_S5_PKT0_S8_PS3_S9_ ; -- Begin function _ZN2at6native12_GLOBAL__N_135GammaBetaBackwardCUDAKernelTemplateIffLj64ELj8ELj64ELb0ELb0ELb0EEEvllPKT_S5_PKT0_S8_PS3_S9_
	.p2align	8
	.type	_ZN2at6native12_GLOBAL__N_135GammaBetaBackwardCUDAKernelTemplateIffLj64ELj8ELj64ELb0ELb0ELb0EEEvllPKT_S5_PKT0_S8_PS3_S9_,@function
_ZN2at6native12_GLOBAL__N_135GammaBetaBackwardCUDAKernelTemplateIffLj64ELj8ELj64ELb0ELb0ELb0EEEvllPKT_S5_PKT0_S8_PS3_S9_: ; @_ZN2at6native12_GLOBAL__N_135GammaBetaBackwardCUDAKernelTemplateIffLj64ELj8ELj64ELb0ELb0ELb0EEEvllPKT_S5_PKT0_S8_PS3_S9_
; %bb.0:
	s_load_dwordx8 s[8:15], s[0:1], 0x0
	s_load_dwordx4 s[16:19], s[0:1], 0x20
	s_lshl_b32 s33, s2, 6
	s_mov_b32 s21, 0
	s_lshl_b32 s20, s3, 6
	s_or_b32 s4, s33, 63
	v_mov_b64_e32 v[2:3], s[20:21]
	v_mov_b32_e32 v20, s4
	v_mov_b32_e32 v21, 0
	s_waitcnt lgkmcnt(0)
	v_cmp_gt_i64_e64 s[4:5], s[8:9], v[2:3]
	v_cmp_le_i64_e32 vcc, s[10:11], v[20:21]
	s_nop 0
	v_cndmask_b32_e64 v1, 0, 1, s[4:5]
	v_cmp_ne_u32_e64 s[4:5], 1, v1
	s_cbranch_vccz .LBB55_48
; %bb.1:
	s_and_b64 vcc, exec, s[4:5]
	v_mov_b32_e32 v20, 0
	s_cbranch_vccnz .LBB55_49
; %bb.2:
	v_and_b32_e32 v1, 0x3ff, v0
	v_mov_b32_e32 v2, 0
	v_bfe_u32 v62, v0, 10, 10
	v_add_u32_e32 v4, s33, v1
	v_mov_b32_e32 v5, v2
	v_lshlrev_b32_e32 v22, 3, v62
	v_mov_b32_e32 v23, v2
	v_cmp_gt_i64_e64 s[6:7], s[10:11], v[4:5]
	v_lshlrev_b64 v[24:25], 2, v[4:5]
	v_lshl_add_u64 v[4:5], v[22:23], 0, s[20:21]
	v_mul_lo_u32 v3, s11, v4
	v_mul_lo_u32 v8, s10, v5
	v_mad_u64_u32 v[6:7], s[24:25], s10, v4, 0
	v_add3_u32 v7, v7, v8, v3
	v_lshlrev_b64 v[6:7], 2, v[6:7]
	v_lshl_add_u64 v[26:27], s[12:13], 0, v[6:7]
	v_lshl_add_u64 v[28:29], s[14:15], 0, v[6:7]
	v_lshl_add_u64 v[6:7], v[4:5], 0, 7
	v_mul_lo_u32 v9, s11, v6
	v_mul_lo_u32 v10, s10, v7
	v_mad_u64_u32 v[6:7], s[26:27], s10, v6, 0
	v_add3_u32 v7, v7, v10, v9
	v_lshlrev_b64 v[6:7], 2, v[6:7]
	v_lshl_add_u64 v[30:31], s[12:13], 0, v[6:7]
	v_lshl_add_u64 v[32:33], s[14:15], 0, v[6:7]
	;; [unrolled: 8-line block ×5, first 2 shown]
	v_lshl_add_u64 v[6:7], v[4:5], 0, 3
	v_mul_lo_u32 v9, s11, v6
	v_mul_lo_u32 v10, s10, v7
	v_mad_u64_u32 v[6:7], s[26:27], s10, v6, 0
	v_add3_u32 v7, v7, v10, v9
	s_load_dword s3, s[0:1], 0x44
	v_lshlrev_b64 v[6:7], 2, v[6:7]
	v_lshl_add_u64 v[46:47], s[12:13], 0, v[6:7]
	v_lshl_add_u64 v[48:49], s[14:15], 0, v[6:7]
	;; [unrolled: 1-line block ×3, first 2 shown]
	v_mul_lo_u32 v5, s11, v6
	v_mul_lo_u32 v9, s10, v7
	v_mad_u64_u32 v[6:7], s[26:27], s10, v6, 0
	v_add3_u32 v7, v7, v9, v5
	s_add_u32 s22, s0, 64
	v_lshlrev_b64 v[6:7], 2, v[6:7]
	s_addc_u32 s23, s1, 0
	s_waitcnt lgkmcnt(0)
	s_lshl_b32 s3, s3, 6
	v_lshl_add_u64 v[50:51], s[12:13], 0, v[6:7]
	v_lshl_add_u64 v[52:53], s[14:15], 0, v[6:7]
	v_mov_b64_e32 v[6:7], s[10:11]
	s_mul_i32 s24, s11, s3
	s_mul_hi_u32 s25, s10, s3
	v_mad_u64_u32 v[4:5], s[26:27], s10, v4, v[6:7]
	s_add_i32 s25, s25, s24
	s_mul_i32 s24, s10, s3
	v_add3_u32 v5, v3, v5, v8
	v_mbcnt_lo_u32_b32 v3, -1, 0
	s_lshl_b64 s[24:25], s[24:25], 2
	v_mbcnt_hi_u32_b32 v3, -1, v3
	v_lshlrev_b64 v[4:5], 2, v[4:5]
	s_add_u32 s26, s20, 63
	s_movk_i32 s28, 0xffc1
	s_movk_i32 s30, 0xffc2
	;; [unrolled: 1-line block ×8, first 2 shown]
	v_lshlrev_b32_e32 v3, 2, v3
	v_lshl_add_u64 v[54:55], s[12:13], 0, v[4:5]
	v_lshl_add_u64 v[56:57], s[14:15], 0, v[4:5]
	s_addc_u32 s27, 0, 0
	s_mov_b32 s29, -1
	s_mov_b32 s31, -1
	;; [unrolled: 1-line block ×8, first 2 shown]
	v_and_b32_e32 v63, 0x100, v3
	s_mov_b64 s[46:47], s[20:21]
	v_mov_b32_e32 v20, 0
	v_mov_b32_e32 v21, v2
	s_branch .LBB55_5
.LBB55_3:                               ;   in Loop: Header=BB55_5 Depth=1
	s_or_b64 exec, exec, s[48:49]
	s_waitcnt vmcnt(1)
	ds_bpermute_b32 v3, v63, v61
	ds_bpermute_b32 v58, v63, v61 offset:4
	s_waitcnt vmcnt(0)
	ds_bpermute_b32 v59, v63, v60
	ds_bpermute_b32 v64, v63, v60 offset:4
	v_mov_b32_e32 v65, v7
	s_waitcnt lgkmcnt(3)
	v_sub_f32_e32 v3, v12, v3
	v_mul_f32_e32 v3, v4, v3
	s_waitcnt lgkmcnt(2)
	v_sub_f32_e32 v13, v13, v58
	s_waitcnt lgkmcnt(1)
	v_mul_f32_e32 v12, v3, v59
	ds_bpermute_b32 v3, v63, v61 offset:8
	v_mul_f32_e32 v13, v5, v13
	s_waitcnt lgkmcnt(1)
	v_mul_f32_e32 v58, v13, v64
	ds_bpermute_b32 v13, v63, v60 offset:8
	ds_bpermute_b32 v59, v63, v61 offset:12
	;; [unrolled: 1-line block ×3, first 2 shown]
	s_waitcnt lgkmcnt(3)
	v_sub_f32_e32 v3, v14, v3
	v_mul_f32_e32 v3, v6, v3
	s_waitcnt lgkmcnt(2)
	v_mul_f32_e32 v14, v3, v13
	s_waitcnt lgkmcnt(1)
	v_sub_f32_e32 v3, v15, v59
	ds_bpermute_b32 v13, v63, v61 offset:16
	v_mul_f32_e32 v3, v7, v3
	s_waitcnt lgkmcnt(1)
	v_mul_f32_e32 v64, v3, v64
	ds_bpermute_b32 v3, v63, v60 offset:16
	ds_bpermute_b32 v15, v63, v61 offset:20
	;; [unrolled: 1-line block ×3, first 2 shown]
	s_waitcnt lgkmcnt(3)
	v_sub_f32_e32 v13, v16, v13
	v_mul_f32_e32 v13, v8, v13
	s_waitcnt lgkmcnt(2)
	v_mul_f32_e32 v16, v13, v3
	s_waitcnt lgkmcnt(1)
	v_sub_f32_e32 v3, v17, v15
	v_mul_f32_e32 v3, v9, v3
	v_mov_b32_e32 v13, v4
	s_waitcnt lgkmcnt(0)
	v_mul_f32_e32 v66, v3, v59
	v_pk_add_f32 v[12:13], v[20:21], v[12:13]
	v_mov_b32_e32 v59, v5
	v_pk_add_f32 v[4:5], v[58:59], v[12:13]
	v_mov_b32_e32 v15, v6
	v_pk_add_f32 v[4:5], v[14:15], v[4:5]
	ds_bpermute_b32 v3, v63, v61 offset:24
	v_pk_add_f32 v[4:5], v[64:65], v[4:5]
	v_mov_b32_e32 v17, v8
	v_pk_add_f32 v[4:5], v[16:17], v[4:5]
	v_mov_b32_e32 v67, v9
	v_pk_add_f32 v[6:7], v[66:67], v[4:5]
	ds_bpermute_b32 v5, v63, v60 offset:24
	s_waitcnt lgkmcnt(1)
	v_sub_f32_e32 v8, v18, v3
	ds_bpermute_b32 v3, v63, v60 offset:28
	ds_bpermute_b32 v4, v63, v61 offset:28
	v_mul_f32_e32 v8, v10, v8
	s_waitcnt lgkmcnt(2)
	v_mul_f32_e32 v8, v8, v5
	v_mov_b32_e32 v9, v10
	v_pk_add_f32 v[60:61], v[8:9], v[6:7]
.LBB55_4:                               ;   in Loop: Header=BB55_5 Depth=1
	s_waitcnt lgkmcnt(0)
	v_sub_f32_e32 v4, v19, v4
	v_mul_f32_e32 v4, v11, v4
	s_add_u32 s46, s46, s3
	v_mul_f32_e32 v10, v4, v3
	s_addc_u32 s47, s47, 0
	v_mov_b64_e32 v[4:5], s[8:9]
	s_add_u32 s26, s26, s3
	v_cmp_lt_i64_e32 vcc, s[46:47], v[4:5]
	v_pk_add_f32 v[20:21], v[60:61], v[10:11]
	v_lshl_add_u64 v[26:27], v[26:27], 0, s[24:25]
	v_lshl_add_u64 v[28:29], v[28:29], 0, s[24:25]
	;; [unrolled: 1-line block ×16, first 2 shown]
	s_addc_u32 s27, s27, 0
	s_cbranch_vccz .LBB55_49
.LBB55_5:                               ; =>This Inner Loop Header: Depth=1
	v_mov_b64_e32 v[4:5], s[8:9]
	v_cmp_ge_i64_e32 vcc, s[26:27], v[4:5]
	v_lshl_add_u64 v[58:59], v[22:23], 0, s[26:27]
	s_mov_b64 s[48:49], -1
	s_and_b64 vcc, exec, vcc
                                        ; implicit-def: $vgpr4_vgpr5_vgpr6_vgpr7_vgpr8_vgpr9_vgpr10_vgpr11
                                        ; implicit-def: $vgpr60_vgpr61
                                        ; implicit-def: $vgpr3
                                        ; implicit-def: $vgpr12_vgpr13_vgpr14_vgpr15_vgpr16_vgpr17_vgpr18_vgpr19
                                        ; implicit-def: $vgpr4
	s_cbranch_vccz .LBB55_27
; %bb.6:                                ;   in Loop: Header=BB55_5 Depth=1
	s_load_dword s48, s[22:23], 0xc
	v_mov_b32_e32 v60, 0
	v_mov_b32_e32 v61, 0
	s_waitcnt lgkmcnt(0)
	s_and_b32 s48, s48, 0xffff
	v_mad_u32_u24 v3, v62, s48, v1
	v_and_b32_e32 v4, 63, v3
	v_cmp_gt_u32_e32 vcc, 8, v4
	s_and_saveexec_b64 s[48:49], vcc
	s_cbranch_execz .LBB55_10
; %bb.7:                                ;   in Loop: Header=BB55_5 Depth=1
	v_mov_b32_e32 v5, v2
	v_lshl_add_u64 v[4:5], v[58:59], 0, v[4:5]
	v_lshl_add_u64 v[4:5], v[4:5], 0, s[28:29]
	v_cmp_gt_i64_e32 vcc, s[8:9], v[4:5]
	v_mov_b32_e32 v61, 0
	v_mov_b32_e32 v60, 0
	s_and_saveexec_b64 s[50:51], vcc
	s_cbranch_execz .LBB55_9
; %bb.8:                                ;   in Loop: Header=BB55_5 Depth=1
	v_lshlrev_b64 v[4:5], 2, v[4:5]
	v_lshl_add_u64 v[6:7], s[18:19], 0, v[4:5]
	v_lshl_add_u64 v[4:5], s[16:17], 0, v[4:5]
	global_load_dword v61, v[4:5], off
	global_load_dword v60, v[6:7], off
.LBB55_9:                               ;   in Loop: Header=BB55_5 Depth=1
	s_or_b64 exec, exec, s[50:51]
.LBB55_10:                              ;   in Loop: Header=BB55_5 Depth=1
	s_or_b64 exec, exec, s[48:49]
	v_lshl_add_u64 v[4:5], v[58:59], 0, s[28:29]
	v_mov_b32_e32 v8, v2
	v_mov_b32_e32 v9, v2
	v_cmp_gt_i64_e32 vcc, s[8:9], v[4:5]
	v_mov_b32_e32 v3, v2
	v_mov_b32_e32 v4, v2
	;; [unrolled: 1-line block ×5, first 2 shown]
	v_mov_b64_e32 v[18:19], v[8:9]
	v_mov_b64_e32 v[16:17], v[6:7]
	;; [unrolled: 1-line block ×5, first 2 shown]
	s_and_b64 s[50:51], s[6:7], vcc
	v_mov_b64_e32 v[8:9], v[6:7]
	v_mov_b64_e32 v[6:7], v[4:5]
	v_mov_b64_e32 v[4:5], v[2:3]
	s_and_saveexec_b64 s[48:49], s[50:51]
	s_cbranch_execz .LBB55_12
; %bb.11:                               ;   in Loop: Header=BB55_5 Depth=1
	v_lshl_add_u64 v[4:5], v[26:27], 0, v[24:25]
	v_lshl_add_u64 v[6:7], v[28:29], 0, v[24:25]
	global_load_dword v4, v[4:5], off
	v_mov_b32_e32 v5, v2
	global_load_dword v12, v[6:7], off
	v_mov_b32_e32 v6, v2
	v_mov_b32_e32 v7, v2
	v_mov_b32_e32 v8, v2
	v_mov_b32_e32 v9, v2
	v_mov_b32_e32 v10, v2
	v_mov_b32_e32 v11, v2
	v_mov_b32_e32 v13, v2
	v_mov_b32_e32 v14, v2
	v_mov_b32_e32 v15, v2
	v_mov_b32_e32 v16, v2
	v_mov_b32_e32 v17, v2
	v_mov_b32_e32 v18, v2
	v_mov_b32_e32 v19, v2
.LBB55_12:                              ;   in Loop: Header=BB55_5 Depth=1
	s_or_b64 exec, exec, s[48:49]
	v_lshl_add_u64 v[64:65], v[58:59], 0, s[30:31]
	v_cmp_gt_i64_e32 vcc, s[8:9], v[64:65]
	s_and_b64 s[50:51], s[6:7], vcc
	s_and_saveexec_b64 s[48:49], s[50:51]
	s_cbranch_execz .LBB55_14
; %bb.13:                               ;   in Loop: Header=BB55_5 Depth=1
	v_lshl_add_u64 v[64:65], v[54:55], 0, v[24:25]
	global_load_dword v5, v[64:65], off
	v_lshl_add_u64 v[64:65], v[56:57], 0, v[24:25]
	global_load_dword v13, v[64:65], off
.LBB55_14:                              ;   in Loop: Header=BB55_5 Depth=1
	s_or_b64 exec, exec, s[48:49]
	v_lshl_add_u64 v[64:65], v[58:59], 0, s[34:35]
	v_cmp_gt_i64_e32 vcc, s[8:9], v[64:65]
	s_and_b64 s[50:51], s[6:7], vcc
	s_and_saveexec_b64 s[48:49], s[50:51]
	s_cbranch_execz .LBB55_16
; %bb.15:                               ;   in Loop: Header=BB55_5 Depth=1
	v_lshl_add_u64 v[64:65], v[50:51], 0, v[24:25]
	global_load_dword v6, v[64:65], off
	v_lshl_add_u64 v[64:65], v[52:53], 0, v[24:25]
	global_load_dword v14, v[64:65], off
.LBB55_16:                              ;   in Loop: Header=BB55_5 Depth=1
	;; [unrolled: 12-line block ×7, first 2 shown]
	s_or_b64 exec, exec, s[48:49]
	s_waitcnt vmcnt(1)
	ds_bpermute_b32 v3, v63, v61
	ds_bpermute_b32 v64, v63, v61 offset:4
	s_waitcnt vmcnt(0)
	ds_bpermute_b32 v65, v63, v60
	ds_bpermute_b32 v66, v63, v60 offset:4
	v_mov_b32_e32 v67, v7
	s_waitcnt lgkmcnt(3)
	v_sub_f32_e32 v3, v12, v3
	v_mul_f32_e32 v3, v4, v3
	s_waitcnt lgkmcnt(2)
	v_sub_f32_e32 v13, v13, v64
	s_waitcnt lgkmcnt(1)
	v_mul_f32_e32 v12, v3, v65
	ds_bpermute_b32 v3, v63, v61 offset:8
	v_mul_f32_e32 v13, v5, v13
	s_waitcnt lgkmcnt(1)
	v_mul_f32_e32 v64, v13, v66
	ds_bpermute_b32 v13, v63, v60 offset:8
	ds_bpermute_b32 v65, v63, v61 offset:12
	;; [unrolled: 1-line block ×3, first 2 shown]
	s_waitcnt lgkmcnt(3)
	v_sub_f32_e32 v3, v14, v3
	v_mul_f32_e32 v3, v6, v3
	s_waitcnt lgkmcnt(2)
	v_mul_f32_e32 v14, v3, v13
	s_waitcnt lgkmcnt(1)
	v_sub_f32_e32 v3, v15, v65
	ds_bpermute_b32 v13, v63, v61 offset:16
	v_mul_f32_e32 v3, v7, v3
	s_waitcnt lgkmcnt(1)
	v_mul_f32_e32 v66, v3, v66
	ds_bpermute_b32 v3, v63, v60 offset:16
	ds_bpermute_b32 v15, v63, v61 offset:20
	;; [unrolled: 1-line block ×3, first 2 shown]
	s_waitcnt lgkmcnt(3)
	v_sub_f32_e32 v13, v16, v13
	v_mul_f32_e32 v13, v8, v13
	s_waitcnt lgkmcnt(2)
	v_mul_f32_e32 v16, v13, v3
	s_waitcnt lgkmcnt(1)
	v_sub_f32_e32 v3, v17, v15
	v_mul_f32_e32 v3, v9, v3
	v_mov_b32_e32 v13, v4
	s_waitcnt lgkmcnt(0)
	v_mul_f32_e32 v68, v3, v65
	v_pk_add_f32 v[12:13], v[20:21], v[12:13]
	v_mov_b32_e32 v65, v5
	v_pk_add_f32 v[4:5], v[64:65], v[12:13]
	v_mov_b32_e32 v15, v6
	ds_bpermute_b32 v3, v63, v61 offset:24
	v_pk_add_f32 v[4:5], v[14:15], v[4:5]
	v_mov_b32_e32 v17, v8
	v_pk_add_f32 v[4:5], v[66:67], v[4:5]
	v_mov_b32_e32 v69, v9
	v_pk_add_f32 v[4:5], v[16:17], v[4:5]
	s_waitcnt lgkmcnt(0)
	v_sub_f32_e32 v3, v18, v3
	v_pk_add_f32 v[6:7], v[68:69], v[4:5]
	ds_bpermute_b32 v5, v63, v60 offset:24
	v_mul_f32_e32 v8, v10, v3
	ds_bpermute_b32 v3, v63, v60 offset:28
	ds_bpermute_b32 v4, v63, v61 offset:28
	v_mov_b32_e32 v9, v10
	s_waitcnt lgkmcnt(2)
	v_mul_f32_e32 v8, v8, v5
	v_pk_add_f32 v[60:61], v[8:9], v[6:7]
	s_mov_b64 s[48:49], 0
.LBB55_27:                              ;   in Loop: Header=BB55_5 Depth=1
	s_and_b64 vcc, exec, s[48:49]
	s_cbranch_vccz .LBB55_4
; %bb.28:                               ;   in Loop: Header=BB55_5 Depth=1
	s_load_dword s48, s[22:23], 0x0
	v_mov_b32_e32 v60, 0
	v_mov_b32_e32 v61, 0
	s_waitcnt lgkmcnt(0)
	s_cmp_lt_u32 s2, s48
	s_cselect_b32 s48, 12, 18
	s_add_u32 s48, s22, s48
	s_addc_u32 s49, s23, 0
	global_load_ushort v3, v2, s[48:49]
	s_waitcnt vmcnt(0)
	v_mad_u32_u24 v3, v62, v3, v1
	v_and_b32_e32 v4, 63, v3
	v_cmp_gt_u32_e32 vcc, 8, v4
	s_and_saveexec_b64 s[48:49], vcc
	s_cbranch_execz .LBB55_32
; %bb.29:                               ;   in Loop: Header=BB55_5 Depth=1
	v_mov_b32_e32 v5, v2
	v_lshl_add_u64 v[4:5], v[58:59], 0, v[4:5]
	v_lshl_add_u64 v[4:5], v[4:5], 0, s[28:29]
	v_cmp_gt_i64_e32 vcc, s[8:9], v[4:5]
	v_mov_b32_e32 v61, 0
	v_mov_b32_e32 v60, 0
	s_and_saveexec_b64 s[50:51], vcc
	s_cbranch_execz .LBB55_31
; %bb.30:                               ;   in Loop: Header=BB55_5 Depth=1
	v_lshlrev_b64 v[4:5], 2, v[4:5]
	v_lshl_add_u64 v[6:7], s[18:19], 0, v[4:5]
	v_lshl_add_u64 v[4:5], s[16:17], 0, v[4:5]
	global_load_dword v61, v[4:5], off
	global_load_dword v60, v[6:7], off
.LBB55_31:                              ;   in Loop: Header=BB55_5 Depth=1
	s_or_b64 exec, exec, s[50:51]
.LBB55_32:                              ;   in Loop: Header=BB55_5 Depth=1
	s_or_b64 exec, exec, s[48:49]
	v_mov_b32_e32 v8, v2
	v_mov_b32_e32 v9, v2
	;; [unrolled: 1-line block ×7, first 2 shown]
	v_mov_b64_e32 v[18:19], v[8:9]
	v_mov_b64_e32 v[16:17], v[6:7]
	;; [unrolled: 1-line block ×8, first 2 shown]
	s_and_saveexec_b64 s[48:49], s[6:7]
	s_cbranch_execnz .LBB55_40
; %bb.33:                               ;   in Loop: Header=BB55_5 Depth=1
	s_or_b64 exec, exec, s[48:49]
	s_and_saveexec_b64 s[48:49], s[6:7]
	s_cbranch_execnz .LBB55_41
.LBB55_34:                              ;   in Loop: Header=BB55_5 Depth=1
	s_or_b64 exec, exec, s[48:49]
	s_and_saveexec_b64 s[48:49], s[6:7]
	s_cbranch_execnz .LBB55_42
.LBB55_35:                              ;   in Loop: Header=BB55_5 Depth=1
	s_or_b64 exec, exec, s[48:49]
	s_and_saveexec_b64 s[48:49], s[6:7]
	s_cbranch_execnz .LBB55_43
.LBB55_36:                              ;   in Loop: Header=BB55_5 Depth=1
	s_or_b64 exec, exec, s[48:49]
	s_and_saveexec_b64 s[48:49], s[6:7]
	s_cbranch_execnz .LBB55_44
.LBB55_37:                              ;   in Loop: Header=BB55_5 Depth=1
	s_or_b64 exec, exec, s[48:49]
	s_and_saveexec_b64 s[48:49], s[6:7]
	s_cbranch_execnz .LBB55_45
.LBB55_38:                              ;   in Loop: Header=BB55_5 Depth=1
	s_or_b64 exec, exec, s[48:49]
	s_and_saveexec_b64 s[48:49], s[6:7]
	s_cbranch_execnz .LBB55_46
.LBB55_39:                              ;   in Loop: Header=BB55_5 Depth=1
	s_or_b64 exec, exec, s[48:49]
	s_and_saveexec_b64 s[48:49], s[6:7]
	s_cbranch_execz .LBB55_3
	s_branch .LBB55_47
.LBB55_40:                              ;   in Loop: Header=BB55_5 Depth=1
	v_lshl_add_u64 v[4:5], v[26:27], 0, v[24:25]
	v_lshl_add_u64 v[6:7], v[28:29], 0, v[24:25]
	global_load_dword v4, v[4:5], off
	v_mov_b32_e32 v5, v2
	global_load_dword v12, v[6:7], off
	v_mov_b32_e32 v6, v2
	v_mov_b32_e32 v7, v2
	;; [unrolled: 1-line block ×13, first 2 shown]
	s_or_b64 exec, exec, s[48:49]
	s_and_saveexec_b64 s[48:49], s[6:7]
	s_cbranch_execz .LBB55_34
.LBB55_41:                              ;   in Loop: Header=BB55_5 Depth=1
	v_lshl_add_u64 v[58:59], v[54:55], 0, v[24:25]
	global_load_dword v5, v[58:59], off
	v_lshl_add_u64 v[58:59], v[56:57], 0, v[24:25]
	global_load_dword v13, v[58:59], off
	s_or_b64 exec, exec, s[48:49]
	s_and_saveexec_b64 s[48:49], s[6:7]
	s_cbranch_execz .LBB55_35
.LBB55_42:                              ;   in Loop: Header=BB55_5 Depth=1
	v_lshl_add_u64 v[58:59], v[50:51], 0, v[24:25]
	global_load_dword v6, v[58:59], off
	v_lshl_add_u64 v[58:59], v[52:53], 0, v[24:25]
	global_load_dword v14, v[58:59], off
	s_or_b64 exec, exec, s[48:49]
	s_and_saveexec_b64 s[48:49], s[6:7]
	s_cbranch_execz .LBB55_36
.LBB55_43:                              ;   in Loop: Header=BB55_5 Depth=1
	v_lshl_add_u64 v[58:59], v[46:47], 0, v[24:25]
	global_load_dword v7, v[58:59], off
	v_lshl_add_u64 v[58:59], v[48:49], 0, v[24:25]
	global_load_dword v15, v[58:59], off
	s_or_b64 exec, exec, s[48:49]
	s_and_saveexec_b64 s[48:49], s[6:7]
	s_cbranch_execz .LBB55_37
.LBB55_44:                              ;   in Loop: Header=BB55_5 Depth=1
	v_lshl_add_u64 v[58:59], v[42:43], 0, v[24:25]
	global_load_dword v8, v[58:59], off
	v_lshl_add_u64 v[58:59], v[44:45], 0, v[24:25]
	global_load_dword v16, v[58:59], off
	s_or_b64 exec, exec, s[48:49]
	s_and_saveexec_b64 s[48:49], s[6:7]
	s_cbranch_execz .LBB55_38
.LBB55_45:                              ;   in Loop: Header=BB55_5 Depth=1
	v_lshl_add_u64 v[58:59], v[38:39], 0, v[24:25]
	global_load_dword v9, v[58:59], off
	v_lshl_add_u64 v[58:59], v[40:41], 0, v[24:25]
	global_load_dword v17, v[58:59], off
	s_or_b64 exec, exec, s[48:49]
	s_and_saveexec_b64 s[48:49], s[6:7]
	s_cbranch_execz .LBB55_39
.LBB55_46:                              ;   in Loop: Header=BB55_5 Depth=1
	v_lshl_add_u64 v[58:59], v[34:35], 0, v[24:25]
	global_load_dword v10, v[58:59], off
	v_lshl_add_u64 v[58:59], v[36:37], 0, v[24:25]
	global_load_dword v18, v[58:59], off
	s_or_b64 exec, exec, s[48:49]
	s_and_saveexec_b64 s[48:49], s[6:7]
	s_cbranch_execz .LBB55_3
.LBB55_47:                              ;   in Loop: Header=BB55_5 Depth=1
	v_lshl_add_u64 v[58:59], v[30:31], 0, v[24:25]
	global_load_dword v11, v[58:59], off
	v_lshl_add_u64 v[58:59], v[32:33], 0, v[24:25]
	global_load_dword v19, v[58:59], off
	s_branch .LBB55_3
.LBB55_48:
                                        ; implicit-def: $vgpr21
	s_branch .LBB55_50
.LBB55_49:
	s_cbranch_execnz .LBB55_81
.LBB55_50:
	v_mov_b32_e32 v21, 0
	s_and_b64 vcc, exec, s[4:5]
	v_mov_b32_e32 v20, v21
	s_cbranch_vccnz .LBB55_81
; %bb.51:
	v_mov_b32_e32 v2, 0
	v_bfe_u32 v88, v0, 10, 10
	v_lshlrev_b32_e32 v6, 5, v88
	v_mov_b32_e32 v7, v2
	v_lshl_add_u64 v[6:7], s[20:21], 2, v[6:7]
	v_lshl_add_u64 v[8:9], v[6:7], 0, 4
	v_mov_b64_e32 v[10:11], s[12:13]
	v_lshl_add_u64 v[12:13], v[6:7], 0, 8
	v_lshl_add_u64 v[14:15], v[6:7], 0, 12
	;; [unrolled: 1-line block ×6, first 2 shown]
	v_mad_u64_u32 v[24:25], s[4:5], s10, v8, v[10:11]
	v_mad_u64_u32 v[26:27], s[4:5], s10, v12, v[10:11]
	;; [unrolled: 1-line block ×7, first 2 shown]
	v_mov_b64_e32 v[10:11], s[14:15]
	v_mul_lo_u32 v9, s10, v9
	v_mul_lo_u32 v40, s11, v8
	v_mad_u64_u32 v[38:39], s[4:5], s10, v8, v[10:11]
	v_add3_u32 v25, v40, v25, v9
	v_mul_lo_u32 v13, s10, v13
	v_mul_lo_u32 v42, s11, v12
	v_add3_u32 v39, v40, v39, v9
	v_mad_u64_u32 v[40:41], s[4:5], s10, v12, v[10:11]
	v_add3_u32 v27, v42, v27, v13
	v_mul_lo_u32 v15, s10, v15
	v_mul_lo_u32 v44, s11, v14
	v_add3_u32 v41, v42, v41, v13
	;; [unrolled: 5-line block ×4, first 2 shown]
	v_mad_u64_u32 v[46:47], s[4:5], s10, v18, v[10:11]
	v_lshlrev_b32_e32 v22, 3, v88
	v_mov_b32_e32 v23, v2
	v_add3_u32 v33, v48, v33, v19
	v_mul_lo_u32 v21, s10, v21
	v_mul_lo_u32 v50, s11, v20
	v_add3_u32 v47, v48, v47, v19
	v_mad_u64_u32 v[48:49], s[4:5], s10, v20, v[10:11]
	v_lshl_add_u64 v[4:5], v[22:23], 0, s[20:21]
	v_add3_u32 v35, v50, v35, v21
	v_mul_lo_u32 v7, s10, v7
	v_mul_lo_u32 v8, s11, v6
	v_add3_u32 v49, v50, v49, v21
	v_mad_u64_u32 v[50:51], s[4:5], s10, v6, v[10:11]
	v_add3_u32 v37, v8, v37, v7
	v_add3_u32 v51, v8, v51, v7
	v_lshl_add_u64 v[6:7], v[4:5], 0, 7
	v_mul_lo_u32 v8, s11, v6
	v_mul_lo_u32 v9, s10, v7
	v_mad_u64_u32 v[6:7], s[4:5], s10, v6, 0
	v_add3_u32 v7, v7, v9, v8
	v_lshl_add_u64 v[8:9], v[4:5], 0, 6
	v_mul_lo_u32 v10, s11, v8
	v_mul_lo_u32 v11, s10, v9
	v_mad_u64_u32 v[8:9], s[4:5], s10, v8, 0
	v_add3_u32 v9, v9, v11, v10
	v_lshl_add_u64 v[10:11], v[4:5], 0, 5
	v_mul_lo_u32 v12, s11, v10
	v_mul_lo_u32 v13, s10, v11
	v_mad_u64_u32 v[10:11], s[4:5], s10, v10, 0
	v_add3_u32 v11, v11, v13, v12
	v_lshl_add_u64 v[12:13], v[4:5], 0, 4
	v_mul_lo_u32 v14, s11, v12
	v_mul_lo_u32 v15, s10, v13
	v_mad_u64_u32 v[12:13], s[4:5], s10, v12, 0
	v_add3_u32 v13, v13, v15, v14
	v_lshl_add_u64 v[14:15], v[4:5], 0, 3
	v_mul_lo_u32 v16, s11, v14
	v_mul_lo_u32 v17, s10, v15
	v_mad_u64_u32 v[14:15], s[4:5], s10, v14, 0
	v_add3_u32 v15, v15, v17, v16
	v_lshl_add_u64 v[16:17], v[4:5], 0, 2
	v_mul_lo_u32 v52, s10, v5
	v_mul_lo_u32 v5, s11, v16
	;; [unrolled: 1-line block ×3, first 2 shown]
	v_mad_u64_u32 v[16:17], s[4:5], s10, v16, 0
	v_add3_u32 v17, v17, v18, v5
	v_mov_b64_e32 v[18:19], s[10:11]
	v_mul_lo_u32 v3, s11, v4
	v_mad_u64_u32 v[18:19], s[4:5], s10, v4, v[18:19]
	v_mad_u64_u32 v[4:5], s[4:5], s10, v4, 0
	s_load_dword s3, s[0:1], 0x44
	v_add3_u32 v5, v5, v52, v3
	v_lshlrev_b64 v[4:5], 2, v[4:5]
	v_lshl_add_u64 v[54:55], s[12:13], 0, v[4:5]
	v_lshl_add_u64 v[56:57], s[14:15], 0, v[4:5]
	v_lshlrev_b64 v[4:5], 2, v[6:7]
	v_lshl_add_u64 v[58:59], s[12:13], 0, v[4:5]
	v_lshl_add_u64 v[60:61], s[14:15], 0, v[4:5]
	v_lshlrev_b64 v[4:5], 2, v[8:9]
	s_add_u32 s4, s0, 64
	v_lshl_add_u64 v[62:63], s[12:13], 0, v[4:5]
	v_lshl_add_u64 v[64:65], s[14:15], 0, v[4:5]
	v_lshlrev_b64 v[4:5], 2, v[10:11]
	s_addc_u32 s5, s1, 0
	s_waitcnt lgkmcnt(0)
	s_lshl_b32 s3, s3, 6
	v_lshl_add_u64 v[66:67], s[12:13], 0, v[4:5]
	v_lshl_add_u64 v[68:69], s[14:15], 0, v[4:5]
	v_lshlrev_b64 v[4:5], 2, v[12:13]
	s_mul_i32 s6, s11, s3
	s_mul_hi_u32 s7, s10, s3
	v_lshl_add_u64 v[70:71], s[12:13], 0, v[4:5]
	v_lshl_add_u64 v[72:73], s[14:15], 0, v[4:5]
	v_lshlrev_b64 v[4:5], 2, v[14:15]
	v_add3_u32 v19, v3, v19, v52
	s_add_i32 s7, s7, s6
	s_mul_i32 s6, s10, s3
	v_lshl_add_u64 v[74:75], s[12:13], 0, v[4:5]
	v_lshl_add_u64 v[76:77], s[14:15], 0, v[4:5]
	v_lshlrev_b64 v[4:5], 2, v[16:17]
	v_mbcnt_lo_u32_b32 v3, -1, 0
	v_and_b32_e32 v1, 0x3ff, v0
	s_lshl_b64 s[6:7], s[6:7], 2
	v_lshl_add_u64 v[78:79], s[12:13], 0, v[4:5]
	v_lshl_add_u64 v[80:81], s[14:15], 0, v[4:5]
	v_lshlrev_b64 v[4:5], 2, v[18:19]
	v_mbcnt_hi_u32_b32 v3, -1, v3
	v_add_u32_e32 v20, s33, v1
	v_mov_b32_e32 v21, v2
	s_add_u32 s22, s20, 63
	v_lshl_add_u64 v[82:83], s[12:13], 0, v[4:5]
	v_lshl_add_u64 v[84:85], s[14:15], 0, v[4:5]
	s_movk_i32 s12, 0xffc1
	s_movk_i32 s14, 0xffc2
	;; [unrolled: 1-line block ×8, first 2 shown]
	v_lshlrev_b32_e32 v3, 2, v3
	v_lshlrev_b64 v[52:53], 2, v[20:21]
	s_addc_u32 s23, 0, 0
	s_mov_b32 s13, -1
	s_mov_b32 s15, -1
	;; [unrolled: 1-line block ×8, first 2 shown]
	v_and_b32_e32 v89, 0x100, v3
	v_mov_b32_e32 v20, 0
	s_branch .LBB55_55
.LBB55_52:                              ;   in Loop: Header=BB55_55 Depth=1
	s_or_b64 exec, exec, s[40:41]
.LBB55_53:                              ;   in Loop: Header=BB55_55 Depth=1
	s_or_b64 exec, exec, s[38:39]
	v_lshl_add_u64 v[4:5], v[54:55], 0, v[52:53]
	v_lshl_add_u64 v[8:9], v[56:57], 0, v[52:53]
	global_load_dword v5, v[4:5], off
	v_lshl_add_u64 v[10:11], v[40:41], 0, v[52:53]
	global_load_dword v4, v[8:9], off
	;; [unrolled: 2-line block ×5, first 2 shown]
	s_waitcnt vmcnt(6)
	ds_bpermute_b32 v90, v89, v3
	global_load_dword v8, v[10:11], off
	v_lshl_add_u64 v[10:11], v[28:29], 0, v[52:53]
	global_load_dword v13, v[10:11], off
	v_lshl_add_u64 v[10:11], v[42:43], 0, v[52:53]
	;; [unrolled: 2-line block ×10, first 2 shown]
	global_load_dword v11, v[10:11], off
	ds_bpermute_b32 v92, v89, v3 offset:4
	s_waitcnt vmcnt(16)
	ds_bpermute_b32 v10, v89, v6
	ds_bpermute_b32 v94, v89, v3 offset:8
	ds_bpermute_b32 v91, v89, v6 offset:4
	;; [unrolled: 1-line block ×13, first 2 shown]
	s_waitcnt vmcnt(14) lgkmcnt(14)
	v_sub_f32_e32 v4, v4, v90
	v_mul_f32_e32 v4, v5, v4
	s_waitcnt lgkmcnt(13)
	v_mul_f32_e32 v4, v4, v10
	v_pk_add_f32 v[4:5], v[20:21], v[4:5]
	s_waitcnt vmcnt(12)
	v_sub_f32_e32 v6, v12, v92
	v_mul_f32_e32 v6, v7, v6
	s_waitcnt lgkmcnt(11)
	v_mul_f32_e32 v6, v6, v91
	v_pk_add_f32 v[4:5], v[4:5], v[6:7]
	s_waitcnt vmcnt(10)
	;; [unrolled: 6-line block ×3, first 2 shown]
	v_sub_f32_e32 v12, v14, v96
	v_mul_f32_e32 v12, v13, v12
	s_waitcnt vmcnt(7) lgkmcnt(8)
	v_sub_f32_e32 v14, v16, v98
	s_waitcnt lgkmcnt(7)
	v_mul_f32_e32 v12, v12, v95
	s_waitcnt vmcnt(6) lgkmcnt(6)
	v_sub_f32_e32 v16, v18, v100
	v_pk_add_f32 v[4:5], v[4:5], v[12:13]
	s_waitcnt vmcnt(5) lgkmcnt(2)
	v_sub_f32_e32 v18, v86, v102
	s_waitcnt vmcnt(4) lgkmcnt(0)
	v_sub_f32_e32 v3, v87, v3
	s_waitcnt vmcnt(3)
	v_mul_f32_e32 v14, v15, v14
	v_mul_f32_e32 v14, v14, v97
	s_waitcnt vmcnt(2)
	v_mul_f32_e32 v16, v17, v16
	v_mul_f32_e32 v16, v16, v99
	s_waitcnt vmcnt(1)
	v_mul_f32_e32 v18, v19, v18
	v_pk_add_f32 v[4:5], v[4:5], v[14:15]
	s_waitcnt vmcnt(0)
	v_mul_f32_e32 v3, v11, v3
	v_mul_f32_e32 v18, v18, v101
	v_pk_add_f32 v[4:5], v[4:5], v[16:17]
	v_mul_f32_e32 v10, v3, v103
	v_pk_add_f32 v[4:5], v[4:5], v[18:19]
.LBB55_54:                              ;   in Loop: Header=BB55_55 Depth=1
	s_add_u32 s20, s20, s3
	v_pk_add_f32 v[20:21], v[4:5], v[10:11]
	s_addc_u32 s21, s21, 0
	v_mov_b64_e32 v[4:5], s[8:9]
	s_add_u32 s22, s22, s3
	v_cmp_ge_i64_e32 vcc, s[20:21], v[4:5]
	v_lshl_add_u64 v[54:55], v[54:55], 0, s[6:7]
	v_lshl_add_u64 v[56:57], v[56:57], 0, s[6:7]
	s_addc_u32 s23, s23, 0
	v_lshl_add_u64 v[24:25], v[24:25], 0, s[6:7]
	v_lshl_add_u64 v[26:27], v[26:27], 0, s[6:7]
	;; [unrolled: 1-line block ×28, first 2 shown]
	s_cbranch_vccnz .LBB55_81
.LBB55_55:                              ; =>This Inner Loop Header: Depth=1
	v_mov_b64_e32 v[4:5], s[8:9]
	v_cmp_ge_i64_e32 vcc, s[22:23], v[4:5]
	v_lshl_add_u64 v[86:87], v[22:23], 0, s[22:23]
	s_mov_b64 s[38:39], -1
                                        ; implicit-def: $vgpr4_vgpr5
                                        ; implicit-def: $vgpr10_vgpr11
	s_cbranch_vccz .LBB55_77
; %bb.56:                               ;   in Loop: Header=BB55_55 Depth=1
	s_load_dword s33, s[4:5], 0xc
	v_mov_b32_e32 v90, 0
	v_mov_b32_e32 v91, 0
	s_waitcnt lgkmcnt(0)
	s_and_b32 s33, s33, 0xffff
	v_mad_u32_u24 v3, v88, s33, v1
	v_and_b32_e32 v4, 63, v3
	v_cmp_gt_u32_e32 vcc, 8, v4
	s_and_saveexec_b64 s[38:39], vcc
	s_cbranch_execz .LBB55_60
; %bb.57:                               ;   in Loop: Header=BB55_55 Depth=1
	v_mov_b32_e32 v5, v2
	v_lshl_add_u64 v[4:5], v[86:87], 0, v[4:5]
	v_lshl_add_u64 v[4:5], v[4:5], 0, s[12:13]
	v_cmp_gt_i64_e32 vcc, s[8:9], v[4:5]
	v_mov_b32_e32 v91, 0
	v_mov_b32_e32 v90, 0
	s_and_saveexec_b64 s[40:41], vcc
	s_cbranch_execz .LBB55_59
; %bb.58:                               ;   in Loop: Header=BB55_55 Depth=1
	v_lshlrev_b64 v[4:5], 2, v[4:5]
	v_lshl_add_u64 v[6:7], s[18:19], 0, v[4:5]
	v_lshl_add_u64 v[4:5], s[16:17], 0, v[4:5]
	global_load_dword v91, v[4:5], off
	global_load_dword v90, v[6:7], off
.LBB55_59:                              ;   in Loop: Header=BB55_55 Depth=1
	s_or_b64 exec, exec, s[40:41]
.LBB55_60:                              ;   in Loop: Header=BB55_55 Depth=1
	s_or_b64 exec, exec, s[38:39]
	v_lshl_add_u64 v[4:5], v[86:87], 0, s[12:13]
	v_mov_b32_e32 v8, v2
	v_mov_b32_e32 v9, v2
	v_cmp_gt_i64_e32 vcc, s[8:9], v[4:5]
	v_mov_b32_e32 v3, v2
	v_mov_b32_e32 v4, v2
	v_mov_b32_e32 v5, v2
	v_mov_b32_e32 v6, v2
	v_mov_b32_e32 v7, v2
	v_mov_b64_e32 v[18:19], v[8:9]
	v_mov_b64_e32 v[16:17], v[6:7]
	;; [unrolled: 1-line block ×8, first 2 shown]
	s_and_saveexec_b64 s[38:39], vcc
	s_cbranch_execz .LBB55_62
; %bb.61:                               ;   in Loop: Header=BB55_55 Depth=1
	v_lshl_add_u64 v[4:5], v[54:55], 0, v[52:53]
	v_lshl_add_u64 v[6:7], v[56:57], 0, v[52:53]
	global_load_dword v4, v[4:5], off
	v_mov_b32_e32 v5, v2
	global_load_dword v12, v[6:7], off
	v_mov_b32_e32 v6, v2
	v_mov_b32_e32 v7, v2
	;; [unrolled: 1-line block ×13, first 2 shown]
.LBB55_62:                              ;   in Loop: Header=BB55_55 Depth=1
	s_or_b64 exec, exec, s[38:39]
	v_lshl_add_u64 v[92:93], v[86:87], 0, s[14:15]
	v_cmp_gt_i64_e32 vcc, s[8:9], v[92:93]
	s_and_saveexec_b64 s[38:39], vcc
	s_cbranch_execz .LBB55_64
; %bb.63:                               ;   in Loop: Header=BB55_55 Depth=1
	v_lshl_add_u64 v[92:93], v[82:83], 0, v[52:53]
	global_load_dword v5, v[92:93], off
	v_lshl_add_u64 v[92:93], v[84:85], 0, v[52:53]
	global_load_dword v13, v[92:93], off
.LBB55_64:                              ;   in Loop: Header=BB55_55 Depth=1
	s_or_b64 exec, exec, s[38:39]
	v_lshl_add_u64 v[92:93], v[86:87], 0, s[24:25]
	v_cmp_gt_i64_e32 vcc, s[8:9], v[92:93]
	s_and_saveexec_b64 s[38:39], vcc
	s_cbranch_execz .LBB55_66
; %bb.65:                               ;   in Loop: Header=BB55_55 Depth=1
	v_lshl_add_u64 v[92:93], v[78:79], 0, v[52:53]
	global_load_dword v6, v[92:93], off
	v_lshl_add_u64 v[92:93], v[80:81], 0, v[52:53]
	global_load_dword v14, v[92:93], off
.LBB55_66:                              ;   in Loop: Header=BB55_55 Depth=1
	;; [unrolled: 11-line block ×7, first 2 shown]
	s_or_b64 exec, exec, s[38:39]
	s_waitcnt vmcnt(1)
	ds_bpermute_b32 v3, v89, v91
	ds_bpermute_b32 v92, v89, v91 offset:4
	s_waitcnt vmcnt(0)
	ds_bpermute_b32 v93, v89, v90
	ds_bpermute_b32 v94, v89, v90 offset:4
	v_mov_b32_e32 v95, v7
	s_waitcnt lgkmcnt(3)
	v_sub_f32_e32 v3, v12, v3
	v_mul_f32_e32 v3, v4, v3
	s_waitcnt lgkmcnt(2)
	v_sub_f32_e32 v13, v13, v92
	s_waitcnt lgkmcnt(1)
	v_mul_f32_e32 v12, v3, v93
	ds_bpermute_b32 v3, v89, v91 offset:8
	v_mul_f32_e32 v13, v5, v13
	s_waitcnt lgkmcnt(1)
	v_mul_f32_e32 v92, v13, v94
	ds_bpermute_b32 v13, v89, v90 offset:8
	ds_bpermute_b32 v93, v89, v91 offset:12
	;; [unrolled: 1-line block ×3, first 2 shown]
	s_waitcnt lgkmcnt(3)
	v_sub_f32_e32 v3, v14, v3
	v_mul_f32_e32 v3, v6, v3
	s_waitcnt lgkmcnt(2)
	v_mul_f32_e32 v14, v3, v13
	s_waitcnt lgkmcnt(1)
	v_sub_f32_e32 v3, v15, v93
	ds_bpermute_b32 v13, v89, v91 offset:16
	v_mul_f32_e32 v3, v7, v3
	s_waitcnt lgkmcnt(1)
	v_mul_f32_e32 v94, v3, v94
	ds_bpermute_b32 v3, v89, v90 offset:16
	ds_bpermute_b32 v15, v89, v91 offset:20
	;; [unrolled: 1-line block ×3, first 2 shown]
	s_waitcnt lgkmcnt(3)
	v_sub_f32_e32 v13, v16, v13
	v_mul_f32_e32 v13, v8, v13
	s_waitcnt lgkmcnt(2)
	v_mul_f32_e32 v16, v13, v3
	s_waitcnt lgkmcnt(1)
	v_sub_f32_e32 v3, v17, v15
	v_mul_f32_e32 v3, v9, v3
	s_waitcnt lgkmcnt(0)
	v_mul_f32_e32 v96, v3, v93
	ds_bpermute_b32 v3, v89, v91 offset:24
	v_mov_b32_e32 v15, v6
	ds_bpermute_b32 v6, v89, v90 offset:24
	v_mov_b32_e32 v13, v4
	v_pk_add_f32 v[12:13], v[20:21], v[12:13]
	v_mov_b32_e32 v93, v5
	v_pk_add_f32 v[4:5], v[92:93], v[12:13]
	v_mov_b32_e32 v17, v8
	s_waitcnt lgkmcnt(1)
	v_sub_f32_e32 v3, v18, v3
	ds_bpermute_b32 v8, v89, v91 offset:28
	v_pk_add_f32 v[4:5], v[14:15], v[4:5]
	v_mul_f32_e32 v3, v10, v3
	v_pk_add_f32 v[4:5], v[94:95], v[4:5]
	s_waitcnt lgkmcnt(1)
	v_mul_f32_e32 v6, v3, v6
	ds_bpermute_b32 v3, v89, v90 offset:28
	v_pk_add_f32 v[4:5], v[16:17], v[4:5]
	v_mov_b32_e32 v97, v9
	v_pk_add_f32 v[4:5], v[96:97], v[4:5]
	v_mov_b32_e32 v7, v10
	v_pk_add_f32 v[4:5], v[6:7], v[4:5]
	s_waitcnt lgkmcnt(1)
	v_sub_f32_e32 v6, v19, v8
	v_mul_f32_e32 v6, v11, v6
	s_waitcnt lgkmcnt(0)
	v_mul_f32_e32 v10, v6, v3
	s_mov_b64 s[38:39], 0
.LBB55_77:                              ;   in Loop: Header=BB55_55 Depth=1
	s_and_b64 vcc, exec, s[38:39]
	s_cbranch_vccz .LBB55_54
; %bb.78:                               ;   in Loop: Header=BB55_55 Depth=1
	s_load_dword s33, s[4:5], 0x0
	v_mov_b32_e32 v6, 0
	s_waitcnt lgkmcnt(0)
	s_cmp_lt_u32 s2, s33
	s_cselect_b32 s33, 12, 18
	s_add_u32 s38, s4, s33
	s_addc_u32 s39, s5, 0
	global_load_ushort v3, v2, s[38:39]
	s_waitcnt vmcnt(0)
	v_mad_u32_u24 v3, v88, v3, v1
	v_and_b32_e32 v4, 63, v3
	v_cmp_gt_u32_e32 vcc, 8, v4
	v_mov_b32_e32 v3, 0
	s_and_saveexec_b64 s[38:39], vcc
	s_cbranch_execz .LBB55_53
; %bb.79:                               ;   in Loop: Header=BB55_55 Depth=1
	v_mov_b32_e32 v5, v2
	v_lshl_add_u64 v[4:5], v[86:87], 0, v[4:5]
	v_lshl_add_u64 v[4:5], v[4:5], 0, s[12:13]
	v_cmp_gt_i64_e32 vcc, s[8:9], v[4:5]
	v_mov_b32_e32 v3, 0
	v_mov_b32_e32 v6, 0
	s_and_saveexec_b64 s[40:41], vcc
	s_cbranch_execz .LBB55_52
; %bb.80:                               ;   in Loop: Header=BB55_55 Depth=1
	v_lshlrev_b64 v[4:5], 2, v[4:5]
	v_lshl_add_u64 v[8:9], s[18:19], 0, v[4:5]
	v_lshl_add_u64 v[4:5], s[16:17], 0, v[4:5]
	global_load_dword v3, v[4:5], off
	global_load_dword v6, v[8:9], off
	s_branch .LBB55_52
.LBB55_81:
	v_and_b32_e32 v1, 0x3ff, v0
	v_bfe_u32 v2, v0, 10, 10
	s_movk_i32 s3, 0x41
	v_bfe_u32 v0, v0, 6, 4
	v_mad_u32_u24 v3, v2, s3, v1
	v_add_u32_e32 v0, v0, v2
	v_lshl_add_u32 v3, v3, 2, 0
	v_cmp_gt_u32_e32 vcc, 64, v0
	ds_write_b32 v3, v20
	ds_write_b32 v3, v21 offset:2080
	s_waitcnt lgkmcnt(0)
	s_barrier
	s_and_saveexec_b64 s[4:5], vcc
	s_cbranch_execz .LBB55_145
; %bb.82:
	s_load_dwordx4 s[12:15], s[0:1], 0x30
	v_and_b32_e32 v2, 63, v1
	v_cmp_lt_u32_e64 s[6:7], 7, v2
	v_cmp_gt_u32_e64 s[4:5], 8, v2
	v_mul_u32_u24_e32 v6, 0x41, v2
                                        ; implicit-def: $vgpr2
	s_and_saveexec_b64 s[0:1], s[4:5]
	s_cbranch_execz .LBB55_84
; %bb.83:
	v_add_u32_e32 v2, v0, v6
	v_lshl_add_u32 v2, v2, 2, 0
	ds_read_b32 v3, v2
	ds_read_b32 v2, v2 offset:2080
.LBB55_84:
	s_or_b64 exec, exec, s[0:1]
	v_mbcnt_lo_u32_b32 v4, -1, 0
	v_mbcnt_hi_u32_b32 v9, -1, v4
	v_and_b32_e32 v4, 64, v9
	v_add_u32_e32 v10, 64, v4
	v_cmp_eq_u32_e64 s[0:1], 0, v1
	v_xor_b32_e32 v1, 4, v9
	v_cmp_lt_i32_e32 vcc, v1, v10
	s_mov_b32 s3, 0
	s_lshl_b64 s[2:3], s[2:3], 6
	v_cndmask_b32_e32 v1, v9, v1, vcc
	v_lshlrev_b32_e32 v7, 2, v1
	s_waitcnt lgkmcnt(0)
	ds_bpermute_b32 v5, v7, v3
	ds_bpermute_b32 v4, v7, v2
	v_xor_b32_e32 v1, 2, v9
	v_cmp_lt_i32_e32 vcc, v1, v10
	s_cmp_lg_u64 s[12:13], 0
	s_cselect_b64 s[16:17], -1, 0
	v_cndmask_b32_e32 v1, v9, v1, vcc
	v_lshlrev_b32_e32 v8, 2, v1
	s_waitcnt lgkmcnt(0)
	v_pk_add_f32 v[2:3], v[2:3], v[4:5]
	ds_bpermute_b32 v5, v8, v3
	ds_bpermute_b32 v4, v8, v2
	v_xor_b32_e32 v1, 1, v9
	v_cmp_lt_i32_e32 vcc, v1, v10
	s_cmp_lg_u64 s[14:15], 0
	s_cselect_b64 s[8:9], -1, 0
	v_cndmask_b32_e32 v1, v9, v1, vcc
	v_lshlrev_b32_e32 v9, 2, v1
	s_waitcnt lgkmcnt(0)
	v_pk_add_f32 v[2:3], v[2:3], v[4:5]
	ds_bpermute_b32 v5, v9, v3
	ds_bpermute_b32 v4, v9, v2
	v_mov_b32_e32 v1, 0
	s_waitcnt lgkmcnt(0)
	v_pk_add_f32 v[2:3], v[2:3], v[4:5]
	v_or_b32_e32 v4, s2, v0
	v_mov_b32_e32 v5, s3
	v_cmp_gt_i64_e32 vcc, s[10:11], v[4:5]
	s_and_b64 s[20:21], s[0:1], vcc
	s_and_saveexec_b64 s[18:19], s[20:21]
	s_cbranch_execz .LBB55_89
; %bb.85:
	s_andn2_b64 vcc, exec, s[16:17]
	s_cbranch_vccnz .LBB55_87
; %bb.86:
	v_lshl_add_u64 v[10:11], v[4:5], 2, s[12:13]
	global_store_dword v[10:11], v3, off
.LBB55_87:
	s_andn2_b64 vcc, exec, s[8:9]
	s_cbranch_vccnz .LBB55_89
; %bb.88:
	v_lshl_add_u64 v[4:5], v[4:5], 2, s[14:15]
	global_store_dword v[4:5], v2, off
.LBB55_89:
	s_or_b64 exec, exec, s[18:19]
	v_cmp_gt_u32_e32 vcc, 56, v0
	s_and_b64 exec, exec, vcc
	s_cbranch_execz .LBB55_145
; %bb.90:
	s_and_saveexec_b64 s[18:19], s[6:7]
	s_xor_b64 s[18:19], exec, s[18:19]
	s_andn2_saveexec_b64 s[18:19], s[18:19]
	s_cbranch_execz .LBB55_92
; %bb.91:
	v_add_u32_e32 v2, v0, v6
	v_lshl_add_u32 v2, v2, 2, 0
	ds_read_b32 v3, v2 offset:32
	ds_read_b32 v2, v2 offset:2112
.LBB55_92:
	s_or_b64 exec, exec, s[18:19]
	s_waitcnt lgkmcnt(1)
	ds_bpermute_b32 v5, v7, v3
	s_waitcnt lgkmcnt(1)
	ds_bpermute_b32 v4, v7, v2
	v_add_u32_e32 v10, 8, v0
	v_mov_b32_e32 v11, 0
	v_lshl_add_u64 v[10:11], s[2:3], 0, v[10:11]
	v_cmp_gt_i64_e32 vcc, s[10:11], v[10:11]
	s_waitcnt lgkmcnt(0)
	v_pk_add_f32 v[2:3], v[2:3], v[4:5]
	ds_bpermute_b32 v5, v8, v3
	ds_bpermute_b32 v4, v8, v2
	s_and_b64 s[20:21], s[0:1], vcc
	s_waitcnt lgkmcnt(0)
	v_pk_add_f32 v[2:3], v[2:3], v[4:5]
	ds_bpermute_b32 v5, v9, v3
	ds_bpermute_b32 v4, v9, v2
	s_waitcnt lgkmcnt(0)
	v_pk_add_f32 v[2:3], v[2:3], v[4:5]
	s_and_saveexec_b64 s[18:19], s[20:21]
	s_cbranch_execz .LBB55_97
; %bb.93:
	s_andn2_b64 vcc, exec, s[16:17]
	s_cbranch_vccnz .LBB55_95
; %bb.94:
	v_lshl_add_u64 v[4:5], s[2:3], 0, v[0:1]
	v_lshl_add_u64 v[4:5], v[4:5], 2, s[12:13]
	global_store_dword v[4:5], v3, off offset:32
.LBB55_95:
	s_andn2_b64 vcc, exec, s[8:9]
	s_cbranch_vccnz .LBB55_97
; %bb.96:
	v_lshl_add_u64 v[4:5], s[2:3], 0, v[0:1]
	v_lshl_add_u64 v[4:5], v[4:5], 2, s[14:15]
	global_store_dword v[4:5], v2, off offset:32
.LBB55_97:
	s_or_b64 exec, exec, s[18:19]
	v_cmp_gt_u32_e32 vcc, 48, v0
	s_and_b64 exec, exec, vcc
	s_cbranch_execz .LBB55_145
; %bb.98:
	s_and_saveexec_b64 s[18:19], s[6:7]
	s_xor_b64 s[18:19], exec, s[18:19]
	s_andn2_saveexec_b64 s[18:19], s[18:19]
	s_cbranch_execz .LBB55_100
; %bb.99:
	v_add_u32_e32 v2, v0, v6
	v_lshl_add_u32 v2, v2, 2, 0
	ds_read_b32 v3, v2 offset:64
	ds_read_b32 v2, v2 offset:2144
.LBB55_100:
	s_or_b64 exec, exec, s[18:19]
	s_waitcnt lgkmcnt(1)
	ds_bpermute_b32 v5, v7, v3
	s_waitcnt lgkmcnt(1)
	ds_bpermute_b32 v4, v7, v2
	v_add_u32_e32 v10, 16, v0
	v_mov_b32_e32 v11, 0
	v_lshl_add_u64 v[10:11], s[2:3], 0, v[10:11]
	v_cmp_gt_i64_e32 vcc, s[10:11], v[10:11]
	s_waitcnt lgkmcnt(0)
	v_pk_add_f32 v[2:3], v[2:3], v[4:5]
	ds_bpermute_b32 v5, v8, v3
	ds_bpermute_b32 v4, v8, v2
	s_and_b64 s[20:21], s[0:1], vcc
	s_waitcnt lgkmcnt(0)
	v_pk_add_f32 v[2:3], v[2:3], v[4:5]
	ds_bpermute_b32 v5, v9, v3
	ds_bpermute_b32 v4, v9, v2
	s_waitcnt lgkmcnt(0)
	v_pk_add_f32 v[2:3], v[2:3], v[4:5]
	s_and_saveexec_b64 s[18:19], s[20:21]
	s_cbranch_execz .LBB55_105
; %bb.101:
	s_andn2_b64 vcc, exec, s[16:17]
	s_cbranch_vccnz .LBB55_103
; %bb.102:
	v_lshl_add_u64 v[4:5], s[2:3], 0, v[0:1]
	v_lshl_add_u64 v[4:5], v[4:5], 2, s[12:13]
	global_store_dword v[4:5], v3, off offset:64
.LBB55_103:
	s_andn2_b64 vcc, exec, s[8:9]
	s_cbranch_vccnz .LBB55_105
; %bb.104:
	v_lshl_add_u64 v[4:5], s[2:3], 0, v[0:1]
	v_lshl_add_u64 v[4:5], v[4:5], 2, s[14:15]
	global_store_dword v[4:5], v2, off offset:64
.LBB55_105:
	;; [unrolled: 52-line block ×3, first 2 shown]
	s_or_b64 exec, exec, s[18:19]
	v_cmp_gt_u32_e32 vcc, 32, v0
	s_and_b64 exec, exec, vcc
	s_cbranch_execz .LBB55_145
; %bb.114:
	s_and_saveexec_b64 s[18:19], s[6:7]
	s_xor_b64 s[18:19], exec, s[18:19]
	s_andn2_saveexec_b64 s[18:19], s[18:19]
	s_cbranch_execz .LBB55_116
; %bb.115:
	v_add_u32_e32 v2, v0, v6
	v_lshl_add_u32 v2, v2, 2, 0
	ds_read_b32 v3, v2 offset:128
	ds_read_b32 v2, v2 offset:2208
.LBB55_116:
	s_or_b64 exec, exec, s[18:19]
	s_waitcnt lgkmcnt(1)
	ds_bpermute_b32 v5, v7, v3
	s_waitcnt lgkmcnt(1)
	ds_bpermute_b32 v4, v7, v2
	v_add_u32_e32 v10, 32, v0
	v_mov_b32_e32 v11, s3
	v_or_b32_e32 v10, s2, v10
	v_cmp_gt_i64_e32 vcc, s[10:11], v[10:11]
	s_waitcnt lgkmcnt(0)
	v_pk_add_f32 v[2:3], v[2:3], v[4:5]
	ds_bpermute_b32 v5, v8, v3
	ds_bpermute_b32 v4, v8, v2
	s_and_b64 s[20:21], s[0:1], vcc
	s_waitcnt lgkmcnt(0)
	v_pk_add_f32 v[2:3], v[2:3], v[4:5]
	ds_bpermute_b32 v5, v9, v3
	ds_bpermute_b32 v4, v9, v2
	s_waitcnt lgkmcnt(0)
	v_pk_add_f32 v[2:3], v[2:3], v[4:5]
	s_and_saveexec_b64 s[18:19], s[20:21]
	s_cbranch_execz .LBB55_121
; %bb.117:
	s_andn2_b64 vcc, exec, s[16:17]
	s_cbranch_vccnz .LBB55_119
; %bb.118:
	v_lshl_add_u64 v[4:5], s[2:3], 0, v[0:1]
	v_lshl_add_u64 v[4:5], v[4:5], 2, s[12:13]
	global_store_dword v[4:5], v3, off offset:128
.LBB55_119:
	s_andn2_b64 vcc, exec, s[8:9]
	s_cbranch_vccnz .LBB55_121
; %bb.120:
	v_lshl_add_u64 v[4:5], s[2:3], 0, v[0:1]
	v_lshl_add_u64 v[4:5], v[4:5], 2, s[14:15]
	global_store_dword v[4:5], v2, off offset:128
.LBB55_121:
	s_or_b64 exec, exec, s[18:19]
	v_cmp_gt_u32_e32 vcc, 24, v0
	s_and_b64 exec, exec, vcc
	s_cbranch_execz .LBB55_145
; %bb.122:
	s_and_saveexec_b64 s[18:19], s[6:7]
	s_xor_b64 s[18:19], exec, s[18:19]
	s_andn2_saveexec_b64 s[18:19], s[18:19]
	s_cbranch_execz .LBB55_124
; %bb.123:
	v_add_u32_e32 v2, v0, v6
	v_lshl_add_u32 v2, v2, 2, 0
	ds_read_b32 v3, v2 offset:160
	ds_read_b32 v2, v2 offset:2240
.LBB55_124:
	s_or_b64 exec, exec, s[18:19]
	s_waitcnt lgkmcnt(1)
	ds_bpermute_b32 v5, v7, v3
	s_waitcnt lgkmcnt(1)
	ds_bpermute_b32 v4, v7, v2
	v_add_u32_e32 v10, 40, v0
	v_mov_b32_e32 v11, 0
	v_lshl_add_u64 v[10:11], s[2:3], 0, v[10:11]
	v_cmp_gt_i64_e32 vcc, s[10:11], v[10:11]
	s_waitcnt lgkmcnt(0)
	v_pk_add_f32 v[2:3], v[2:3], v[4:5]
	ds_bpermute_b32 v5, v8, v3
	ds_bpermute_b32 v4, v8, v2
	s_and_b64 s[20:21], s[0:1], vcc
	s_waitcnt lgkmcnt(0)
	v_pk_add_f32 v[2:3], v[2:3], v[4:5]
	ds_bpermute_b32 v5, v9, v3
	ds_bpermute_b32 v4, v9, v2
	s_waitcnt lgkmcnt(0)
	v_pk_add_f32 v[2:3], v[2:3], v[4:5]
	s_and_saveexec_b64 s[18:19], s[20:21]
	s_cbranch_execz .LBB55_129
; %bb.125:
	s_andn2_b64 vcc, exec, s[16:17]
	s_cbranch_vccnz .LBB55_127
; %bb.126:
	v_lshl_add_u64 v[4:5], s[2:3], 0, v[0:1]
	v_lshl_add_u64 v[4:5], v[4:5], 2, s[12:13]
	global_store_dword v[4:5], v3, off offset:160
.LBB55_127:
	s_andn2_b64 vcc, exec, s[8:9]
	s_cbranch_vccnz .LBB55_129
; %bb.128:
	v_lshl_add_u64 v[4:5], s[2:3], 0, v[0:1]
	v_lshl_add_u64 v[4:5], v[4:5], 2, s[14:15]
	global_store_dword v[4:5], v2, off offset:160
.LBB55_129:
	s_or_b64 exec, exec, s[18:19]
	v_cmp_gt_u32_e32 vcc, 16, v0
	s_and_b64 exec, exec, vcc
	s_cbranch_execz .LBB55_145
; %bb.130:
	s_and_saveexec_b64 s[18:19], s[6:7]
	s_xor_b64 s[6:7], exec, s[18:19]
	s_andn2_saveexec_b64 s[6:7], s[6:7]
	s_cbranch_execz .LBB55_132
; %bb.131:
	v_add_u32_e32 v2, v0, v6
	v_lshl_add_u32 v2, v2, 2, 0
	ds_read_b32 v3, v2 offset:192
	ds_read_b32 v2, v2 offset:2272
.LBB55_132:
	s_or_b64 exec, exec, s[6:7]
	s_waitcnt lgkmcnt(1)
	ds_bpermute_b32 v5, v7, v3
	s_waitcnt lgkmcnt(1)
	ds_bpermute_b32 v4, v7, v2
	v_add_u32_e32 v10, 48, v0
	v_mov_b32_e32 v11, s3
	v_or_b32_e32 v10, s2, v10
	v_cmp_gt_i64_e32 vcc, s[10:11], v[10:11]
	s_waitcnt lgkmcnt(0)
	v_pk_add_f32 v[2:3], v[2:3], v[4:5]
	ds_bpermute_b32 v5, v8, v3
	ds_bpermute_b32 v4, v8, v2
	s_and_b64 s[18:19], s[0:1], vcc
	s_waitcnt lgkmcnt(0)
	v_pk_add_f32 v[2:3], v[2:3], v[4:5]
	ds_bpermute_b32 v5, v9, v3
	ds_bpermute_b32 v4, v9, v2
	s_waitcnt lgkmcnt(0)
	v_pk_add_f32 v[2:3], v[2:3], v[4:5]
	s_and_saveexec_b64 s[6:7], s[18:19]
	s_cbranch_execz .LBB55_137
; %bb.133:
	s_andn2_b64 vcc, exec, s[16:17]
	s_cbranch_vccnz .LBB55_135
; %bb.134:
	v_lshl_add_u64 v[4:5], s[2:3], 0, v[0:1]
	v_lshl_add_u64 v[4:5], v[4:5], 2, s[12:13]
	global_store_dword v[4:5], v3, off offset:192
.LBB55_135:
	s_andn2_b64 vcc, exec, s[8:9]
	s_cbranch_vccnz .LBB55_137
; %bb.136:
	v_lshl_add_u64 v[4:5], s[2:3], 0, v[0:1]
	v_lshl_add_u64 v[4:5], v[4:5], 2, s[14:15]
	global_store_dword v[4:5], v2, off offset:192
.LBB55_137:
	s_or_b64 exec, exec, s[6:7]
	v_cmp_gt_u32_e32 vcc, 8, v0
	s_and_b64 exec, exec, vcc
	s_cbranch_execz .LBB55_145
; %bb.138:
	s_and_saveexec_b64 s[6:7], s[4:5]
	s_cbranch_execz .LBB55_140
; %bb.139:
	v_add_u32_e32 v2, v0, v6
	v_lshl_add_u32 v2, v2, 2, 0
	ds_read_b32 v3, v2 offset:224
	ds_read_b32 v2, v2 offset:2304
.LBB55_140:
	s_or_b64 exec, exec, s[6:7]
	s_waitcnt lgkmcnt(1)
	ds_bpermute_b32 v4, v7, v3
	s_waitcnt lgkmcnt(1)
	ds_bpermute_b32 v5, v7, v2
	v_add_u32_e32 v6, 56, v0
	v_or_b32_e32 v6, s2, v6
	v_mov_b32_e32 v7, s3
	s_waitcnt lgkmcnt(1)
	v_add_f32_e32 v3, v3, v4
	s_waitcnt lgkmcnt(0)
	v_add_f32_e32 v2, v2, v5
	ds_bpermute_b32 v4, v8, v3
	ds_bpermute_b32 v5, v8, v2
	v_cmp_gt_i64_e32 vcc, s[10:11], v[6:7]
	s_and_b64 s[0:1], s[0:1], vcc
	s_waitcnt lgkmcnt(1)
	v_add_f32_e32 v4, v3, v4
	s_waitcnt lgkmcnt(0)
	v_add_f32_e32 v2, v2, v5
	ds_bpermute_b32 v5, v9, v4
	ds_bpermute_b32 v3, v9, v2
	s_and_b64 exec, exec, s[0:1]
	s_cbranch_execz .LBB55_145
; %bb.141:
	s_andn2_b64 vcc, exec, s[16:17]
	v_lshl_add_u64 v[0:1], s[2:3], 0, v[0:1]
	s_cbranch_vccnz .LBB55_143
; %bb.142:
	s_waitcnt lgkmcnt(1)
	v_add_f32_e32 v6, v4, v5
	v_lshl_add_u64 v[4:5], v[0:1], 2, s[12:13]
	global_store_dword v[4:5], v6, off offset:224
.LBB55_143:
	s_andn2_b64 vcc, exec, s[8:9]
	s_cbranch_vccnz .LBB55_145
; %bb.144:
	s_waitcnt lgkmcnt(0)
	v_add_f32_e32 v2, v2, v3
	v_lshl_add_u64 v[0:1], v[0:1], 2, s[14:15]
	global_store_dword v[0:1], v2, off offset:224
.LBB55_145:
	s_endpgm
	.section	.rodata,"a",@progbits
	.p2align	6, 0x0
	.amdhsa_kernel _ZN2at6native12_GLOBAL__N_135GammaBetaBackwardCUDAKernelTemplateIffLj64ELj8ELj64ELb0ELb0ELb0EEEvllPKT_S5_PKT0_S8_PS3_S9_
		.amdhsa_group_segment_fixed_size 0
		.amdhsa_private_segment_fixed_size 0
		.amdhsa_kernarg_size 320
		.amdhsa_user_sgpr_count 2
		.amdhsa_user_sgpr_dispatch_ptr 0
		.amdhsa_user_sgpr_queue_ptr 0
		.amdhsa_user_sgpr_kernarg_segment_ptr 1
		.amdhsa_user_sgpr_dispatch_id 0
		.amdhsa_user_sgpr_kernarg_preload_length 0
		.amdhsa_user_sgpr_kernarg_preload_offset 0
		.amdhsa_user_sgpr_private_segment_size 0
		.amdhsa_uses_dynamic_stack 0
		.amdhsa_enable_private_segment 0
		.amdhsa_system_sgpr_workgroup_id_x 1
		.amdhsa_system_sgpr_workgroup_id_y 1
		.amdhsa_system_sgpr_workgroup_id_z 0
		.amdhsa_system_sgpr_workgroup_info 0
		.amdhsa_system_vgpr_workitem_id 1
		.amdhsa_next_free_vgpr 104
		.amdhsa_next_free_sgpr 52
		.amdhsa_accum_offset 104
		.amdhsa_reserve_vcc 1
		.amdhsa_float_round_mode_32 0
		.amdhsa_float_round_mode_16_64 0
		.amdhsa_float_denorm_mode_32 3
		.amdhsa_float_denorm_mode_16_64 3
		.amdhsa_dx10_clamp 1
		.amdhsa_ieee_mode 1
		.amdhsa_fp16_overflow 0
		.amdhsa_tg_split 0
		.amdhsa_exception_fp_ieee_invalid_op 0
		.amdhsa_exception_fp_denorm_src 0
		.amdhsa_exception_fp_ieee_div_zero 0
		.amdhsa_exception_fp_ieee_overflow 0
		.amdhsa_exception_fp_ieee_underflow 0
		.amdhsa_exception_fp_ieee_inexact 0
		.amdhsa_exception_int_div_zero 0
	.end_amdhsa_kernel
	.section	.text._ZN2at6native12_GLOBAL__N_135GammaBetaBackwardCUDAKernelTemplateIffLj64ELj8ELj64ELb0ELb0ELb0EEEvllPKT_S5_PKT0_S8_PS3_S9_,"axG",@progbits,_ZN2at6native12_GLOBAL__N_135GammaBetaBackwardCUDAKernelTemplateIffLj64ELj8ELj64ELb0ELb0ELb0EEEvllPKT_S5_PKT0_S8_PS3_S9_,comdat
.Lfunc_end55:
	.size	_ZN2at6native12_GLOBAL__N_135GammaBetaBackwardCUDAKernelTemplateIffLj64ELj8ELj64ELb0ELb0ELb0EEEvllPKT_S5_PKT0_S8_PS3_S9_, .Lfunc_end55-_ZN2at6native12_GLOBAL__N_135GammaBetaBackwardCUDAKernelTemplateIffLj64ELj8ELj64ELb0ELb0ELb0EEEvllPKT_S5_PKT0_S8_PS3_S9_
                                        ; -- End function
	.set _ZN2at6native12_GLOBAL__N_135GammaBetaBackwardCUDAKernelTemplateIffLj64ELj8ELj64ELb0ELb0ELb0EEEvllPKT_S5_PKT0_S8_PS3_S9_.num_vgpr, 104
	.set _ZN2at6native12_GLOBAL__N_135GammaBetaBackwardCUDAKernelTemplateIffLj64ELj8ELj64ELb0ELb0ELb0EEEvllPKT_S5_PKT0_S8_PS3_S9_.num_agpr, 0
	.set _ZN2at6native12_GLOBAL__N_135GammaBetaBackwardCUDAKernelTemplateIffLj64ELj8ELj64ELb0ELb0ELb0EEEvllPKT_S5_PKT0_S8_PS3_S9_.numbered_sgpr, 52
	.set _ZN2at6native12_GLOBAL__N_135GammaBetaBackwardCUDAKernelTemplateIffLj64ELj8ELj64ELb0ELb0ELb0EEEvllPKT_S5_PKT0_S8_PS3_S9_.num_named_barrier, 0
	.set _ZN2at6native12_GLOBAL__N_135GammaBetaBackwardCUDAKernelTemplateIffLj64ELj8ELj64ELb0ELb0ELb0EEEvllPKT_S5_PKT0_S8_PS3_S9_.private_seg_size, 0
	.set _ZN2at6native12_GLOBAL__N_135GammaBetaBackwardCUDAKernelTemplateIffLj64ELj8ELj64ELb0ELb0ELb0EEEvllPKT_S5_PKT0_S8_PS3_S9_.uses_vcc, 1
	.set _ZN2at6native12_GLOBAL__N_135GammaBetaBackwardCUDAKernelTemplateIffLj64ELj8ELj64ELb0ELb0ELb0EEEvllPKT_S5_PKT0_S8_PS3_S9_.uses_flat_scratch, 0
	.set _ZN2at6native12_GLOBAL__N_135GammaBetaBackwardCUDAKernelTemplateIffLj64ELj8ELj64ELb0ELb0ELb0EEEvllPKT_S5_PKT0_S8_PS3_S9_.has_dyn_sized_stack, 0
	.set _ZN2at6native12_GLOBAL__N_135GammaBetaBackwardCUDAKernelTemplateIffLj64ELj8ELj64ELb0ELb0ELb0EEEvllPKT_S5_PKT0_S8_PS3_S9_.has_recursion, 0
	.set _ZN2at6native12_GLOBAL__N_135GammaBetaBackwardCUDAKernelTemplateIffLj64ELj8ELj64ELb0ELb0ELb0EEEvllPKT_S5_PKT0_S8_PS3_S9_.has_indirect_call, 0
	.section	.AMDGPU.csdata,"",@progbits
; Kernel info:
; codeLenInByte = 8672
; TotalNumSgprs: 58
; NumVgprs: 104
; NumAgprs: 0
; TotalNumVgprs: 104
; ScratchSize: 0
; MemoryBound: 0
; FloatMode: 240
; IeeeMode: 1
; LDSByteSize: 0 bytes/workgroup (compile time only)
; SGPRBlocks: 7
; VGPRBlocks: 12
; NumSGPRsForWavesPerEU: 58
; NumVGPRsForWavesPerEU: 104
; AccumOffset: 104
; Occupancy: 4
; WaveLimiterHint : 0
; COMPUTE_PGM_RSRC2:SCRATCH_EN: 0
; COMPUTE_PGM_RSRC2:USER_SGPR: 2
; COMPUTE_PGM_RSRC2:TRAP_HANDLER: 0
; COMPUTE_PGM_RSRC2:TGID_X_EN: 1
; COMPUTE_PGM_RSRC2:TGID_Y_EN: 1
; COMPUTE_PGM_RSRC2:TGID_Z_EN: 0
; COMPUTE_PGM_RSRC2:TIDIG_COMP_CNT: 1
; COMPUTE_PGM_RSRC3_GFX90A:ACCUM_OFFSET: 25
; COMPUTE_PGM_RSRC3_GFX90A:TG_SPLIT: 0
	.section	.text._ZN2at6native12_GLOBAL__N_135GammaBetaBackwardCUDAKernelTemplateIffLj64ELj16ELj128ELb0ELb1ELb0EEEvllPKT_S5_PKT0_S8_PS3_S9_,"axG",@progbits,_ZN2at6native12_GLOBAL__N_135GammaBetaBackwardCUDAKernelTemplateIffLj64ELj16ELj128ELb0ELb1ELb0EEEvllPKT_S5_PKT0_S8_PS3_S9_,comdat
	.globl	_ZN2at6native12_GLOBAL__N_135GammaBetaBackwardCUDAKernelTemplateIffLj64ELj16ELj128ELb0ELb1ELb0EEEvllPKT_S5_PKT0_S8_PS3_S9_ ; -- Begin function _ZN2at6native12_GLOBAL__N_135GammaBetaBackwardCUDAKernelTemplateIffLj64ELj16ELj128ELb0ELb1ELb0EEEvllPKT_S5_PKT0_S8_PS3_S9_
	.p2align	8
	.type	_ZN2at6native12_GLOBAL__N_135GammaBetaBackwardCUDAKernelTemplateIffLj64ELj16ELj128ELb0ELb1ELb0EEEvllPKT_S5_PKT0_S8_PS3_S9_,@function
_ZN2at6native12_GLOBAL__N_135GammaBetaBackwardCUDAKernelTemplateIffLj64ELj16ELj128ELb0ELb1ELb0EEEvllPKT_S5_PKT0_S8_PS3_S9_: ; @_ZN2at6native12_GLOBAL__N_135GammaBetaBackwardCUDAKernelTemplateIffLj64ELj16ELj128ELb0ELb1ELb0EEEvllPKT_S5_PKT0_S8_PS3_S9_
; %bb.0:
	s_load_dwordx4 s[16:19], s[0:1], 0x0
	s_lshl_b32 s20, s3, 7
	s_mov_b32 s21, 0
	v_mov_b64_e32 v[2:3], s[20:21]
	v_bfe_u32 v12, v0, 10, 10
	s_waitcnt lgkmcnt(0)
	v_cmp_gt_i64_e32 vcc, s[16:17], v[2:3]
	s_cbranch_vccnz .LBB56_2
; %bb.1:
	s_mov_b64 s[4:5], 0
	v_bfe_u32 v2, v0, 10, 10
	s_branch .LBB56_3
.LBB56_2:
	s_mov_b64 s[4:5], -1
                                        ; implicit-def: $vgpr2
.LBB56_3:
	s_load_dwordx4 s[12:15], s[0:1], 0x30
	v_mov_b32_e32 v1, 0
	v_and_b32_e32 v10, 0x3ff, v0
	s_andn2_b64 vcc, exec, s[4:5]
	v_mbcnt_lo_u32_b32 v11, -1, 0
	v_mov_b32_e32 v0, v1
	s_cbranch_vccnz .LBB56_11
; %bb.4:
	s_load_dword s3, s[0:1], 0x4c
	s_load_dword s22, s[0:1], 0x44
	s_load_dwordx8 s[4:11], s[0:1], 0x10
	v_lshlrev_b32_e32 v0, 3, v12
	v_mbcnt_hi_u32_b32 v4, -1, v11
	s_waitcnt lgkmcnt(0)
	s_and_b32 s0, s3, 0xffff
	v_mad_u32_u24 v1, v12, s0, v10
	v_and_b32_e32 v2, 63, v1
	v_mov_b32_e32 v1, 0
	v_mov_b32_e32 v3, v1
	v_lshl_add_u64 v[8:9], v[0:1], 0, s[20:21]
	v_cmp_gt_u32_e64 s[0:1], 8, v2
	s_lshl_b32 s22, s22, 7
	v_lshl_add_u64 v[2:3], v[8:9], 0, v[2:3]
	v_mul_lo_u32 v0, s19, v8
	v_mul_lo_u32 v21, s18, v9
	v_mad_u64_u32 v[8:9], s[26:27], s18, v8, 0
	v_lshl_add_u32 v6, s2, 6, v10
	v_mov_b32_e32 v7, v1
	v_lshlrev_b32_e32 v4, 2, v4
	s_mul_i32 s3, s19, s22
	s_mul_hi_u32 s26, s18, s22
	s_mov_b32 s23, 0
	v_and_b32_e32 v13, 0x100, v4
	v_add3_u32 v9, v9, v21, v0
	v_lshlrev_b64 v[6:7], 2, v[6:7]
	s_add_i32 s27, s26, s3
	s_mul_i32 s26, s18, s22
	v_or_b32_e32 v14, 4, v13
	v_or_b32_e32 v15, 8, v13
	;; [unrolled: 1-line block ×7, first 2 shown]
	v_lshlrev_b64 v[4:5], 2, v[2:3]
	s_lshl_b64 s[24:25], s[22:23], 2
	v_lshl_add_u64 v[6:7], v[8:9], 2, v[6:7]
	s_lshl_b64 s[26:27], s[26:27], 2
	s_lshl_b64 s[18:19], s[18:19], 2
	v_mov_b64_e32 v[8:9], s[16:17]
	v_mov_b32_e32 v0, v1
	s_branch .LBB56_7
.LBB56_5:                               ;   in Loop: Header=BB56_7 Depth=1
	s_or_b64 exec, exec, s[30:31]
.LBB56_6:                               ;   in Loop: Header=BB56_7 Depth=1
	s_or_b64 exec, exec, s[28:29]
	v_lshl_add_u64 v[26:27], s[6:7], 0, v[6:7]
	v_lshl_add_u64 v[24:25], s[4:5], 0, v[6:7]
	global_load_dword v28, v[26:27], off
	v_lshl_add_u64 v[26:27], v[26:27], 0, s[18:19]
	global_load_dword v23, v[24:25], off
	;; [unrolled: 2-line block ×5, first 2 shown]
	global_load_dword v31, v[24:25], off
	v_lshl_add_u64 v[26:27], v[26:27], 0, s[18:19]
	global_load_dword v34, v[26:27], off
	v_lshl_add_u64 v[24:25], v[24:25], 0, s[18:19]
	v_lshl_add_u64 v[26:27], v[26:27], 0, s[18:19]
	global_load_dword v33, v[24:25], off
	global_load_dword v36, v[26:27], off
	v_lshl_add_u64 v[24:25], v[24:25], 0, s[18:19]
	v_lshl_add_u64 v[26:27], v[26:27], 0, s[18:19]
	global_load_dword v35, v[24:25], off
	;; [unrolled: 4-line block ×4, first 2 shown]
	v_lshl_add_u64 v[24:25], v[24:25], 0, s[18:19]
	global_load_dword v26, v[26:27], off
	s_waitcnt vmcnt(16)
	ds_bpermute_b32 v27, v13, v21
	global_load_dword v25, v[24:25], off
	ds_bpermute_b32 v42, v14, v21
	s_waitcnt vmcnt(16)
	ds_bpermute_b32 v24, v13, v22
	ds_bpermute_b32 v44, v15, v21
	;; [unrolled: 1-line block ×14, first 2 shown]
	s_add_u32 s20, s20, s22
	s_addc_u32 s21, s21, 0
	v_cmp_lt_i64_e32 vcc, s[20:21], v[8:9]
	v_lshl_add_u64 v[4:5], v[4:5], 0, s[24:25]
	v_lshl_add_u64 v[2:3], v[2:3], 0, s[22:23]
	;; [unrolled: 1-line block ×3, first 2 shown]
	s_and_b64 vcc, exec, vcc
	s_waitcnt vmcnt(15) lgkmcnt(14)
	v_sub_f32_e32 v22, v28, v27
	s_waitcnt vmcnt(14)
	v_mul_f32_e32 v22, v23, v22
	s_waitcnt lgkmcnt(13)
	v_mul_f32_e32 v22, v22, v24
	s_waitcnt vmcnt(13)
	v_sub_f32_e32 v27, v30, v42
	v_pk_add_f32 v[0:1], v[0:1], v[22:23]
	s_waitcnt vmcnt(12)
	v_mul_f32_e32 v24, v29, v27
	s_waitcnt vmcnt(11) lgkmcnt(12)
	v_sub_f32_e32 v27, v32, v44
	s_waitcnt lgkmcnt(11)
	v_mul_f32_e32 v28, v24, v41
	s_waitcnt vmcnt(10)
	v_mul_f32_e32 v24, v31, v27
	s_waitcnt vmcnt(9) lgkmcnt(10)
	v_sub_f32_e32 v27, v34, v46
	s_waitcnt lgkmcnt(9)
	v_mul_f32_e32 v30, v24, v43
	v_pk_add_f32 v[0:1], v[0:1], v[28:29]
	s_waitcnt vmcnt(8)
	v_mul_f32_e32 v22, v33, v27
	s_waitcnt vmcnt(7) lgkmcnt(8)
	v_sub_f32_e32 v23, v36, v48
	s_waitcnt lgkmcnt(7)
	v_mul_f32_e32 v32, v22, v45
	v_pk_add_f32 v[0:1], v[0:1], v[30:31]
	s_waitcnt vmcnt(6)
	v_mul_f32_e32 v22, v35, v23
	s_waitcnt vmcnt(5) lgkmcnt(4)
	v_sub_f32_e32 v23, v38, v50
	v_mul_f32_e32 v34, v22, v47
	v_pk_add_f32 v[0:1], v[0:1], v[32:33]
	s_waitcnt vmcnt(4)
	v_mul_f32_e32 v22, v37, v23
	s_waitcnt vmcnt(3) lgkmcnt(1)
	v_sub_f32_e32 v23, v40, v52
	v_mul_f32_e32 v36, v22, v49
	v_pk_add_f32 v[0:1], v[0:1], v[34:35]
	s_waitcnt vmcnt(2)
	v_mul_f32_e32 v22, v39, v23
	v_mul_f32_e32 v38, v22, v51
	s_waitcnt vmcnt(1) lgkmcnt(0)
	v_sub_f32_e32 v21, v26, v21
	v_pk_add_f32 v[0:1], v[0:1], v[36:37]
	s_waitcnt vmcnt(0)
	v_mul_f32_e32 v21, v25, v21
	v_pk_add_f32 v[0:1], v[0:1], v[38:39]
	v_mul_f32_e32 v24, v21, v53
	v_pk_add_f32 v[0:1], v[0:1], v[24:25]
	s_cbranch_vccz .LBB56_10
.LBB56_7:                               ; =>This Inner Loop Header: Depth=1
	v_mov_b32_e32 v22, 0
	v_mov_b32_e32 v21, 0
	s_and_saveexec_b64 s[28:29], s[0:1]
	s_cbranch_execz .LBB56_6
; %bb.8:                                ;   in Loop: Header=BB56_7 Depth=1
	v_cmp_gt_i64_e32 vcc, s[16:17], v[2:3]
	v_mov_b32_e32 v21, 0
	v_mov_b32_e32 v22, 0
	s_and_saveexec_b64 s[30:31], vcc
	s_cbranch_execz .LBB56_5
; %bb.9:                                ;   in Loop: Header=BB56_7 Depth=1
	v_lshl_add_u64 v[26:27], s[8:9], 0, v[4:5]
	v_lshl_add_u64 v[24:25], s[10:11], 0, v[4:5]
	global_load_dword v21, v[26:27], off
	global_load_dword v22, v[24:25], off
	s_branch .LBB56_5
.LBB56_10:
	v_mov_b32_e32 v2, v12
.LBB56_11:
	s_movk_i32 s0, 0x41
	v_mad_u32_u24 v3, v2, s0, v10
	v_lshl_add_u32 v3, v3, 2, 0
	ds_write_b32 v3, v0
	ds_write_b32 v3, v1 offset:4160
	v_lshrrev_b32_e32 v0, 6, v10
	v_add_u32_e32 v0, v0, v2
	v_cmp_gt_u32_e32 vcc, 64, v0
	s_waitcnt lgkmcnt(0)
	s_barrier
	s_and_saveexec_b64 s[0:1], vcc
	s_cbranch_execz .LBB56_43
; %bb.12:
	v_and_b32_e32 v1, 63, v10
	v_cmp_lt_u32_e64 s[4:5], 15, v1
	v_cmp_gt_u32_e64 s[0:1], 16, v1
	v_mul_u32_u24_e32 v6, 0x41, v1
                                        ; implicit-def: $vgpr2
	s_and_saveexec_b64 s[6:7], s[0:1]
	s_cbranch_execz .LBB56_14
; %bb.13:
	v_add_u32_e32 v1, v0, v6
	v_lshl_add_u32 v1, v1, 2, 0
	ds_read_b32 v3, v1
	ds_read_b32 v2, v1 offset:4160
.LBB56_14:
	s_or_b64 exec, exec, s[6:7]
	v_mbcnt_hi_u32_b32 v1, -1, v11
	v_and_b32_e32 v4, 64, v1
	v_add_u32_e32 v11, 64, v4
	v_xor_b32_e32 v4, 8, v1
	v_cmp_lt_i32_e32 vcc, v4, v11
	v_xor_b32_e32 v8, 4, v1
	v_xor_b32_e32 v9, 2, v1
	v_cndmask_b32_e32 v4, v1, v4, vcc
	v_lshlrev_b32_e32 v7, 2, v4
	s_waitcnt lgkmcnt(1)
	ds_bpermute_b32 v5, v7, v3
	s_waitcnt lgkmcnt(1)
	ds_bpermute_b32 v4, v7, v2
	v_cmp_lt_i32_e32 vcc, v8, v11
	s_mov_b32 s3, 0
	s_lshl_b64 s[6:7], s[2:3], 6
	v_cndmask_b32_e32 v8, v1, v8, vcc
	v_lshlrev_b32_e32 v8, 2, v8
	s_waitcnt lgkmcnt(0)
	v_pk_add_f32 v[2:3], v[2:3], v[4:5]
	ds_bpermute_b32 v5, v8, v3
	ds_bpermute_b32 v4, v8, v2
	v_cmp_lt_i32_e32 vcc, v9, v11
	v_cmp_eq_u32_e64 s[2:3], 0, v10
	s_cmp_lg_u64 s[12:13], 0
	v_cndmask_b32_e32 v9, v1, v9, vcc
	v_lshlrev_b32_e32 v9, 2, v9
	s_waitcnt lgkmcnt(0)
	v_pk_add_f32 v[2:3], v[2:3], v[4:5]
	ds_bpermute_b32 v5, v9, v3
	ds_bpermute_b32 v4, v9, v2
	s_cselect_b64 s[10:11], -1, 0
	s_cmp_lg_u64 s[14:15], 0
	s_cselect_b64 s[8:9], -1, 0
	s_waitcnt lgkmcnt(0)
	v_pk_add_f32 v[2:3], v[2:3], v[4:5]
	v_xor_b32_e32 v4, 1, v1
	v_cmp_lt_i32_e32 vcc, v4, v11
	s_nop 1
	v_cndmask_b32_e32 v1, v1, v4, vcc
	v_lshlrev_b32_e32 v10, 2, v1
	ds_bpermute_b32 v5, v10, v3
	ds_bpermute_b32 v4, v10, v2
	v_mov_b32_e32 v1, 0
	s_waitcnt lgkmcnt(0)
	v_pk_add_f32 v[2:3], v[2:3], v[4:5]
	s_and_saveexec_b64 s[16:17], s[2:3]
	s_cbranch_execz .LBB56_19
; %bb.15:
	v_mov_b32_e32 v5, s7
	s_andn2_b64 vcc, exec, s[10:11]
	v_or_b32_e32 v4, s6, v0
	s_cbranch_vccnz .LBB56_17
; %bb.16:
	v_lshl_add_u64 v[12:13], v[4:5], 2, s[12:13]
	global_store_dword v[12:13], v3, off
.LBB56_17:
	s_andn2_b64 vcc, exec, s[8:9]
	s_cbranch_vccnz .LBB56_19
; %bb.18:
	v_lshl_add_u64 v[4:5], v[4:5], 2, s[14:15]
	global_store_dword v[4:5], v2, off
.LBB56_19:
	s_or_b64 exec, exec, s[16:17]
	v_cmp_gt_u32_e32 vcc, 48, v0
	s_and_b64 exec, exec, vcc
	s_cbranch_execz .LBB56_43
; %bb.20:
	s_and_saveexec_b64 s[16:17], s[4:5]
	s_xor_b64 s[16:17], exec, s[16:17]
	s_andn2_saveexec_b64 s[16:17], s[16:17]
	s_cbranch_execz .LBB56_22
; %bb.21:
	v_add_u32_e32 v2, v0, v6
	v_lshl_add_u32 v2, v2, 2, 0
	ds_read_b32 v3, v2 offset:64
	ds_read_b32 v2, v2 offset:4224
.LBB56_22:
	s_or_b64 exec, exec, s[16:17]
	s_waitcnt lgkmcnt(1)
	ds_bpermute_b32 v5, v7, v3
	s_waitcnt lgkmcnt(1)
	ds_bpermute_b32 v4, v7, v2
	s_waitcnt lgkmcnt(0)
	v_pk_add_f32 v[2:3], v[2:3], v[4:5]
	ds_bpermute_b32 v5, v8, v3
	ds_bpermute_b32 v4, v8, v2
	s_waitcnt lgkmcnt(0)
	v_pk_add_f32 v[2:3], v[2:3], v[4:5]
	ds_bpermute_b32 v5, v9, v3
	;; [unrolled: 4-line block ×3, first 2 shown]
	ds_bpermute_b32 v4, v10, v2
	s_waitcnt lgkmcnt(0)
	v_pk_add_f32 v[2:3], v[2:3], v[4:5]
	s_and_saveexec_b64 s[16:17], s[2:3]
	s_cbranch_execz .LBB56_27
; %bb.23:
	s_andn2_b64 vcc, exec, s[10:11]
	s_cbranch_vccnz .LBB56_25
; %bb.24:
	v_lshl_add_u64 v[4:5], s[6:7], 0, v[0:1]
	v_lshl_add_u64 v[4:5], v[4:5], 2, s[12:13]
	global_store_dword v[4:5], v3, off offset:64
.LBB56_25:
	s_andn2_b64 vcc, exec, s[8:9]
	s_cbranch_vccnz .LBB56_27
; %bb.26:
	v_lshl_add_u64 v[4:5], s[6:7], 0, v[0:1]
	v_lshl_add_u64 v[4:5], v[4:5], 2, s[14:15]
	global_store_dword v[4:5], v2, off offset:64
.LBB56_27:
	s_or_b64 exec, exec, s[16:17]
	v_cmp_gt_u32_e32 vcc, 32, v0
	s_and_b64 exec, exec, vcc
	s_cbranch_execz .LBB56_43
; %bb.28:
	s_and_saveexec_b64 s[16:17], s[4:5]
	s_xor_b64 s[4:5], exec, s[16:17]
	s_andn2_saveexec_b64 s[4:5], s[4:5]
	s_cbranch_execz .LBB56_30
; %bb.29:
	v_add_u32_e32 v2, v0, v6
	v_lshl_add_u32 v2, v2, 2, 0
	ds_read_b32 v3, v2 offset:128
	ds_read_b32 v2, v2 offset:4288
.LBB56_30:
	s_or_b64 exec, exec, s[4:5]
	s_waitcnt lgkmcnt(1)
	ds_bpermute_b32 v5, v7, v3
	s_waitcnt lgkmcnt(1)
	ds_bpermute_b32 v4, v7, v2
	s_waitcnt lgkmcnt(0)
	v_pk_add_f32 v[2:3], v[2:3], v[4:5]
	ds_bpermute_b32 v5, v8, v3
	ds_bpermute_b32 v4, v8, v2
	s_waitcnt lgkmcnt(0)
	v_pk_add_f32 v[2:3], v[2:3], v[4:5]
	ds_bpermute_b32 v5, v9, v3
	;; [unrolled: 4-line block ×3, first 2 shown]
	ds_bpermute_b32 v4, v10, v2
	s_waitcnt lgkmcnt(0)
	v_pk_add_f32 v[2:3], v[2:3], v[4:5]
	s_and_saveexec_b64 s[4:5], s[2:3]
	s_cbranch_execz .LBB56_35
; %bb.31:
	s_andn2_b64 vcc, exec, s[10:11]
	s_cbranch_vccnz .LBB56_33
; %bb.32:
	v_lshl_add_u64 v[4:5], s[6:7], 0, v[0:1]
	v_lshl_add_u64 v[4:5], v[4:5], 2, s[12:13]
	global_store_dword v[4:5], v3, off offset:128
.LBB56_33:
	s_andn2_b64 vcc, exec, s[8:9]
	s_cbranch_vccnz .LBB56_35
; %bb.34:
	v_lshl_add_u64 v[4:5], s[6:7], 0, v[0:1]
	v_lshl_add_u64 v[4:5], v[4:5], 2, s[14:15]
	global_store_dword v[4:5], v2, off offset:128
.LBB56_35:
	s_or_b64 exec, exec, s[4:5]
	v_cmp_gt_u32_e32 vcc, 16, v0
	s_and_b64 exec, exec, vcc
	s_cbranch_execz .LBB56_43
; %bb.36:
	s_and_saveexec_b64 s[4:5], s[0:1]
	s_cbranch_execz .LBB56_38
; %bb.37:
	v_add_u32_e32 v2, v0, v6
	v_lshl_add_u32 v2, v2, 2, 0
	ds_read_b32 v3, v2 offset:192
	ds_read_b32 v2, v2 offset:4352
.LBB56_38:
	s_or_b64 exec, exec, s[4:5]
	s_waitcnt lgkmcnt(1)
	ds_bpermute_b32 v4, v7, v3
	s_waitcnt lgkmcnt(1)
	ds_bpermute_b32 v5, v7, v2
	s_waitcnt lgkmcnt(1)
	v_add_f32_e32 v3, v3, v4
	s_waitcnt lgkmcnt(0)
	v_add_f32_e32 v2, v2, v5
	ds_bpermute_b32 v4, v8, v3
	ds_bpermute_b32 v5, v8, v2
	s_waitcnt lgkmcnt(1)
	v_add_f32_e32 v3, v3, v4
	s_waitcnt lgkmcnt(0)
	v_add_f32_e32 v2, v2, v5
	ds_bpermute_b32 v4, v9, v3
	;; [unrolled: 6-line block ×3, first 2 shown]
	ds_bpermute_b32 v3, v10, v2
	s_and_b64 exec, exec, s[2:3]
	s_cbranch_execz .LBB56_43
; %bb.39:
	s_andn2_b64 vcc, exec, s[10:11]
	v_lshl_add_u64 v[0:1], s[6:7], 0, v[0:1]
	s_cbranch_vccnz .LBB56_41
; %bb.40:
	s_waitcnt lgkmcnt(1)
	v_add_f32_e32 v6, v4, v5
	v_lshl_add_u64 v[4:5], v[0:1], 2, s[12:13]
	global_store_dword v[4:5], v6, off offset:192
.LBB56_41:
	s_andn2_b64 vcc, exec, s[8:9]
	s_cbranch_vccnz .LBB56_43
; %bb.42:
	s_waitcnt lgkmcnt(0)
	v_add_f32_e32 v2, v2, v3
	v_lshl_add_u64 v[0:1], v[0:1], 2, s[14:15]
	global_store_dword v[0:1], v2, off offset:192
.LBB56_43:
	s_endpgm
	.section	.rodata,"a",@progbits
	.p2align	6, 0x0
	.amdhsa_kernel _ZN2at6native12_GLOBAL__N_135GammaBetaBackwardCUDAKernelTemplateIffLj64ELj16ELj128ELb0ELb1ELb0EEEvllPKT_S5_PKT0_S8_PS3_S9_
		.amdhsa_group_segment_fixed_size 0
		.amdhsa_private_segment_fixed_size 0
		.amdhsa_kernarg_size 320
		.amdhsa_user_sgpr_count 2
		.amdhsa_user_sgpr_dispatch_ptr 0
		.amdhsa_user_sgpr_queue_ptr 0
		.amdhsa_user_sgpr_kernarg_segment_ptr 1
		.amdhsa_user_sgpr_dispatch_id 0
		.amdhsa_user_sgpr_kernarg_preload_length 0
		.amdhsa_user_sgpr_kernarg_preload_offset 0
		.amdhsa_user_sgpr_private_segment_size 0
		.amdhsa_uses_dynamic_stack 0
		.amdhsa_enable_private_segment 0
		.amdhsa_system_sgpr_workgroup_id_x 1
		.amdhsa_system_sgpr_workgroup_id_y 1
		.amdhsa_system_sgpr_workgroup_id_z 0
		.amdhsa_system_sgpr_workgroup_info 0
		.amdhsa_system_vgpr_workitem_id 1
		.amdhsa_next_free_vgpr 54
		.amdhsa_next_free_sgpr 32
		.amdhsa_accum_offset 56
		.amdhsa_reserve_vcc 1
		.amdhsa_float_round_mode_32 0
		.amdhsa_float_round_mode_16_64 0
		.amdhsa_float_denorm_mode_32 3
		.amdhsa_float_denorm_mode_16_64 3
		.amdhsa_dx10_clamp 1
		.amdhsa_ieee_mode 1
		.amdhsa_fp16_overflow 0
		.amdhsa_tg_split 0
		.amdhsa_exception_fp_ieee_invalid_op 0
		.amdhsa_exception_fp_denorm_src 0
		.amdhsa_exception_fp_ieee_div_zero 0
		.amdhsa_exception_fp_ieee_overflow 0
		.amdhsa_exception_fp_ieee_underflow 0
		.amdhsa_exception_fp_ieee_inexact 0
		.amdhsa_exception_int_div_zero 0
	.end_amdhsa_kernel
	.section	.text._ZN2at6native12_GLOBAL__N_135GammaBetaBackwardCUDAKernelTemplateIffLj64ELj16ELj128ELb0ELb1ELb0EEEvllPKT_S5_PKT0_S8_PS3_S9_,"axG",@progbits,_ZN2at6native12_GLOBAL__N_135GammaBetaBackwardCUDAKernelTemplateIffLj64ELj16ELj128ELb0ELb1ELb0EEEvllPKT_S5_PKT0_S8_PS3_S9_,comdat
.Lfunc_end56:
	.size	_ZN2at6native12_GLOBAL__N_135GammaBetaBackwardCUDAKernelTemplateIffLj64ELj16ELj128ELb0ELb1ELb0EEEvllPKT_S5_PKT0_S8_PS3_S9_, .Lfunc_end56-_ZN2at6native12_GLOBAL__N_135GammaBetaBackwardCUDAKernelTemplateIffLj64ELj16ELj128ELb0ELb1ELb0EEEvllPKT_S5_PKT0_S8_PS3_S9_
                                        ; -- End function
	.set _ZN2at6native12_GLOBAL__N_135GammaBetaBackwardCUDAKernelTemplateIffLj64ELj16ELj128ELb0ELb1ELb0EEEvllPKT_S5_PKT0_S8_PS3_S9_.num_vgpr, 54
	.set _ZN2at6native12_GLOBAL__N_135GammaBetaBackwardCUDAKernelTemplateIffLj64ELj16ELj128ELb0ELb1ELb0EEEvllPKT_S5_PKT0_S8_PS3_S9_.num_agpr, 0
	.set _ZN2at6native12_GLOBAL__N_135GammaBetaBackwardCUDAKernelTemplateIffLj64ELj16ELj128ELb0ELb1ELb0EEEvllPKT_S5_PKT0_S8_PS3_S9_.numbered_sgpr, 32
	.set _ZN2at6native12_GLOBAL__N_135GammaBetaBackwardCUDAKernelTemplateIffLj64ELj16ELj128ELb0ELb1ELb0EEEvllPKT_S5_PKT0_S8_PS3_S9_.num_named_barrier, 0
	.set _ZN2at6native12_GLOBAL__N_135GammaBetaBackwardCUDAKernelTemplateIffLj64ELj16ELj128ELb0ELb1ELb0EEEvllPKT_S5_PKT0_S8_PS3_S9_.private_seg_size, 0
	.set _ZN2at6native12_GLOBAL__N_135GammaBetaBackwardCUDAKernelTemplateIffLj64ELj16ELj128ELb0ELb1ELb0EEEvllPKT_S5_PKT0_S8_PS3_S9_.uses_vcc, 1
	.set _ZN2at6native12_GLOBAL__N_135GammaBetaBackwardCUDAKernelTemplateIffLj64ELj16ELj128ELb0ELb1ELb0EEEvllPKT_S5_PKT0_S8_PS3_S9_.uses_flat_scratch, 0
	.set _ZN2at6native12_GLOBAL__N_135GammaBetaBackwardCUDAKernelTemplateIffLj64ELj16ELj128ELb0ELb1ELb0EEEvllPKT_S5_PKT0_S8_PS3_S9_.has_dyn_sized_stack, 0
	.set _ZN2at6native12_GLOBAL__N_135GammaBetaBackwardCUDAKernelTemplateIffLj64ELj16ELj128ELb0ELb1ELb0EEEvllPKT_S5_PKT0_S8_PS3_S9_.has_recursion, 0
	.set _ZN2at6native12_GLOBAL__N_135GammaBetaBackwardCUDAKernelTemplateIffLj64ELj16ELj128ELb0ELb1ELb0EEEvllPKT_S5_PKT0_S8_PS3_S9_.has_indirect_call, 0
	.section	.AMDGPU.csdata,"",@progbits
; Kernel info:
; codeLenInByte = 2316
; TotalNumSgprs: 38
; NumVgprs: 54
; NumAgprs: 0
; TotalNumVgprs: 54
; ScratchSize: 0
; MemoryBound: 0
; FloatMode: 240
; IeeeMode: 1
; LDSByteSize: 0 bytes/workgroup (compile time only)
; SGPRBlocks: 4
; VGPRBlocks: 6
; NumSGPRsForWavesPerEU: 38
; NumVGPRsForWavesPerEU: 54
; AccumOffset: 56
; Occupancy: 8
; WaveLimiterHint : 0
; COMPUTE_PGM_RSRC2:SCRATCH_EN: 0
; COMPUTE_PGM_RSRC2:USER_SGPR: 2
; COMPUTE_PGM_RSRC2:TRAP_HANDLER: 0
; COMPUTE_PGM_RSRC2:TGID_X_EN: 1
; COMPUTE_PGM_RSRC2:TGID_Y_EN: 1
; COMPUTE_PGM_RSRC2:TGID_Z_EN: 0
; COMPUTE_PGM_RSRC2:TIDIG_COMP_CNT: 1
; COMPUTE_PGM_RSRC3_GFX90A:ACCUM_OFFSET: 13
; COMPUTE_PGM_RSRC3_GFX90A:TG_SPLIT: 0
	.section	.text._ZN2at6native12_GLOBAL__N_135GammaBetaBackwardCUDAKernelTemplateIffLj64ELj16ELj128ELb0ELb0ELb0EEEvllPKT_S5_PKT0_S8_PS3_S9_,"axG",@progbits,_ZN2at6native12_GLOBAL__N_135GammaBetaBackwardCUDAKernelTemplateIffLj64ELj16ELj128ELb0ELb0ELb0EEEvllPKT_S5_PKT0_S8_PS3_S9_,comdat
	.globl	_ZN2at6native12_GLOBAL__N_135GammaBetaBackwardCUDAKernelTemplateIffLj64ELj16ELj128ELb0ELb0ELb0EEEvllPKT_S5_PKT0_S8_PS3_S9_ ; -- Begin function _ZN2at6native12_GLOBAL__N_135GammaBetaBackwardCUDAKernelTemplateIffLj64ELj16ELj128ELb0ELb0ELb0EEEvllPKT_S5_PKT0_S8_PS3_S9_
	.p2align	8
	.type	_ZN2at6native12_GLOBAL__N_135GammaBetaBackwardCUDAKernelTemplateIffLj64ELj16ELj128ELb0ELb0ELb0EEEvllPKT_S5_PKT0_S8_PS3_S9_,@function
_ZN2at6native12_GLOBAL__N_135GammaBetaBackwardCUDAKernelTemplateIffLj64ELj16ELj128ELb0ELb0ELb0EEEvllPKT_S5_PKT0_S8_PS3_S9_: ; @_ZN2at6native12_GLOBAL__N_135GammaBetaBackwardCUDAKernelTemplateIffLj64ELj16ELj128ELb0ELb0ELb0EEEvllPKT_S5_PKT0_S8_PS3_S9_
; %bb.0:
	s_load_dwordx8 s[8:15], s[0:1], 0x0
	s_load_dwordx4 s[16:19], s[0:1], 0x20
	s_lshl_b32 s33, s2, 6
	s_mov_b32 s21, 0
	s_lshl_b32 s20, s3, 7
	s_or_b32 s4, s33, 63
	v_mov_b64_e32 v[2:3], s[20:21]
	v_mov_b32_e32 v20, s4
	v_mov_b32_e32 v21, 0
	s_waitcnt lgkmcnt(0)
	v_cmp_gt_i64_e64 s[4:5], s[8:9], v[2:3]
	v_cmp_le_i64_e32 vcc, s[10:11], v[20:21]
	s_nop 0
	v_cndmask_b32_e64 v1, 0, 1, s[4:5]
	v_cmp_ne_u32_e64 s[4:5], 1, v1
	s_cbranch_vccz .LBB57_48
; %bb.1:
	s_and_b64 vcc, exec, s[4:5]
	v_mov_b32_e32 v20, 0
	s_cbranch_vccnz .LBB57_49
; %bb.2:
	v_and_b32_e32 v1, 0x3ff, v0
	v_mov_b32_e32 v2, 0
	v_bfe_u32 v62, v0, 10, 10
	v_add_u32_e32 v4, s33, v1
	v_mov_b32_e32 v5, v2
	v_lshlrev_b32_e32 v22, 3, v62
	v_mov_b32_e32 v23, v2
	v_cmp_gt_i64_e64 s[6:7], s[10:11], v[4:5]
	v_lshlrev_b64 v[24:25], 2, v[4:5]
	v_lshl_add_u64 v[4:5], v[22:23], 0, s[20:21]
	v_mul_lo_u32 v3, s11, v4
	v_mul_lo_u32 v8, s10, v5
	v_mad_u64_u32 v[6:7], s[24:25], s10, v4, 0
	v_add3_u32 v7, v7, v8, v3
	v_lshlrev_b64 v[6:7], 2, v[6:7]
	v_lshl_add_u64 v[26:27], s[12:13], 0, v[6:7]
	v_lshl_add_u64 v[28:29], s[14:15], 0, v[6:7]
	v_lshl_add_u64 v[6:7], v[4:5], 0, 7
	v_mul_lo_u32 v9, s11, v6
	v_mul_lo_u32 v10, s10, v7
	v_mad_u64_u32 v[6:7], s[26:27], s10, v6, 0
	v_add3_u32 v7, v7, v10, v9
	v_lshlrev_b64 v[6:7], 2, v[6:7]
	v_lshl_add_u64 v[30:31], s[12:13], 0, v[6:7]
	v_lshl_add_u64 v[32:33], s[14:15], 0, v[6:7]
	;; [unrolled: 8-line block ×5, first 2 shown]
	v_lshl_add_u64 v[6:7], v[4:5], 0, 3
	v_mul_lo_u32 v9, s11, v6
	v_mul_lo_u32 v10, s10, v7
	v_mad_u64_u32 v[6:7], s[26:27], s10, v6, 0
	v_add3_u32 v7, v7, v10, v9
	s_load_dword s3, s[0:1], 0x44
	v_lshlrev_b64 v[6:7], 2, v[6:7]
	v_lshl_add_u64 v[46:47], s[12:13], 0, v[6:7]
	v_lshl_add_u64 v[48:49], s[14:15], 0, v[6:7]
	;; [unrolled: 1-line block ×3, first 2 shown]
	v_mul_lo_u32 v5, s11, v6
	v_mul_lo_u32 v9, s10, v7
	v_mad_u64_u32 v[6:7], s[26:27], s10, v6, 0
	v_add3_u32 v7, v7, v9, v5
	s_add_u32 s22, s0, 64
	v_lshlrev_b64 v[6:7], 2, v[6:7]
	s_addc_u32 s23, s1, 0
	s_waitcnt lgkmcnt(0)
	s_lshl_b32 s3, s3, 7
	v_lshl_add_u64 v[50:51], s[12:13], 0, v[6:7]
	v_lshl_add_u64 v[52:53], s[14:15], 0, v[6:7]
	v_mov_b64_e32 v[6:7], s[10:11]
	s_mul_i32 s24, s11, s3
	s_mul_hi_u32 s25, s10, s3
	v_mad_u64_u32 v[4:5], s[26:27], s10, v4, v[6:7]
	s_add_i32 s25, s25, s24
	s_mul_i32 s24, s10, s3
	v_add3_u32 v5, v3, v5, v8
	v_mbcnt_lo_u32_b32 v3, -1, 0
	s_lshl_b64 s[24:25], s[24:25], 2
	v_mbcnt_hi_u32_b32 v3, -1, v3
	v_lshlrev_b64 v[4:5], 2, v[4:5]
	s_add_u32 s26, s20, 0x7f
	s_movk_i32 s28, 0xff81
	s_movk_i32 s30, 0xff82
	;; [unrolled: 1-line block ×8, first 2 shown]
	v_lshlrev_b32_e32 v3, 2, v3
	v_lshl_add_u64 v[54:55], s[12:13], 0, v[4:5]
	v_lshl_add_u64 v[56:57], s[14:15], 0, v[4:5]
	s_addc_u32 s27, 0, 0
	s_mov_b32 s29, -1
	s_mov_b32 s31, -1
	;; [unrolled: 1-line block ×8, first 2 shown]
	v_and_b32_e32 v63, 0x100, v3
	s_mov_b64 s[46:47], s[20:21]
	v_mov_b32_e32 v20, 0
	v_mov_b32_e32 v21, v2
	s_branch .LBB57_5
.LBB57_3:                               ;   in Loop: Header=BB57_5 Depth=1
	s_or_b64 exec, exec, s[48:49]
	s_waitcnt vmcnt(1)
	ds_bpermute_b32 v3, v63, v61
	ds_bpermute_b32 v58, v63, v61 offset:4
	s_waitcnt vmcnt(0)
	ds_bpermute_b32 v59, v63, v60
	ds_bpermute_b32 v64, v63, v60 offset:4
	v_mov_b32_e32 v65, v7
	s_waitcnt lgkmcnt(3)
	v_sub_f32_e32 v3, v12, v3
	v_mul_f32_e32 v3, v4, v3
	s_waitcnt lgkmcnt(2)
	v_sub_f32_e32 v13, v13, v58
	s_waitcnt lgkmcnt(1)
	v_mul_f32_e32 v12, v3, v59
	ds_bpermute_b32 v3, v63, v61 offset:8
	v_mul_f32_e32 v13, v5, v13
	s_waitcnt lgkmcnt(1)
	v_mul_f32_e32 v58, v13, v64
	ds_bpermute_b32 v13, v63, v60 offset:8
	ds_bpermute_b32 v59, v63, v61 offset:12
	;; [unrolled: 1-line block ×3, first 2 shown]
	s_waitcnt lgkmcnt(3)
	v_sub_f32_e32 v3, v14, v3
	v_mul_f32_e32 v3, v6, v3
	s_waitcnt lgkmcnt(2)
	v_mul_f32_e32 v14, v3, v13
	s_waitcnt lgkmcnt(1)
	v_sub_f32_e32 v3, v15, v59
	ds_bpermute_b32 v13, v63, v61 offset:16
	v_mul_f32_e32 v3, v7, v3
	s_waitcnt lgkmcnt(1)
	v_mul_f32_e32 v64, v3, v64
	ds_bpermute_b32 v3, v63, v60 offset:16
	ds_bpermute_b32 v15, v63, v61 offset:20
	;; [unrolled: 1-line block ×3, first 2 shown]
	s_waitcnt lgkmcnt(3)
	v_sub_f32_e32 v13, v16, v13
	v_mul_f32_e32 v13, v8, v13
	s_waitcnt lgkmcnt(2)
	v_mul_f32_e32 v16, v13, v3
	s_waitcnt lgkmcnt(1)
	v_sub_f32_e32 v3, v17, v15
	v_mul_f32_e32 v3, v9, v3
	v_mov_b32_e32 v13, v4
	s_waitcnt lgkmcnt(0)
	v_mul_f32_e32 v66, v3, v59
	v_pk_add_f32 v[12:13], v[20:21], v[12:13]
	v_mov_b32_e32 v59, v5
	v_pk_add_f32 v[4:5], v[58:59], v[12:13]
	v_mov_b32_e32 v15, v6
	v_pk_add_f32 v[4:5], v[14:15], v[4:5]
	ds_bpermute_b32 v3, v63, v61 offset:24
	v_pk_add_f32 v[4:5], v[64:65], v[4:5]
	v_mov_b32_e32 v17, v8
	v_pk_add_f32 v[4:5], v[16:17], v[4:5]
	v_mov_b32_e32 v67, v9
	v_pk_add_f32 v[6:7], v[66:67], v[4:5]
	ds_bpermute_b32 v5, v63, v60 offset:24
	s_waitcnt lgkmcnt(1)
	v_sub_f32_e32 v8, v18, v3
	ds_bpermute_b32 v3, v63, v60 offset:28
	ds_bpermute_b32 v4, v63, v61 offset:28
	v_mul_f32_e32 v8, v10, v8
	s_waitcnt lgkmcnt(2)
	v_mul_f32_e32 v8, v8, v5
	v_mov_b32_e32 v9, v10
	v_pk_add_f32 v[60:61], v[8:9], v[6:7]
.LBB57_4:                               ;   in Loop: Header=BB57_5 Depth=1
	s_waitcnt lgkmcnt(0)
	v_sub_f32_e32 v4, v19, v4
	v_mul_f32_e32 v4, v11, v4
	s_add_u32 s46, s46, s3
	v_mul_f32_e32 v10, v4, v3
	s_addc_u32 s47, s47, 0
	v_mov_b64_e32 v[4:5], s[8:9]
	s_add_u32 s26, s26, s3
	v_cmp_lt_i64_e32 vcc, s[46:47], v[4:5]
	v_pk_add_f32 v[20:21], v[60:61], v[10:11]
	v_lshl_add_u64 v[26:27], v[26:27], 0, s[24:25]
	v_lshl_add_u64 v[28:29], v[28:29], 0, s[24:25]
	;; [unrolled: 1-line block ×16, first 2 shown]
	s_addc_u32 s27, s27, 0
	s_cbranch_vccz .LBB57_49
.LBB57_5:                               ; =>This Inner Loop Header: Depth=1
	v_mov_b64_e32 v[4:5], s[8:9]
	v_cmp_ge_i64_e32 vcc, s[26:27], v[4:5]
	v_lshl_add_u64 v[58:59], v[22:23], 0, s[26:27]
	s_mov_b64 s[48:49], -1
	s_and_b64 vcc, exec, vcc
                                        ; implicit-def: $vgpr4_vgpr5_vgpr6_vgpr7_vgpr8_vgpr9_vgpr10_vgpr11
                                        ; implicit-def: $vgpr60_vgpr61
                                        ; implicit-def: $vgpr3
                                        ; implicit-def: $vgpr12_vgpr13_vgpr14_vgpr15_vgpr16_vgpr17_vgpr18_vgpr19
                                        ; implicit-def: $vgpr4
	s_cbranch_vccz .LBB57_27
; %bb.6:                                ;   in Loop: Header=BB57_5 Depth=1
	s_load_dword s48, s[22:23], 0xc
	v_mov_b32_e32 v60, 0
	v_mov_b32_e32 v61, 0
	s_waitcnt lgkmcnt(0)
	s_and_b32 s48, s48, 0xffff
	v_mad_u32_u24 v3, v62, s48, v1
	v_and_b32_e32 v4, 63, v3
	v_cmp_gt_u32_e32 vcc, 8, v4
	s_and_saveexec_b64 s[48:49], vcc
	s_cbranch_execz .LBB57_10
; %bb.7:                                ;   in Loop: Header=BB57_5 Depth=1
	v_mov_b32_e32 v5, v2
	v_lshl_add_u64 v[4:5], v[58:59], 0, v[4:5]
	v_lshl_add_u64 v[4:5], v[4:5], 0, s[28:29]
	v_cmp_gt_i64_e32 vcc, s[8:9], v[4:5]
	v_mov_b32_e32 v61, 0
	v_mov_b32_e32 v60, 0
	s_and_saveexec_b64 s[50:51], vcc
	s_cbranch_execz .LBB57_9
; %bb.8:                                ;   in Loop: Header=BB57_5 Depth=1
	v_lshlrev_b64 v[4:5], 2, v[4:5]
	v_lshl_add_u64 v[6:7], s[18:19], 0, v[4:5]
	v_lshl_add_u64 v[4:5], s[16:17], 0, v[4:5]
	global_load_dword v61, v[4:5], off
	global_load_dword v60, v[6:7], off
.LBB57_9:                               ;   in Loop: Header=BB57_5 Depth=1
	s_or_b64 exec, exec, s[50:51]
.LBB57_10:                              ;   in Loop: Header=BB57_5 Depth=1
	s_or_b64 exec, exec, s[48:49]
	v_lshl_add_u64 v[4:5], v[58:59], 0, s[28:29]
	v_mov_b32_e32 v8, v2
	v_mov_b32_e32 v9, v2
	v_cmp_gt_i64_e32 vcc, s[8:9], v[4:5]
	v_mov_b32_e32 v3, v2
	v_mov_b32_e32 v4, v2
	;; [unrolled: 1-line block ×5, first 2 shown]
	v_mov_b64_e32 v[18:19], v[8:9]
	v_mov_b64_e32 v[16:17], v[6:7]
	;; [unrolled: 1-line block ×5, first 2 shown]
	s_and_b64 s[50:51], s[6:7], vcc
	v_mov_b64_e32 v[8:9], v[6:7]
	v_mov_b64_e32 v[6:7], v[4:5]
	;; [unrolled: 1-line block ×3, first 2 shown]
	s_and_saveexec_b64 s[48:49], s[50:51]
	s_cbranch_execz .LBB57_12
; %bb.11:                               ;   in Loop: Header=BB57_5 Depth=1
	v_lshl_add_u64 v[4:5], v[26:27], 0, v[24:25]
	v_lshl_add_u64 v[6:7], v[28:29], 0, v[24:25]
	global_load_dword v4, v[4:5], off
	v_mov_b32_e32 v5, v2
	global_load_dword v12, v[6:7], off
	v_mov_b32_e32 v6, v2
	v_mov_b32_e32 v7, v2
	;; [unrolled: 1-line block ×13, first 2 shown]
.LBB57_12:                              ;   in Loop: Header=BB57_5 Depth=1
	s_or_b64 exec, exec, s[48:49]
	v_lshl_add_u64 v[64:65], v[58:59], 0, s[30:31]
	v_cmp_gt_i64_e32 vcc, s[8:9], v[64:65]
	s_and_b64 s[50:51], s[6:7], vcc
	s_and_saveexec_b64 s[48:49], s[50:51]
	s_cbranch_execz .LBB57_14
; %bb.13:                               ;   in Loop: Header=BB57_5 Depth=1
	v_lshl_add_u64 v[64:65], v[54:55], 0, v[24:25]
	global_load_dword v5, v[64:65], off
	v_lshl_add_u64 v[64:65], v[56:57], 0, v[24:25]
	global_load_dword v13, v[64:65], off
.LBB57_14:                              ;   in Loop: Header=BB57_5 Depth=1
	s_or_b64 exec, exec, s[48:49]
	v_lshl_add_u64 v[64:65], v[58:59], 0, s[34:35]
	v_cmp_gt_i64_e32 vcc, s[8:9], v[64:65]
	s_and_b64 s[50:51], s[6:7], vcc
	s_and_saveexec_b64 s[48:49], s[50:51]
	s_cbranch_execz .LBB57_16
; %bb.15:                               ;   in Loop: Header=BB57_5 Depth=1
	v_lshl_add_u64 v[64:65], v[50:51], 0, v[24:25]
	global_load_dword v6, v[64:65], off
	v_lshl_add_u64 v[64:65], v[52:53], 0, v[24:25]
	global_load_dword v14, v[64:65], off
.LBB57_16:                              ;   in Loop: Header=BB57_5 Depth=1
	;; [unrolled: 12-line block ×7, first 2 shown]
	s_or_b64 exec, exec, s[48:49]
	s_waitcnt vmcnt(1)
	ds_bpermute_b32 v3, v63, v61
	ds_bpermute_b32 v64, v63, v61 offset:4
	s_waitcnt vmcnt(0)
	ds_bpermute_b32 v65, v63, v60
	ds_bpermute_b32 v66, v63, v60 offset:4
	v_mov_b32_e32 v67, v7
	s_waitcnt lgkmcnt(3)
	v_sub_f32_e32 v3, v12, v3
	v_mul_f32_e32 v3, v4, v3
	s_waitcnt lgkmcnt(2)
	v_sub_f32_e32 v13, v13, v64
	s_waitcnt lgkmcnt(1)
	v_mul_f32_e32 v12, v3, v65
	ds_bpermute_b32 v3, v63, v61 offset:8
	v_mul_f32_e32 v13, v5, v13
	s_waitcnt lgkmcnt(1)
	v_mul_f32_e32 v64, v13, v66
	ds_bpermute_b32 v13, v63, v60 offset:8
	ds_bpermute_b32 v65, v63, v61 offset:12
	;; [unrolled: 1-line block ×3, first 2 shown]
	s_waitcnt lgkmcnt(3)
	v_sub_f32_e32 v3, v14, v3
	v_mul_f32_e32 v3, v6, v3
	s_waitcnt lgkmcnt(2)
	v_mul_f32_e32 v14, v3, v13
	s_waitcnt lgkmcnt(1)
	v_sub_f32_e32 v3, v15, v65
	ds_bpermute_b32 v13, v63, v61 offset:16
	v_mul_f32_e32 v3, v7, v3
	s_waitcnt lgkmcnt(1)
	v_mul_f32_e32 v66, v3, v66
	ds_bpermute_b32 v3, v63, v60 offset:16
	ds_bpermute_b32 v15, v63, v61 offset:20
	;; [unrolled: 1-line block ×3, first 2 shown]
	s_waitcnt lgkmcnt(3)
	v_sub_f32_e32 v13, v16, v13
	v_mul_f32_e32 v13, v8, v13
	s_waitcnt lgkmcnt(2)
	v_mul_f32_e32 v16, v13, v3
	s_waitcnt lgkmcnt(1)
	v_sub_f32_e32 v3, v17, v15
	v_mul_f32_e32 v3, v9, v3
	v_mov_b32_e32 v13, v4
	s_waitcnt lgkmcnt(0)
	v_mul_f32_e32 v68, v3, v65
	v_pk_add_f32 v[12:13], v[20:21], v[12:13]
	v_mov_b32_e32 v65, v5
	v_pk_add_f32 v[4:5], v[64:65], v[12:13]
	v_mov_b32_e32 v15, v6
	ds_bpermute_b32 v3, v63, v61 offset:24
	v_pk_add_f32 v[4:5], v[14:15], v[4:5]
	v_mov_b32_e32 v17, v8
	v_pk_add_f32 v[4:5], v[66:67], v[4:5]
	v_mov_b32_e32 v69, v9
	v_pk_add_f32 v[4:5], v[16:17], v[4:5]
	s_waitcnt lgkmcnt(0)
	v_sub_f32_e32 v3, v18, v3
	v_pk_add_f32 v[6:7], v[68:69], v[4:5]
	ds_bpermute_b32 v5, v63, v60 offset:24
	v_mul_f32_e32 v8, v10, v3
	ds_bpermute_b32 v3, v63, v60 offset:28
	ds_bpermute_b32 v4, v63, v61 offset:28
	v_mov_b32_e32 v9, v10
	s_waitcnt lgkmcnt(2)
	v_mul_f32_e32 v8, v8, v5
	v_pk_add_f32 v[60:61], v[8:9], v[6:7]
	s_mov_b64 s[48:49], 0
.LBB57_27:                              ;   in Loop: Header=BB57_5 Depth=1
	s_and_b64 vcc, exec, s[48:49]
	s_cbranch_vccz .LBB57_4
; %bb.28:                               ;   in Loop: Header=BB57_5 Depth=1
	s_load_dword s48, s[22:23], 0x0
	v_mov_b32_e32 v60, 0
	v_mov_b32_e32 v61, 0
	s_waitcnt lgkmcnt(0)
	s_cmp_lt_u32 s2, s48
	s_cselect_b32 s48, 12, 18
	s_add_u32 s48, s22, s48
	s_addc_u32 s49, s23, 0
	global_load_ushort v3, v2, s[48:49]
	s_waitcnt vmcnt(0)
	v_mad_u32_u24 v3, v62, v3, v1
	v_and_b32_e32 v4, 63, v3
	v_cmp_gt_u32_e32 vcc, 8, v4
	s_and_saveexec_b64 s[48:49], vcc
	s_cbranch_execz .LBB57_32
; %bb.29:                               ;   in Loop: Header=BB57_5 Depth=1
	v_mov_b32_e32 v5, v2
	v_lshl_add_u64 v[4:5], v[58:59], 0, v[4:5]
	v_lshl_add_u64 v[4:5], v[4:5], 0, s[28:29]
	v_cmp_gt_i64_e32 vcc, s[8:9], v[4:5]
	v_mov_b32_e32 v61, 0
	v_mov_b32_e32 v60, 0
	s_and_saveexec_b64 s[50:51], vcc
	s_cbranch_execz .LBB57_31
; %bb.30:                               ;   in Loop: Header=BB57_5 Depth=1
	v_lshlrev_b64 v[4:5], 2, v[4:5]
	v_lshl_add_u64 v[6:7], s[18:19], 0, v[4:5]
	v_lshl_add_u64 v[4:5], s[16:17], 0, v[4:5]
	global_load_dword v61, v[4:5], off
	global_load_dword v60, v[6:7], off
.LBB57_31:                              ;   in Loop: Header=BB57_5 Depth=1
	s_or_b64 exec, exec, s[50:51]
.LBB57_32:                              ;   in Loop: Header=BB57_5 Depth=1
	s_or_b64 exec, exec, s[48:49]
	v_mov_b32_e32 v8, v2
	v_mov_b32_e32 v9, v2
	;; [unrolled: 1-line block ×7, first 2 shown]
	v_mov_b64_e32 v[18:19], v[8:9]
	v_mov_b64_e32 v[16:17], v[6:7]
	v_mov_b64_e32 v[14:15], v[4:5]
	v_mov_b64_e32 v[12:13], v[2:3]
	v_mov_b64_e32 v[10:11], v[8:9]
	v_mov_b64_e32 v[8:9], v[6:7]
	v_mov_b64_e32 v[6:7], v[4:5]
	v_mov_b64_e32 v[4:5], v[2:3]
	s_and_saveexec_b64 s[48:49], s[6:7]
	s_cbranch_execnz .LBB57_40
; %bb.33:                               ;   in Loop: Header=BB57_5 Depth=1
	s_or_b64 exec, exec, s[48:49]
	s_and_saveexec_b64 s[48:49], s[6:7]
	s_cbranch_execnz .LBB57_41
.LBB57_34:                              ;   in Loop: Header=BB57_5 Depth=1
	s_or_b64 exec, exec, s[48:49]
	s_and_saveexec_b64 s[48:49], s[6:7]
	s_cbranch_execnz .LBB57_42
.LBB57_35:                              ;   in Loop: Header=BB57_5 Depth=1
	s_or_b64 exec, exec, s[48:49]
	s_and_saveexec_b64 s[48:49], s[6:7]
	s_cbranch_execnz .LBB57_43
.LBB57_36:                              ;   in Loop: Header=BB57_5 Depth=1
	s_or_b64 exec, exec, s[48:49]
	s_and_saveexec_b64 s[48:49], s[6:7]
	s_cbranch_execnz .LBB57_44
.LBB57_37:                              ;   in Loop: Header=BB57_5 Depth=1
	s_or_b64 exec, exec, s[48:49]
	s_and_saveexec_b64 s[48:49], s[6:7]
	s_cbranch_execnz .LBB57_45
.LBB57_38:                              ;   in Loop: Header=BB57_5 Depth=1
	s_or_b64 exec, exec, s[48:49]
	s_and_saveexec_b64 s[48:49], s[6:7]
	s_cbranch_execnz .LBB57_46
.LBB57_39:                              ;   in Loop: Header=BB57_5 Depth=1
	s_or_b64 exec, exec, s[48:49]
	s_and_saveexec_b64 s[48:49], s[6:7]
	s_cbranch_execz .LBB57_3
	s_branch .LBB57_47
.LBB57_40:                              ;   in Loop: Header=BB57_5 Depth=1
	v_lshl_add_u64 v[4:5], v[26:27], 0, v[24:25]
	v_lshl_add_u64 v[6:7], v[28:29], 0, v[24:25]
	global_load_dword v4, v[4:5], off
	v_mov_b32_e32 v5, v2
	global_load_dword v12, v[6:7], off
	v_mov_b32_e32 v6, v2
	v_mov_b32_e32 v7, v2
	;; [unrolled: 1-line block ×13, first 2 shown]
	s_or_b64 exec, exec, s[48:49]
	s_and_saveexec_b64 s[48:49], s[6:7]
	s_cbranch_execz .LBB57_34
.LBB57_41:                              ;   in Loop: Header=BB57_5 Depth=1
	v_lshl_add_u64 v[58:59], v[54:55], 0, v[24:25]
	global_load_dword v5, v[58:59], off
	v_lshl_add_u64 v[58:59], v[56:57], 0, v[24:25]
	global_load_dword v13, v[58:59], off
	s_or_b64 exec, exec, s[48:49]
	s_and_saveexec_b64 s[48:49], s[6:7]
	s_cbranch_execz .LBB57_35
.LBB57_42:                              ;   in Loop: Header=BB57_5 Depth=1
	v_lshl_add_u64 v[58:59], v[50:51], 0, v[24:25]
	global_load_dword v6, v[58:59], off
	v_lshl_add_u64 v[58:59], v[52:53], 0, v[24:25]
	global_load_dword v14, v[58:59], off
	s_or_b64 exec, exec, s[48:49]
	s_and_saveexec_b64 s[48:49], s[6:7]
	s_cbranch_execz .LBB57_36
.LBB57_43:                              ;   in Loop: Header=BB57_5 Depth=1
	v_lshl_add_u64 v[58:59], v[46:47], 0, v[24:25]
	global_load_dword v7, v[58:59], off
	v_lshl_add_u64 v[58:59], v[48:49], 0, v[24:25]
	global_load_dword v15, v[58:59], off
	s_or_b64 exec, exec, s[48:49]
	s_and_saveexec_b64 s[48:49], s[6:7]
	s_cbranch_execz .LBB57_37
.LBB57_44:                              ;   in Loop: Header=BB57_5 Depth=1
	v_lshl_add_u64 v[58:59], v[42:43], 0, v[24:25]
	global_load_dword v8, v[58:59], off
	v_lshl_add_u64 v[58:59], v[44:45], 0, v[24:25]
	global_load_dword v16, v[58:59], off
	s_or_b64 exec, exec, s[48:49]
	s_and_saveexec_b64 s[48:49], s[6:7]
	s_cbranch_execz .LBB57_38
.LBB57_45:                              ;   in Loop: Header=BB57_5 Depth=1
	v_lshl_add_u64 v[58:59], v[38:39], 0, v[24:25]
	global_load_dword v9, v[58:59], off
	v_lshl_add_u64 v[58:59], v[40:41], 0, v[24:25]
	global_load_dword v17, v[58:59], off
	s_or_b64 exec, exec, s[48:49]
	s_and_saveexec_b64 s[48:49], s[6:7]
	s_cbranch_execz .LBB57_39
.LBB57_46:                              ;   in Loop: Header=BB57_5 Depth=1
	v_lshl_add_u64 v[58:59], v[34:35], 0, v[24:25]
	global_load_dword v10, v[58:59], off
	v_lshl_add_u64 v[58:59], v[36:37], 0, v[24:25]
	global_load_dword v18, v[58:59], off
	s_or_b64 exec, exec, s[48:49]
	s_and_saveexec_b64 s[48:49], s[6:7]
	s_cbranch_execz .LBB57_3
.LBB57_47:                              ;   in Loop: Header=BB57_5 Depth=1
	v_lshl_add_u64 v[58:59], v[30:31], 0, v[24:25]
	global_load_dword v11, v[58:59], off
	v_lshl_add_u64 v[58:59], v[32:33], 0, v[24:25]
	global_load_dword v19, v[58:59], off
	s_branch .LBB57_3
.LBB57_48:
                                        ; implicit-def: $vgpr21
	s_branch .LBB57_50
.LBB57_49:
	s_cbranch_execnz .LBB57_81
.LBB57_50:
	v_mov_b32_e32 v21, 0
	s_and_b64 vcc, exec, s[4:5]
	v_mov_b32_e32 v20, v21
	s_cbranch_vccnz .LBB57_81
; %bb.51:
	v_mov_b32_e32 v2, 0
	v_bfe_u32 v88, v0, 10, 10
	v_lshlrev_b32_e32 v6, 5, v88
	v_mov_b32_e32 v7, v2
	v_lshl_add_u64 v[6:7], s[20:21], 2, v[6:7]
	v_lshl_add_u64 v[8:9], v[6:7], 0, 4
	v_mov_b64_e32 v[10:11], s[12:13]
	v_lshl_add_u64 v[12:13], v[6:7], 0, 8
	v_lshl_add_u64 v[14:15], v[6:7], 0, 12
	;; [unrolled: 1-line block ×6, first 2 shown]
	v_mad_u64_u32 v[24:25], s[4:5], s10, v8, v[10:11]
	v_mad_u64_u32 v[26:27], s[4:5], s10, v12, v[10:11]
	v_mad_u64_u32 v[28:29], s[4:5], s10, v14, v[10:11]
	v_mad_u64_u32 v[30:31], s[4:5], s10, v16, v[10:11]
	v_mad_u64_u32 v[32:33], s[4:5], s10, v18, v[10:11]
	v_mad_u64_u32 v[34:35], s[4:5], s10, v20, v[10:11]
	v_mad_u64_u32 v[36:37], s[4:5], s10, v6, v[10:11]
	v_mov_b64_e32 v[10:11], s[14:15]
	v_mul_lo_u32 v9, s10, v9
	v_mul_lo_u32 v40, s11, v8
	v_mad_u64_u32 v[38:39], s[4:5], s10, v8, v[10:11]
	v_add3_u32 v25, v40, v25, v9
	v_mul_lo_u32 v13, s10, v13
	v_mul_lo_u32 v42, s11, v12
	v_add3_u32 v39, v40, v39, v9
	v_mad_u64_u32 v[40:41], s[4:5], s10, v12, v[10:11]
	v_add3_u32 v27, v42, v27, v13
	v_mul_lo_u32 v15, s10, v15
	v_mul_lo_u32 v44, s11, v14
	v_add3_u32 v41, v42, v41, v13
	;; [unrolled: 5-line block ×4, first 2 shown]
	v_mad_u64_u32 v[46:47], s[4:5], s10, v18, v[10:11]
	v_lshlrev_b32_e32 v22, 3, v88
	v_mov_b32_e32 v23, v2
	v_add3_u32 v33, v48, v33, v19
	v_mul_lo_u32 v21, s10, v21
	v_mul_lo_u32 v50, s11, v20
	v_add3_u32 v47, v48, v47, v19
	v_mad_u64_u32 v[48:49], s[4:5], s10, v20, v[10:11]
	v_lshl_add_u64 v[4:5], v[22:23], 0, s[20:21]
	v_add3_u32 v35, v50, v35, v21
	v_mul_lo_u32 v7, s10, v7
	v_mul_lo_u32 v8, s11, v6
	v_add3_u32 v49, v50, v49, v21
	v_mad_u64_u32 v[50:51], s[4:5], s10, v6, v[10:11]
	v_add3_u32 v37, v8, v37, v7
	v_add3_u32 v51, v8, v51, v7
	v_lshl_add_u64 v[6:7], v[4:5], 0, 7
	v_mul_lo_u32 v8, s11, v6
	v_mul_lo_u32 v9, s10, v7
	v_mad_u64_u32 v[6:7], s[4:5], s10, v6, 0
	v_add3_u32 v7, v7, v9, v8
	v_lshl_add_u64 v[8:9], v[4:5], 0, 6
	v_mul_lo_u32 v10, s11, v8
	v_mul_lo_u32 v11, s10, v9
	v_mad_u64_u32 v[8:9], s[4:5], s10, v8, 0
	;; [unrolled: 5-line block ×5, first 2 shown]
	v_add3_u32 v15, v15, v17, v16
	v_lshl_add_u64 v[16:17], v[4:5], 0, 2
	v_mul_lo_u32 v52, s10, v5
	v_mul_lo_u32 v5, s11, v16
	;; [unrolled: 1-line block ×3, first 2 shown]
	v_mad_u64_u32 v[16:17], s[4:5], s10, v16, 0
	v_add3_u32 v17, v17, v18, v5
	v_mov_b64_e32 v[18:19], s[10:11]
	v_mul_lo_u32 v3, s11, v4
	v_mad_u64_u32 v[18:19], s[4:5], s10, v4, v[18:19]
	v_mad_u64_u32 v[4:5], s[4:5], s10, v4, 0
	s_load_dword s3, s[0:1], 0x44
	v_add3_u32 v5, v5, v52, v3
	v_lshlrev_b64 v[4:5], 2, v[4:5]
	v_lshl_add_u64 v[54:55], s[12:13], 0, v[4:5]
	v_lshl_add_u64 v[56:57], s[14:15], 0, v[4:5]
	v_lshlrev_b64 v[4:5], 2, v[6:7]
	v_lshl_add_u64 v[58:59], s[12:13], 0, v[4:5]
	v_lshl_add_u64 v[60:61], s[14:15], 0, v[4:5]
	v_lshlrev_b64 v[4:5], 2, v[8:9]
	s_add_u32 s4, s0, 64
	v_lshl_add_u64 v[62:63], s[12:13], 0, v[4:5]
	v_lshl_add_u64 v[64:65], s[14:15], 0, v[4:5]
	v_lshlrev_b64 v[4:5], 2, v[10:11]
	s_addc_u32 s5, s1, 0
	s_waitcnt lgkmcnt(0)
	s_lshl_b32 s3, s3, 7
	v_lshl_add_u64 v[66:67], s[12:13], 0, v[4:5]
	v_lshl_add_u64 v[68:69], s[14:15], 0, v[4:5]
	v_lshlrev_b64 v[4:5], 2, v[12:13]
	s_mul_i32 s6, s11, s3
	s_mul_hi_u32 s7, s10, s3
	v_lshl_add_u64 v[70:71], s[12:13], 0, v[4:5]
	v_lshl_add_u64 v[72:73], s[14:15], 0, v[4:5]
	v_lshlrev_b64 v[4:5], 2, v[14:15]
	v_add3_u32 v19, v3, v19, v52
	s_add_i32 s7, s7, s6
	s_mul_i32 s6, s10, s3
	v_lshl_add_u64 v[74:75], s[12:13], 0, v[4:5]
	v_lshl_add_u64 v[76:77], s[14:15], 0, v[4:5]
	v_lshlrev_b64 v[4:5], 2, v[16:17]
	v_mbcnt_lo_u32_b32 v3, -1, 0
	v_and_b32_e32 v1, 0x3ff, v0
	s_lshl_b64 s[6:7], s[6:7], 2
	v_lshl_add_u64 v[78:79], s[12:13], 0, v[4:5]
	v_lshl_add_u64 v[80:81], s[14:15], 0, v[4:5]
	v_lshlrev_b64 v[4:5], 2, v[18:19]
	v_mbcnt_hi_u32_b32 v3, -1, v3
	v_add_u32_e32 v20, s33, v1
	v_mov_b32_e32 v21, v2
	s_add_u32 s22, s20, 0x7f
	v_lshl_add_u64 v[82:83], s[12:13], 0, v[4:5]
	v_lshl_add_u64 v[84:85], s[14:15], 0, v[4:5]
	s_movk_i32 s12, 0xff81
	s_movk_i32 s14, 0xff82
	s_movk_i32 s24, 0xff83
	s_movk_i32 s26, 0xff84
	s_movk_i32 s28, 0xff85
	s_movk_i32 s30, 0xff86
	s_movk_i32 s34, 0xff87
	s_movk_i32 s36, 0xff88
	v_lshlrev_b32_e32 v3, 2, v3
	v_lshlrev_b64 v[52:53], 2, v[20:21]
	s_addc_u32 s23, 0, 0
	s_mov_b32 s13, -1
	s_mov_b32 s15, -1
	;; [unrolled: 1-line block ×8, first 2 shown]
	v_and_b32_e32 v89, 0x100, v3
	v_mov_b32_e32 v20, 0
	s_branch .LBB57_55
.LBB57_52:                              ;   in Loop: Header=BB57_55 Depth=1
	s_or_b64 exec, exec, s[40:41]
.LBB57_53:                              ;   in Loop: Header=BB57_55 Depth=1
	s_or_b64 exec, exec, s[38:39]
	v_lshl_add_u64 v[4:5], v[54:55], 0, v[52:53]
	v_lshl_add_u64 v[8:9], v[56:57], 0, v[52:53]
	global_load_dword v5, v[4:5], off
	v_lshl_add_u64 v[10:11], v[40:41], 0, v[52:53]
	global_load_dword v4, v[8:9], off
	;; [unrolled: 2-line block ×5, first 2 shown]
	s_waitcnt vmcnt(6)
	ds_bpermute_b32 v90, v89, v3
	global_load_dword v8, v[10:11], off
	v_lshl_add_u64 v[10:11], v[28:29], 0, v[52:53]
	global_load_dword v13, v[10:11], off
	v_lshl_add_u64 v[10:11], v[42:43], 0, v[52:53]
	;; [unrolled: 2-line block ×10, first 2 shown]
	global_load_dword v11, v[10:11], off
	ds_bpermute_b32 v92, v89, v3 offset:4
	s_waitcnt vmcnt(16)
	ds_bpermute_b32 v10, v89, v6
	ds_bpermute_b32 v94, v89, v3 offset:8
	ds_bpermute_b32 v91, v89, v6 offset:4
	ds_bpermute_b32 v96, v89, v3 offset:12
	ds_bpermute_b32 v93, v89, v6 offset:8
	ds_bpermute_b32 v98, v89, v3 offset:16
	ds_bpermute_b32 v95, v89, v6 offset:12
	ds_bpermute_b32 v100, v89, v3 offset:20
	ds_bpermute_b32 v97, v89, v6 offset:16
	ds_bpermute_b32 v99, v89, v6 offset:20
	ds_bpermute_b32 v101, v89, v6 offset:24
	ds_bpermute_b32 v102, v89, v3 offset:24
	ds_bpermute_b32 v103, v89, v6 offset:28
	ds_bpermute_b32 v3, v89, v3 offset:28
	s_waitcnt vmcnt(14) lgkmcnt(14)
	v_sub_f32_e32 v4, v4, v90
	v_mul_f32_e32 v4, v5, v4
	s_waitcnt lgkmcnt(13)
	v_mul_f32_e32 v4, v4, v10
	v_pk_add_f32 v[4:5], v[20:21], v[4:5]
	s_waitcnt vmcnt(12)
	v_sub_f32_e32 v6, v12, v92
	v_mul_f32_e32 v6, v7, v6
	s_waitcnt lgkmcnt(11)
	v_mul_f32_e32 v6, v6, v91
	v_pk_add_f32 v[4:5], v[4:5], v[6:7]
	s_waitcnt vmcnt(10)
	;; [unrolled: 6-line block ×3, first 2 shown]
	v_sub_f32_e32 v12, v14, v96
	v_mul_f32_e32 v12, v13, v12
	s_waitcnt vmcnt(7) lgkmcnt(8)
	v_sub_f32_e32 v14, v16, v98
	s_waitcnt lgkmcnt(7)
	v_mul_f32_e32 v12, v12, v95
	s_waitcnt vmcnt(6) lgkmcnt(6)
	v_sub_f32_e32 v16, v18, v100
	v_pk_add_f32 v[4:5], v[4:5], v[12:13]
	s_waitcnt vmcnt(5) lgkmcnt(2)
	v_sub_f32_e32 v18, v86, v102
	s_waitcnt vmcnt(4) lgkmcnt(0)
	v_sub_f32_e32 v3, v87, v3
	s_waitcnt vmcnt(3)
	v_mul_f32_e32 v14, v15, v14
	v_mul_f32_e32 v14, v14, v97
	s_waitcnt vmcnt(2)
	v_mul_f32_e32 v16, v17, v16
	v_mul_f32_e32 v16, v16, v99
	s_waitcnt vmcnt(1)
	v_mul_f32_e32 v18, v19, v18
	v_pk_add_f32 v[4:5], v[4:5], v[14:15]
	s_waitcnt vmcnt(0)
	v_mul_f32_e32 v3, v11, v3
	v_mul_f32_e32 v18, v18, v101
	v_pk_add_f32 v[4:5], v[4:5], v[16:17]
	v_mul_f32_e32 v10, v3, v103
	v_pk_add_f32 v[4:5], v[4:5], v[18:19]
.LBB57_54:                              ;   in Loop: Header=BB57_55 Depth=1
	s_add_u32 s20, s20, s3
	v_pk_add_f32 v[20:21], v[4:5], v[10:11]
	s_addc_u32 s21, s21, 0
	v_mov_b64_e32 v[4:5], s[8:9]
	s_add_u32 s22, s22, s3
	v_cmp_ge_i64_e32 vcc, s[20:21], v[4:5]
	v_lshl_add_u64 v[54:55], v[54:55], 0, s[6:7]
	v_lshl_add_u64 v[56:57], v[56:57], 0, s[6:7]
	s_addc_u32 s23, s23, 0
	v_lshl_add_u64 v[24:25], v[24:25], 0, s[6:7]
	v_lshl_add_u64 v[26:27], v[26:27], 0, s[6:7]
	v_lshl_add_u64 v[28:29], v[28:29], 0, s[6:7]
	v_lshl_add_u64 v[30:31], v[30:31], 0, s[6:7]
	v_lshl_add_u64 v[32:33], v[32:33], 0, s[6:7]
	v_lshl_add_u64 v[34:35], v[34:35], 0, s[6:7]
	v_lshl_add_u64 v[36:37], v[36:37], 0, s[6:7]
	v_lshl_add_u64 v[38:39], v[38:39], 0, s[6:7]
	v_lshl_add_u64 v[40:41], v[40:41], 0, s[6:7]
	v_lshl_add_u64 v[42:43], v[42:43], 0, s[6:7]
	v_lshl_add_u64 v[44:45], v[44:45], 0, s[6:7]
	v_lshl_add_u64 v[46:47], v[46:47], 0, s[6:7]
	v_lshl_add_u64 v[48:49], v[48:49], 0, s[6:7]
	v_lshl_add_u64 v[50:51], v[50:51], 0, s[6:7]
	v_lshl_add_u64 v[58:59], v[58:59], 0, s[6:7]
	v_lshl_add_u64 v[60:61], v[60:61], 0, s[6:7]
	v_lshl_add_u64 v[62:63], v[62:63], 0, s[6:7]
	v_lshl_add_u64 v[64:65], v[64:65], 0, s[6:7]
	v_lshl_add_u64 v[66:67], v[66:67], 0, s[6:7]
	v_lshl_add_u64 v[68:69], v[68:69], 0, s[6:7]
	v_lshl_add_u64 v[70:71], v[70:71], 0, s[6:7]
	v_lshl_add_u64 v[72:73], v[72:73], 0, s[6:7]
	v_lshl_add_u64 v[74:75], v[74:75], 0, s[6:7]
	v_lshl_add_u64 v[76:77], v[76:77], 0, s[6:7]
	v_lshl_add_u64 v[78:79], v[78:79], 0, s[6:7]
	v_lshl_add_u64 v[80:81], v[80:81], 0, s[6:7]
	v_lshl_add_u64 v[82:83], v[82:83], 0, s[6:7]
	v_lshl_add_u64 v[84:85], v[84:85], 0, s[6:7]
	s_cbranch_vccnz .LBB57_81
.LBB57_55:                              ; =>This Inner Loop Header: Depth=1
	v_mov_b64_e32 v[4:5], s[8:9]
	v_cmp_ge_i64_e32 vcc, s[22:23], v[4:5]
	v_lshl_add_u64 v[86:87], v[22:23], 0, s[22:23]
	s_mov_b64 s[38:39], -1
                                        ; implicit-def: $vgpr4_vgpr5
                                        ; implicit-def: $vgpr10_vgpr11
	s_cbranch_vccz .LBB57_77
; %bb.56:                               ;   in Loop: Header=BB57_55 Depth=1
	s_load_dword s33, s[4:5], 0xc
	v_mov_b32_e32 v90, 0
	v_mov_b32_e32 v91, 0
	s_waitcnt lgkmcnt(0)
	s_and_b32 s33, s33, 0xffff
	v_mad_u32_u24 v3, v88, s33, v1
	v_and_b32_e32 v4, 63, v3
	v_cmp_gt_u32_e32 vcc, 8, v4
	s_and_saveexec_b64 s[38:39], vcc
	s_cbranch_execz .LBB57_60
; %bb.57:                               ;   in Loop: Header=BB57_55 Depth=1
	v_mov_b32_e32 v5, v2
	v_lshl_add_u64 v[4:5], v[86:87], 0, v[4:5]
	v_lshl_add_u64 v[4:5], v[4:5], 0, s[12:13]
	v_cmp_gt_i64_e32 vcc, s[8:9], v[4:5]
	v_mov_b32_e32 v91, 0
	v_mov_b32_e32 v90, 0
	s_and_saveexec_b64 s[40:41], vcc
	s_cbranch_execz .LBB57_59
; %bb.58:                               ;   in Loop: Header=BB57_55 Depth=1
	v_lshlrev_b64 v[4:5], 2, v[4:5]
	v_lshl_add_u64 v[6:7], s[18:19], 0, v[4:5]
	v_lshl_add_u64 v[4:5], s[16:17], 0, v[4:5]
	global_load_dword v91, v[4:5], off
	global_load_dword v90, v[6:7], off
.LBB57_59:                              ;   in Loop: Header=BB57_55 Depth=1
	s_or_b64 exec, exec, s[40:41]
.LBB57_60:                              ;   in Loop: Header=BB57_55 Depth=1
	s_or_b64 exec, exec, s[38:39]
	v_lshl_add_u64 v[4:5], v[86:87], 0, s[12:13]
	v_mov_b32_e32 v8, v2
	v_mov_b32_e32 v9, v2
	v_cmp_gt_i64_e32 vcc, s[8:9], v[4:5]
	v_mov_b32_e32 v3, v2
	v_mov_b32_e32 v4, v2
	v_mov_b32_e32 v5, v2
	v_mov_b32_e32 v6, v2
	v_mov_b32_e32 v7, v2
	v_mov_b64_e32 v[18:19], v[8:9]
	v_mov_b64_e32 v[16:17], v[6:7]
	;; [unrolled: 1-line block ×8, first 2 shown]
	s_and_saveexec_b64 s[38:39], vcc
	s_cbranch_execz .LBB57_62
; %bb.61:                               ;   in Loop: Header=BB57_55 Depth=1
	v_lshl_add_u64 v[4:5], v[54:55], 0, v[52:53]
	v_lshl_add_u64 v[6:7], v[56:57], 0, v[52:53]
	global_load_dword v4, v[4:5], off
	v_mov_b32_e32 v5, v2
	global_load_dword v12, v[6:7], off
	v_mov_b32_e32 v6, v2
	v_mov_b32_e32 v7, v2
	;; [unrolled: 1-line block ×13, first 2 shown]
.LBB57_62:                              ;   in Loop: Header=BB57_55 Depth=1
	s_or_b64 exec, exec, s[38:39]
	v_lshl_add_u64 v[92:93], v[86:87], 0, s[14:15]
	v_cmp_gt_i64_e32 vcc, s[8:9], v[92:93]
	s_and_saveexec_b64 s[38:39], vcc
	s_cbranch_execz .LBB57_64
; %bb.63:                               ;   in Loop: Header=BB57_55 Depth=1
	v_lshl_add_u64 v[92:93], v[82:83], 0, v[52:53]
	global_load_dword v5, v[92:93], off
	v_lshl_add_u64 v[92:93], v[84:85], 0, v[52:53]
	global_load_dword v13, v[92:93], off
.LBB57_64:                              ;   in Loop: Header=BB57_55 Depth=1
	s_or_b64 exec, exec, s[38:39]
	v_lshl_add_u64 v[92:93], v[86:87], 0, s[24:25]
	v_cmp_gt_i64_e32 vcc, s[8:9], v[92:93]
	s_and_saveexec_b64 s[38:39], vcc
	s_cbranch_execz .LBB57_66
; %bb.65:                               ;   in Loop: Header=BB57_55 Depth=1
	v_lshl_add_u64 v[92:93], v[78:79], 0, v[52:53]
	global_load_dword v6, v[92:93], off
	v_lshl_add_u64 v[92:93], v[80:81], 0, v[52:53]
	global_load_dword v14, v[92:93], off
.LBB57_66:                              ;   in Loop: Header=BB57_55 Depth=1
	;; [unrolled: 11-line block ×7, first 2 shown]
	s_or_b64 exec, exec, s[38:39]
	s_waitcnt vmcnt(1)
	ds_bpermute_b32 v3, v89, v91
	ds_bpermute_b32 v92, v89, v91 offset:4
	s_waitcnt vmcnt(0)
	ds_bpermute_b32 v93, v89, v90
	ds_bpermute_b32 v94, v89, v90 offset:4
	v_mov_b32_e32 v95, v7
	s_waitcnt lgkmcnt(3)
	v_sub_f32_e32 v3, v12, v3
	v_mul_f32_e32 v3, v4, v3
	s_waitcnt lgkmcnt(2)
	v_sub_f32_e32 v13, v13, v92
	s_waitcnt lgkmcnt(1)
	v_mul_f32_e32 v12, v3, v93
	ds_bpermute_b32 v3, v89, v91 offset:8
	v_mul_f32_e32 v13, v5, v13
	s_waitcnt lgkmcnt(1)
	v_mul_f32_e32 v92, v13, v94
	ds_bpermute_b32 v13, v89, v90 offset:8
	ds_bpermute_b32 v93, v89, v91 offset:12
	;; [unrolled: 1-line block ×3, first 2 shown]
	s_waitcnt lgkmcnt(3)
	v_sub_f32_e32 v3, v14, v3
	v_mul_f32_e32 v3, v6, v3
	s_waitcnt lgkmcnt(2)
	v_mul_f32_e32 v14, v3, v13
	s_waitcnt lgkmcnt(1)
	v_sub_f32_e32 v3, v15, v93
	ds_bpermute_b32 v13, v89, v91 offset:16
	v_mul_f32_e32 v3, v7, v3
	s_waitcnt lgkmcnt(1)
	v_mul_f32_e32 v94, v3, v94
	ds_bpermute_b32 v3, v89, v90 offset:16
	ds_bpermute_b32 v15, v89, v91 offset:20
	;; [unrolled: 1-line block ×3, first 2 shown]
	s_waitcnt lgkmcnt(3)
	v_sub_f32_e32 v13, v16, v13
	v_mul_f32_e32 v13, v8, v13
	s_waitcnt lgkmcnt(2)
	v_mul_f32_e32 v16, v13, v3
	s_waitcnt lgkmcnt(1)
	v_sub_f32_e32 v3, v17, v15
	v_mul_f32_e32 v3, v9, v3
	s_waitcnt lgkmcnt(0)
	v_mul_f32_e32 v96, v3, v93
	ds_bpermute_b32 v3, v89, v91 offset:24
	v_mov_b32_e32 v15, v6
	ds_bpermute_b32 v6, v89, v90 offset:24
	v_mov_b32_e32 v13, v4
	v_pk_add_f32 v[12:13], v[20:21], v[12:13]
	v_mov_b32_e32 v93, v5
	v_pk_add_f32 v[4:5], v[92:93], v[12:13]
	v_mov_b32_e32 v17, v8
	s_waitcnt lgkmcnt(1)
	v_sub_f32_e32 v3, v18, v3
	ds_bpermute_b32 v8, v89, v91 offset:28
	v_pk_add_f32 v[4:5], v[14:15], v[4:5]
	v_mul_f32_e32 v3, v10, v3
	v_pk_add_f32 v[4:5], v[94:95], v[4:5]
	s_waitcnt lgkmcnt(1)
	v_mul_f32_e32 v6, v3, v6
	ds_bpermute_b32 v3, v89, v90 offset:28
	v_pk_add_f32 v[4:5], v[16:17], v[4:5]
	v_mov_b32_e32 v97, v9
	v_pk_add_f32 v[4:5], v[96:97], v[4:5]
	v_mov_b32_e32 v7, v10
	v_pk_add_f32 v[4:5], v[6:7], v[4:5]
	s_waitcnt lgkmcnt(1)
	v_sub_f32_e32 v6, v19, v8
	v_mul_f32_e32 v6, v11, v6
	s_waitcnt lgkmcnt(0)
	v_mul_f32_e32 v10, v6, v3
	s_mov_b64 s[38:39], 0
.LBB57_77:                              ;   in Loop: Header=BB57_55 Depth=1
	s_and_b64 vcc, exec, s[38:39]
	s_cbranch_vccz .LBB57_54
; %bb.78:                               ;   in Loop: Header=BB57_55 Depth=1
	s_load_dword s33, s[4:5], 0x0
	v_mov_b32_e32 v6, 0
	s_waitcnt lgkmcnt(0)
	s_cmp_lt_u32 s2, s33
	s_cselect_b32 s33, 12, 18
	s_add_u32 s38, s4, s33
	s_addc_u32 s39, s5, 0
	global_load_ushort v3, v2, s[38:39]
	s_waitcnt vmcnt(0)
	v_mad_u32_u24 v3, v88, v3, v1
	v_and_b32_e32 v4, 63, v3
	v_cmp_gt_u32_e32 vcc, 8, v4
	v_mov_b32_e32 v3, 0
	s_and_saveexec_b64 s[38:39], vcc
	s_cbranch_execz .LBB57_53
; %bb.79:                               ;   in Loop: Header=BB57_55 Depth=1
	v_mov_b32_e32 v5, v2
	v_lshl_add_u64 v[4:5], v[86:87], 0, v[4:5]
	v_lshl_add_u64 v[4:5], v[4:5], 0, s[12:13]
	v_cmp_gt_i64_e32 vcc, s[8:9], v[4:5]
	v_mov_b32_e32 v3, 0
	v_mov_b32_e32 v6, 0
	s_and_saveexec_b64 s[40:41], vcc
	s_cbranch_execz .LBB57_52
; %bb.80:                               ;   in Loop: Header=BB57_55 Depth=1
	v_lshlrev_b64 v[4:5], 2, v[4:5]
	v_lshl_add_u64 v[6:7], s[18:19], 0, v[4:5]
	v_lshl_add_u64 v[4:5], s[16:17], 0, v[4:5]
	global_load_dword v3, v[4:5], off
	s_nop 0
	global_load_dword v6, v[6:7], off
	s_branch .LBB57_52
.LBB57_81:
	v_and_b32_e32 v1, 0x3ff, v0
	v_bfe_u32 v2, v0, 10, 10
	s_movk_i32 s3, 0x41
	v_bfe_u32 v0, v0, 6, 4
	v_mad_u32_u24 v3, v2, s3, v1
	v_add_u32_e32 v0, v0, v2
	v_lshl_add_u32 v3, v3, 2, 0
	v_cmp_gt_u32_e32 vcc, 64, v0
	ds_write_b32 v3, v20
	ds_write_b32 v3, v21 offset:4160
	s_waitcnt lgkmcnt(0)
	s_barrier
	s_and_saveexec_b64 s[4:5], vcc
	s_cbranch_execz .LBB57_113
; %bb.82:
	s_load_dwordx4 s[12:15], s[0:1], 0x30
	v_and_b32_e32 v2, 63, v1
	v_cmp_lt_u32_e64 s[4:5], 15, v2
	v_cmp_gt_u32_e64 s[0:1], 16, v2
	v_mul_u32_u24_e32 v6, 0x41, v2
                                        ; implicit-def: $vgpr2
	s_and_saveexec_b64 s[6:7], s[0:1]
	s_cbranch_execz .LBB57_84
; %bb.83:
	v_add_u32_e32 v2, v0, v6
	v_lshl_add_u32 v2, v2, 2, 0
	ds_read_b32 v3, v2
	ds_read_b32 v2, v2 offset:4160
.LBB57_84:
	s_or_b64 exec, exec, s[6:7]
	v_mbcnt_lo_u32_b32 v4, -1, 0
	v_mbcnt_hi_u32_b32 v10, -1, v4
	v_and_b32_e32 v4, 64, v10
	v_add_u32_e32 v11, 64, v4
	v_xor_b32_e32 v4, 8, v10
	v_cmp_lt_i32_e32 vcc, v4, v11
	v_xor_b32_e32 v8, 4, v10
	v_xor_b32_e32 v9, 2, v10
	v_cndmask_b32_e32 v4, v10, v4, vcc
	v_lshlrev_b32_e32 v7, 2, v4
	s_waitcnt lgkmcnt(0)
	ds_bpermute_b32 v5, v7, v3
	ds_bpermute_b32 v4, v7, v2
	v_cmp_lt_i32_e32 vcc, v8, v11
	s_mov_b32 s3, 0
	s_lshl_b64 s[6:7], s[2:3], 6
	v_cndmask_b32_e32 v8, v10, v8, vcc
	v_lshlrev_b32_e32 v8, 2, v8
	s_waitcnt lgkmcnt(0)
	v_pk_add_f32 v[2:3], v[2:3], v[4:5]
	ds_bpermute_b32 v5, v8, v3
	ds_bpermute_b32 v4, v8, v2
	v_cmp_lt_i32_e32 vcc, v9, v11
	v_cmp_eq_u32_e64 s[2:3], 0, v1
	v_xor_b32_e32 v1, 1, v10
	v_cndmask_b32_e32 v9, v10, v9, vcc
	v_lshlrev_b32_e32 v9, 2, v9
	s_waitcnt lgkmcnt(0)
	v_pk_add_f32 v[2:3], v[2:3], v[4:5]
	ds_bpermute_b32 v5, v9, v3
	ds_bpermute_b32 v4, v9, v2
	v_cmp_lt_i32_e32 vcc, v1, v11
	s_cmp_lg_u64 s[12:13], 0
	s_cselect_b64 s[16:17], -1, 0
	v_cndmask_b32_e32 v1, v10, v1, vcc
	s_waitcnt lgkmcnt(0)
	v_pk_add_f32 v[2:3], v[2:3], v[4:5]
	v_lshlrev_b32_e32 v10, 2, v1
	ds_bpermute_b32 v5, v10, v3
	ds_bpermute_b32 v4, v10, v2
	s_cmp_lg_u64 s[14:15], 0
	s_cselect_b64 s[8:9], -1, 0
	v_mov_b32_e32 v1, 0
	s_waitcnt lgkmcnt(0)
	v_pk_add_f32 v[2:3], v[2:3], v[4:5]
	v_or_b32_e32 v4, s6, v0
	v_mov_b32_e32 v5, s7
	v_cmp_gt_i64_e32 vcc, s[10:11], v[4:5]
	s_and_b64 s[20:21], s[2:3], vcc
	s_and_saveexec_b64 s[18:19], s[20:21]
	s_cbranch_execz .LBB57_89
; %bb.85:
	s_andn2_b64 vcc, exec, s[16:17]
	s_cbranch_vccnz .LBB57_87
; %bb.86:
	v_lshl_add_u64 v[12:13], v[4:5], 2, s[12:13]
	global_store_dword v[12:13], v3, off
.LBB57_87:
	s_andn2_b64 vcc, exec, s[8:9]
	s_cbranch_vccnz .LBB57_89
; %bb.88:
	v_lshl_add_u64 v[4:5], v[4:5], 2, s[14:15]
	global_store_dword v[4:5], v2, off
.LBB57_89:
	s_or_b64 exec, exec, s[18:19]
	v_cmp_gt_u32_e32 vcc, 48, v0
	s_and_b64 exec, exec, vcc
	s_cbranch_execz .LBB57_113
; %bb.90:
	s_and_saveexec_b64 s[18:19], s[4:5]
	s_xor_b64 s[18:19], exec, s[18:19]
	s_andn2_saveexec_b64 s[18:19], s[18:19]
	s_cbranch_execz .LBB57_92
; %bb.91:
	v_add_u32_e32 v2, v0, v6
	v_lshl_add_u32 v2, v2, 2, 0
	ds_read_b32 v3, v2 offset:64
	ds_read_b32 v2, v2 offset:4224
.LBB57_92:
	s_or_b64 exec, exec, s[18:19]
	s_waitcnt lgkmcnt(1)
	ds_bpermute_b32 v5, v7, v3
	s_waitcnt lgkmcnt(1)
	ds_bpermute_b32 v4, v7, v2
	v_add_u32_e32 v12, 16, v0
	v_mov_b32_e32 v13, 0
	v_lshl_add_u64 v[12:13], s[6:7], 0, v[12:13]
	v_cmp_gt_i64_e32 vcc, s[10:11], v[12:13]
	s_waitcnt lgkmcnt(0)
	v_pk_add_f32 v[2:3], v[2:3], v[4:5]
	ds_bpermute_b32 v5, v8, v3
	ds_bpermute_b32 v4, v8, v2
	s_and_b64 s[20:21], s[2:3], vcc
	s_waitcnt lgkmcnt(0)
	v_pk_add_f32 v[2:3], v[2:3], v[4:5]
	ds_bpermute_b32 v5, v9, v3
	ds_bpermute_b32 v4, v9, v2
	s_waitcnt lgkmcnt(0)
	v_pk_add_f32 v[2:3], v[2:3], v[4:5]
	ds_bpermute_b32 v5, v10, v3
	ds_bpermute_b32 v4, v10, v2
	s_waitcnt lgkmcnt(0)
	v_pk_add_f32 v[2:3], v[2:3], v[4:5]
	s_and_saveexec_b64 s[18:19], s[20:21]
	s_cbranch_execz .LBB57_97
; %bb.93:
	s_andn2_b64 vcc, exec, s[16:17]
	s_cbranch_vccnz .LBB57_95
; %bb.94:
	v_lshl_add_u64 v[4:5], s[6:7], 0, v[0:1]
	v_lshl_add_u64 v[4:5], v[4:5], 2, s[12:13]
	global_store_dword v[4:5], v3, off offset:64
.LBB57_95:
	s_andn2_b64 vcc, exec, s[8:9]
	s_cbranch_vccnz .LBB57_97
; %bb.96:
	v_lshl_add_u64 v[4:5], s[6:7], 0, v[0:1]
	v_lshl_add_u64 v[4:5], v[4:5], 2, s[14:15]
	global_store_dword v[4:5], v2, off offset:64
.LBB57_97:
	s_or_b64 exec, exec, s[18:19]
	v_cmp_gt_u32_e32 vcc, 32, v0
	s_and_b64 exec, exec, vcc
	s_cbranch_execz .LBB57_113
; %bb.98:
	s_and_saveexec_b64 s[18:19], s[4:5]
	s_xor_b64 s[4:5], exec, s[18:19]
	s_andn2_saveexec_b64 s[4:5], s[4:5]
	s_cbranch_execz .LBB57_100
; %bb.99:
	v_add_u32_e32 v2, v0, v6
	v_lshl_add_u32 v2, v2, 2, 0
	ds_read_b32 v3, v2 offset:128
	ds_read_b32 v2, v2 offset:4288
.LBB57_100:
	s_or_b64 exec, exec, s[4:5]
	s_waitcnt lgkmcnt(1)
	ds_bpermute_b32 v5, v7, v3
	s_waitcnt lgkmcnt(1)
	ds_bpermute_b32 v4, v7, v2
	v_add_u32_e32 v11, 32, v0
	v_mov_b32_e32 v13, s7
	v_or_b32_e32 v12, s6, v11
	v_cmp_gt_i64_e32 vcc, s[10:11], v[12:13]
	s_waitcnt lgkmcnt(0)
	v_pk_add_f32 v[2:3], v[2:3], v[4:5]
	ds_bpermute_b32 v5, v8, v3
	ds_bpermute_b32 v4, v8, v2
	s_and_b64 s[18:19], s[2:3], vcc
	s_waitcnt lgkmcnt(0)
	v_pk_add_f32 v[2:3], v[2:3], v[4:5]
	ds_bpermute_b32 v5, v9, v3
	ds_bpermute_b32 v4, v9, v2
	s_waitcnt lgkmcnt(0)
	v_pk_add_f32 v[2:3], v[2:3], v[4:5]
	ds_bpermute_b32 v5, v10, v3
	ds_bpermute_b32 v4, v10, v2
	s_waitcnt lgkmcnt(0)
	v_pk_add_f32 v[2:3], v[2:3], v[4:5]
	s_and_saveexec_b64 s[4:5], s[18:19]
	s_cbranch_execz .LBB57_105
; %bb.101:
	s_andn2_b64 vcc, exec, s[16:17]
	s_cbranch_vccnz .LBB57_103
; %bb.102:
	v_lshl_add_u64 v[4:5], s[6:7], 0, v[0:1]
	v_lshl_add_u64 v[4:5], v[4:5], 2, s[12:13]
	global_store_dword v[4:5], v3, off offset:128
.LBB57_103:
	s_andn2_b64 vcc, exec, s[8:9]
	s_cbranch_vccnz .LBB57_105
; %bb.104:
	v_lshl_add_u64 v[4:5], s[6:7], 0, v[0:1]
	v_lshl_add_u64 v[4:5], v[4:5], 2, s[14:15]
	global_store_dword v[4:5], v2, off offset:128
.LBB57_105:
	s_or_b64 exec, exec, s[4:5]
	v_cmp_gt_u32_e32 vcc, 16, v0
	s_and_b64 exec, exec, vcc
	s_cbranch_execz .LBB57_113
; %bb.106:
	s_and_saveexec_b64 s[4:5], s[0:1]
	s_cbranch_execz .LBB57_108
; %bb.107:
	v_add_u32_e32 v2, v0, v6
	v_lshl_add_u32 v2, v2, 2, 0
	ds_read_b32 v3, v2 offset:192
	ds_read_b32 v2, v2 offset:4352
.LBB57_108:
	s_or_b64 exec, exec, s[4:5]
	s_waitcnt lgkmcnt(1)
	ds_bpermute_b32 v4, v7, v3
	s_waitcnt lgkmcnt(1)
	ds_bpermute_b32 v5, v7, v2
	v_add_u32_e32 v6, 48, v0
	v_or_b32_e32 v6, s6, v6
	v_mov_b32_e32 v7, s7
	s_waitcnt lgkmcnt(1)
	v_add_f32_e32 v3, v3, v4
	s_waitcnt lgkmcnt(0)
	v_add_f32_e32 v2, v2, v5
	ds_bpermute_b32 v4, v8, v3
	ds_bpermute_b32 v5, v8, v2
	v_cmp_gt_i64_e32 vcc, s[10:11], v[6:7]
	s_and_b64 s[0:1], s[2:3], vcc
	s_waitcnt lgkmcnt(1)
	v_add_f32_e32 v3, v3, v4
	s_waitcnt lgkmcnt(0)
	v_add_f32_e32 v2, v2, v5
	ds_bpermute_b32 v4, v9, v3
	ds_bpermute_b32 v5, v9, v2
	s_waitcnt lgkmcnt(1)
	v_add_f32_e32 v4, v3, v4
	s_waitcnt lgkmcnt(0)
	v_add_f32_e32 v2, v2, v5
	ds_bpermute_b32 v5, v10, v4
	ds_bpermute_b32 v3, v10, v2
	s_and_b64 exec, exec, s[0:1]
	s_cbranch_execz .LBB57_113
; %bb.109:
	s_andn2_b64 vcc, exec, s[16:17]
	v_lshl_add_u64 v[0:1], s[6:7], 0, v[0:1]
	s_cbranch_vccnz .LBB57_111
; %bb.110:
	s_waitcnt lgkmcnt(1)
	v_add_f32_e32 v6, v4, v5
	v_lshl_add_u64 v[4:5], v[0:1], 2, s[12:13]
	global_store_dword v[4:5], v6, off offset:192
.LBB57_111:
	s_andn2_b64 vcc, exec, s[8:9]
	s_cbranch_vccnz .LBB57_113
; %bb.112:
	s_waitcnt lgkmcnt(0)
	v_add_f32_e32 v2, v2, v3
	v_lshl_add_u64 v[0:1], v[0:1], 2, s[14:15]
	global_store_dword v[0:1], v2, off offset:192
.LBB57_113:
	s_endpgm
	.section	.rodata,"a",@progbits
	.p2align	6, 0x0
	.amdhsa_kernel _ZN2at6native12_GLOBAL__N_135GammaBetaBackwardCUDAKernelTemplateIffLj64ELj16ELj128ELb0ELb0ELb0EEEvllPKT_S5_PKT0_S8_PS3_S9_
		.amdhsa_group_segment_fixed_size 0
		.amdhsa_private_segment_fixed_size 0
		.amdhsa_kernarg_size 320
		.amdhsa_user_sgpr_count 2
		.amdhsa_user_sgpr_dispatch_ptr 0
		.amdhsa_user_sgpr_queue_ptr 0
		.amdhsa_user_sgpr_kernarg_segment_ptr 1
		.amdhsa_user_sgpr_dispatch_id 0
		.amdhsa_user_sgpr_kernarg_preload_length 0
		.amdhsa_user_sgpr_kernarg_preload_offset 0
		.amdhsa_user_sgpr_private_segment_size 0
		.amdhsa_uses_dynamic_stack 0
		.amdhsa_enable_private_segment 0
		.amdhsa_system_sgpr_workgroup_id_x 1
		.amdhsa_system_sgpr_workgroup_id_y 1
		.amdhsa_system_sgpr_workgroup_id_z 0
		.amdhsa_system_sgpr_workgroup_info 0
		.amdhsa_system_vgpr_workitem_id 1
		.amdhsa_next_free_vgpr 104
		.amdhsa_next_free_sgpr 52
		.amdhsa_accum_offset 104
		.amdhsa_reserve_vcc 1
		.amdhsa_float_round_mode_32 0
		.amdhsa_float_round_mode_16_64 0
		.amdhsa_float_denorm_mode_32 3
		.amdhsa_float_denorm_mode_16_64 3
		.amdhsa_dx10_clamp 1
		.amdhsa_ieee_mode 1
		.amdhsa_fp16_overflow 0
		.amdhsa_tg_split 0
		.amdhsa_exception_fp_ieee_invalid_op 0
		.amdhsa_exception_fp_denorm_src 0
		.amdhsa_exception_fp_ieee_div_zero 0
		.amdhsa_exception_fp_ieee_overflow 0
		.amdhsa_exception_fp_ieee_underflow 0
		.amdhsa_exception_fp_ieee_inexact 0
		.amdhsa_exception_int_div_zero 0
	.end_amdhsa_kernel
	.section	.text._ZN2at6native12_GLOBAL__N_135GammaBetaBackwardCUDAKernelTemplateIffLj64ELj16ELj128ELb0ELb0ELb0EEEvllPKT_S5_PKT0_S8_PS3_S9_,"axG",@progbits,_ZN2at6native12_GLOBAL__N_135GammaBetaBackwardCUDAKernelTemplateIffLj64ELj16ELj128ELb0ELb0ELb0EEEvllPKT_S5_PKT0_S8_PS3_S9_,comdat
.Lfunc_end57:
	.size	_ZN2at6native12_GLOBAL__N_135GammaBetaBackwardCUDAKernelTemplateIffLj64ELj16ELj128ELb0ELb0ELb0EEEvllPKT_S5_PKT0_S8_PS3_S9_, .Lfunc_end57-_ZN2at6native12_GLOBAL__N_135GammaBetaBackwardCUDAKernelTemplateIffLj64ELj16ELj128ELb0ELb0ELb0EEEvllPKT_S5_PKT0_S8_PS3_S9_
                                        ; -- End function
	.set _ZN2at6native12_GLOBAL__N_135GammaBetaBackwardCUDAKernelTemplateIffLj64ELj16ELj128ELb0ELb0ELb0EEEvllPKT_S5_PKT0_S8_PS3_S9_.num_vgpr, 104
	.set _ZN2at6native12_GLOBAL__N_135GammaBetaBackwardCUDAKernelTemplateIffLj64ELj16ELj128ELb0ELb0ELb0EEEvllPKT_S5_PKT0_S8_PS3_S9_.num_agpr, 0
	.set _ZN2at6native12_GLOBAL__N_135GammaBetaBackwardCUDAKernelTemplateIffLj64ELj16ELj128ELb0ELb0ELb0EEEvllPKT_S5_PKT0_S8_PS3_S9_.numbered_sgpr, 52
	.set _ZN2at6native12_GLOBAL__N_135GammaBetaBackwardCUDAKernelTemplateIffLj64ELj16ELj128ELb0ELb0ELb0EEEvllPKT_S5_PKT0_S8_PS3_S9_.num_named_barrier, 0
	.set _ZN2at6native12_GLOBAL__N_135GammaBetaBackwardCUDAKernelTemplateIffLj64ELj16ELj128ELb0ELb0ELb0EEEvllPKT_S5_PKT0_S8_PS3_S9_.private_seg_size, 0
	.set _ZN2at6native12_GLOBAL__N_135GammaBetaBackwardCUDAKernelTemplateIffLj64ELj16ELj128ELb0ELb0ELb0EEEvllPKT_S5_PKT0_S8_PS3_S9_.uses_vcc, 1
	.set _ZN2at6native12_GLOBAL__N_135GammaBetaBackwardCUDAKernelTemplateIffLj64ELj16ELj128ELb0ELb0ELb0EEEvllPKT_S5_PKT0_S8_PS3_S9_.uses_flat_scratch, 0
	.set _ZN2at6native12_GLOBAL__N_135GammaBetaBackwardCUDAKernelTemplateIffLj64ELj16ELj128ELb0ELb0ELb0EEEvllPKT_S5_PKT0_S8_PS3_S9_.has_dyn_sized_stack, 0
	.set _ZN2at6native12_GLOBAL__N_135GammaBetaBackwardCUDAKernelTemplateIffLj64ELj16ELj128ELb0ELb0ELb0EEEvllPKT_S5_PKT0_S8_PS3_S9_.has_recursion, 0
	.set _ZN2at6native12_GLOBAL__N_135GammaBetaBackwardCUDAKernelTemplateIffLj64ELj16ELj128ELb0ELb0ELb0EEEvllPKT_S5_PKT0_S8_PS3_S9_.has_indirect_call, 0
	.section	.AMDGPU.csdata,"",@progbits
; Kernel info:
; codeLenInByte = 7812
; TotalNumSgprs: 58
; NumVgprs: 104
; NumAgprs: 0
; TotalNumVgprs: 104
; ScratchSize: 0
; MemoryBound: 0
; FloatMode: 240
; IeeeMode: 1
; LDSByteSize: 0 bytes/workgroup (compile time only)
; SGPRBlocks: 7
; VGPRBlocks: 12
; NumSGPRsForWavesPerEU: 58
; NumVGPRsForWavesPerEU: 104
; AccumOffset: 104
; Occupancy: 4
; WaveLimiterHint : 0
; COMPUTE_PGM_RSRC2:SCRATCH_EN: 0
; COMPUTE_PGM_RSRC2:USER_SGPR: 2
; COMPUTE_PGM_RSRC2:TRAP_HANDLER: 0
; COMPUTE_PGM_RSRC2:TGID_X_EN: 1
; COMPUTE_PGM_RSRC2:TGID_Y_EN: 1
; COMPUTE_PGM_RSRC2:TGID_Z_EN: 0
; COMPUTE_PGM_RSRC2:TIDIG_COMP_CNT: 1
; COMPUTE_PGM_RSRC3_GFX90A:ACCUM_OFFSET: 25
; COMPUTE_PGM_RSRC3_GFX90A:TG_SPLIT: 0
	.section	.text._ZN2at6native12_GLOBAL__N_135GammaBetaBackwardCUDAKernelTemplateIffLj64ELj16ELj256ELb0ELb1ELb0EEEvllPKT_S5_PKT0_S8_PS3_S9_,"axG",@progbits,_ZN2at6native12_GLOBAL__N_135GammaBetaBackwardCUDAKernelTemplateIffLj64ELj16ELj256ELb0ELb1ELb0EEEvllPKT_S5_PKT0_S8_PS3_S9_,comdat
	.globl	_ZN2at6native12_GLOBAL__N_135GammaBetaBackwardCUDAKernelTemplateIffLj64ELj16ELj256ELb0ELb1ELb0EEEvllPKT_S5_PKT0_S8_PS3_S9_ ; -- Begin function _ZN2at6native12_GLOBAL__N_135GammaBetaBackwardCUDAKernelTemplateIffLj64ELj16ELj256ELb0ELb1ELb0EEEvllPKT_S5_PKT0_S8_PS3_S9_
	.p2align	8
	.type	_ZN2at6native12_GLOBAL__N_135GammaBetaBackwardCUDAKernelTemplateIffLj64ELj16ELj256ELb0ELb1ELb0EEEvllPKT_S5_PKT0_S8_PS3_S9_,@function
_ZN2at6native12_GLOBAL__N_135GammaBetaBackwardCUDAKernelTemplateIffLj64ELj16ELj256ELb0ELb1ELb0EEEvllPKT_S5_PKT0_S8_PS3_S9_: ; @_ZN2at6native12_GLOBAL__N_135GammaBetaBackwardCUDAKernelTemplateIffLj64ELj16ELj256ELb0ELb1ELb0EEEvllPKT_S5_PKT0_S8_PS3_S9_
; %bb.0:
	s_load_dwordx4 s[16:19], s[0:1], 0x0
	s_lshl_b32 s20, s3, 8
	s_mov_b32 s21, 0
	v_mov_b64_e32 v[2:3], s[20:21]
	v_bfe_u32 v22, v0, 10, 10
	s_waitcnt lgkmcnt(0)
	v_cmp_gt_i64_e32 vcc, s[16:17], v[2:3]
	s_cbranch_vccnz .LBB58_2
; %bb.1:
	s_mov_b64 s[4:5], 0
	v_bfe_u32 v1, v0, 10, 10
	s_branch .LBB58_3
.LBB58_2:
	s_mov_b64 s[4:5], -1
                                        ; implicit-def: $vgpr1
.LBB58_3:
	s_load_dwordx4 s[12:15], s[0:1], 0x30
	v_mov_b32_e32 v9, 0
	v_and_b32_e32 v20, 0x3ff, v0
	s_andn2_b64 vcc, exec, s[4:5]
	v_mbcnt_lo_u32_b32 v21, -1, 0
	v_mov_b32_e32 v8, v9
	s_cbranch_vccnz .LBB58_11
; %bb.4:
	s_load_dword s3, s[0:1], 0x4c
	s_load_dword s22, s[0:1], 0x44
	s_load_dwordx8 s[4:11], s[0:1], 0x10
	v_lshlrev_b32_e32 v8, 4, v22
	v_mov_b32_e32 v9, 0
	s_waitcnt lgkmcnt(0)
	s_and_b32 s0, s3, 0xffff
	v_mad_u32_u24 v0, v22, s0, v20
	v_and_b32_e32 v0, 63, v0
	v_mov_b32_e32 v1, v9
	v_lshl_add_u64 v[6:7], v[8:9], 0, s[20:21]
	v_cmp_gt_u32_e64 s[0:1], 16, v0
	v_mbcnt_hi_u32_b32 v2, -1, v21
	s_lshl_b32 s22, s22, 8
	v_lshl_add_u64 v[0:1], v[6:7], 0, v[0:1]
	v_mul_lo_u32 v8, s19, v6
	v_mul_lo_u32 v10, s18, v7
	v_mad_u64_u32 v[6:7], s[26:27], s18, v6, 0
	v_lshl_add_u32 v4, s2, 6, v20
	v_mov_b32_e32 v5, v9
	v_lshlrev_b32_e32 v2, 2, v2
	s_mul_i32 s3, s19, s22
	s_mul_hi_u32 s26, s18, s22
	s_mov_b32 s23, 0
	v_and_b32_e32 v23, 0x100, v2
	v_add3_u32 v7, v7, v10, v8
	v_lshlrev_b64 v[4:5], 2, v[4:5]
	s_add_i32 s27, s26, s3
	s_mul_i32 s26, s18, s22
	v_or_b32_e32 v24, 4, v23
	v_or_b32_e32 v25, 8, v23
	;; [unrolled: 1-line block ×15, first 2 shown]
	v_lshlrev_b64 v[2:3], 2, v[0:1]
	s_lshl_b64 s[24:25], s[22:23], 2
	v_lshl_add_u64 v[4:5], v[6:7], 2, v[4:5]
	s_lshl_b64 s[26:27], s[26:27], 2
	s_lshl_b64 s[18:19], s[18:19], 2
	v_mov_b64_e32 v[6:7], s[16:17]
	v_mov_b32_e32 v8, v9
	s_branch .LBB58_7
.LBB58_5:                               ;   in Loop: Header=BB58_7 Depth=1
	s_or_b64 exec, exec, s[30:31]
.LBB58_6:                               ;   in Loop: Header=BB58_7 Depth=1
	s_or_b64 exec, exec, s[28:29]
	v_lshl_add_u64 v[10:11], s[6:7], 0, v[4:5]
	global_load_dword v14, v[10:11], off
	v_lshl_add_u64 v[12:13], s[4:5], 0, v[4:5]
	global_load_dword v43, v[12:13], off
	;; [unrolled: 2-line block ×4, first 2 shown]
	v_lshl_add_u64 v[10:11], v[10:11], 0, s[18:19]
	v_lshl_add_u64 v[12:13], v[12:13], 0, s[18:19]
	global_load_dword v18, v[10:11], off
	global_load_dword v19, v[12:13], off
	v_lshl_add_u64 v[10:11], v[10:11], 0, s[18:19]
	global_load_dword v41, v[10:11], off
	v_lshl_add_u64 v[12:13], v[12:13], 0, s[18:19]
	;; [unrolled: 2-line block ×5, first 2 shown]
	v_lshl_add_u64 v[12:13], v[12:13], 0, s[18:19]
	global_load_dword v10, v[46:47], off
	global_load_dword v11, v[12:13], off
	v_lshl_add_u64 v[46:47], v[46:47], 0, s[18:19]
	global_load_dword v52, v[46:47], off
	v_lshl_add_u64 v[48:49], v[12:13], 0, s[18:19]
	global_load_dword v13, v[48:49], off
	s_waitcnt vmcnt(15)
	ds_bpermute_b32 v42, v23, v40
	s_waitcnt vmcnt(14)
	ds_bpermute_b32 v12, v23, v39
	v_lshl_add_u64 v[48:49], v[48:49], 0, s[18:19]
	v_lshl_add_u64 v[46:47], v[46:47], 0, s[18:19]
	ds_bpermute_b32 v51, v24, v40
	ds_bpermute_b32 v44, v24, v39
	;; [unrolled: 1-line block ×9, first 2 shown]
	s_add_u32 s20, s20, s22
	s_addc_u32 s21, s21, 0
	v_cmp_lt_i64_e32 vcc, s[20:21], v[6:7]
	v_lshl_add_u64 v[2:3], v[2:3], 0, s[24:25]
	v_lshl_add_u64 v[0:1], v[0:1], 0, s[22:23]
	;; [unrolled: 1-line block ×3, first 2 shown]
	s_and_b64 vcc, exec, vcc
	s_waitcnt vmcnt(13) lgkmcnt(10)
	v_sub_f32_e32 v14, v14, v42
	s_waitcnt vmcnt(12)
	v_mul_f32_e32 v14, v43, v14
	s_waitcnt lgkmcnt(9)
	v_mul_f32_e32 v42, v14, v12
	v_pk_add_f32 v[42:43], v[8:9], v[42:43]
	global_load_dword v9, v[48:49], off
	global_load_dword v8, v[46:47], off
	s_waitcnt vmcnt(13) lgkmcnt(8)
	v_sub_f32_e32 v14, v16, v51
	s_waitcnt vmcnt(12)
	v_mul_f32_e32 v14, v45, v14
	v_lshl_add_u64 v[48:49], v[48:49], 0, s[18:19]
	s_waitcnt lgkmcnt(7)
	v_mul_f32_e32 v44, v14, v44
	v_lshl_add_u64 v[46:47], v[46:47], 0, s[18:19]
	s_waitcnt vmcnt(11) lgkmcnt(6)
	v_sub_f32_e32 v14, v18, v54
	global_load_dword v51, v[48:49], off
	global_load_dword v54, v[46:47], off
	v_lshl_add_u64 v[46:47], v[46:47], 0, s[18:19]
	v_pk_add_f32 v[42:43], v[42:43], v[44:45]
	global_load_dword v44, v[46:47], off
	v_lshl_add_u64 v[48:49], v[48:49], 0, s[18:19]
	s_waitcnt vmcnt(13)
	v_mul_f32_e32 v14, v19, v14
	global_load_dword v45, v[48:49], off
	v_lshl_add_u64 v[46:47], v[46:47], 0, s[18:19]
	s_waitcnt lgkmcnt(5)
	v_mul_f32_e32 v18, v14, v53
	s_waitcnt vmcnt(13) lgkmcnt(4)
	v_sub_f32_e32 v14, v41, v56
	v_lshl_add_u64 v[48:49], v[48:49], 0, s[18:19]
	global_load_dword v56, v[46:47], off
	global_load_dword v53, v[48:49], off
	v_lshl_add_u64 v[46:47], v[46:47], 0, s[18:19]
	ds_bpermute_b32 v12, v27, v39
	v_lshl_add_u64 v[48:49], v[48:49], 0, s[18:19]
	v_pk_add_f32 v[18:19], v[42:43], v[18:19]
	global_load_dword v42, v[46:47], off
	s_waitcnt vmcnt(15)
	v_mul_f32_e32 v14, v15, v14
	global_load_dword v43, v[48:49], off
	s_waitcnt lgkmcnt(4)
	v_mul_f32_e32 v14, v14, v55
	v_lshl_add_u64 v[48:49], v[48:49], 0, s[18:19]
	s_waitcnt vmcnt(15) lgkmcnt(3)
	v_sub_f32_e32 v16, v50, v57
	v_lshl_add_u64 v[46:47], v[46:47], 0, s[18:19]
	v_pk_add_f32 v[14:15], v[18:19], v[14:15]
	global_load_dword v19, v[48:49], off
	global_load_dword v18, v[46:47], off
	s_waitcnt vmcnt(16)
	v_mul_f32_e32 v16, v17, v16
	s_waitcnt lgkmcnt(0)
	v_mul_f32_e32 v16, v16, v12
	ds_bpermute_b32 v12, v29, v40
	v_lshl_add_u64 v[46:47], v[46:47], 0, s[18:19]
	v_pk_add_f32 v[14:15], v[14:15], v[16:17]
	global_load_dword v16, v[46:47], off
	ds_bpermute_b32 v41, v29, v39
	v_lshl_add_u64 v[48:49], v[48:49], 0, s[18:19]
	global_load_dword v17, v[48:49], off
	v_lshl_add_u64 v[46:47], v[46:47], 0, s[18:19]
	s_waitcnt vmcnt(17)
	v_sub_f32_e32 v10, v10, v59
	v_lshl_add_u64 v[48:49], v[48:49], 0, s[18:19]
	s_waitcnt vmcnt(15) lgkmcnt(1)
	v_sub_f32_e32 v12, v52, v12
	global_load_dword v57, v[46:47], off
	v_mul_f32_e32 v10, v11, v10
	s_waitcnt vmcnt(15)
	v_mul_f32_e32 v12, v13, v12
	global_load_dword v55, v[48:49], off
	v_lshl_add_u64 v[46:47], v[46:47], 0, s[18:19]
	v_mul_f32_e32 v10, v10, v58
	s_waitcnt lgkmcnt(0)
	v_mul_f32_e32 v12, v12, v41
	v_lshl_add_u64 v[48:49], v[48:49], 0, s[18:19]
	global_load_dword v58, v[46:47], off
	global_load_dword v41, v[48:49], off
	ds_bpermute_b32 v46, v30, v40
	ds_bpermute_b32 v47, v31, v39
	;; [unrolled: 1-line block ×3, first 2 shown]
	v_pk_add_f32 v[10:11], v[14:15], v[10:11]
	s_waitcnt vmcnt(16) lgkmcnt(2)
	v_sub_f32_e32 v8, v8, v46
	ds_bpermute_b32 v46, v30, v39
	v_mul_f32_e32 v8, v9, v8
	v_pk_add_f32 v[10:11], v[10:11], v[12:13]
	s_waitcnt lgkmcnt(0)
	v_mul_f32_e32 v8, v8, v46
	ds_bpermute_b32 v46, v31, v40
	v_pk_add_f32 v[8:9], v[10:11], v[8:9]
	ds_bpermute_b32 v10, v38, v40
	s_waitcnt vmcnt(13)
	v_sub_f32_e32 v44, v44, v48
	ds_bpermute_b32 v48, v33, v39
	s_waitcnt lgkmcnt(2)
	v_sub_f32_e32 v46, v54, v46
	v_mul_f32_e32 v46, v51, v46
	v_mul_f32_e32 v50, v46, v47
	ds_bpermute_b32 v46, v32, v39
	ds_bpermute_b32 v47, v33, v40
	s_waitcnt vmcnt(12)
	v_mul_f32_e32 v44, v45, v44
	v_pk_add_f32 v[8:9], v[8:9], v[50:51]
	ds_bpermute_b32 v11, v38, v39
	s_waitcnt lgkmcnt(2)
	v_mul_f32_e32 v44, v44, v46
	s_waitcnt vmcnt(11) lgkmcnt(1)
	v_sub_f32_e32 v46, v56, v47
	ds_bpermute_b32 v47, v34, v40
	s_waitcnt vmcnt(10)
	v_mul_f32_e32 v46, v53, v46
	v_mul_f32_e32 v52, v46, v48
	ds_bpermute_b32 v46, v34, v39
	ds_bpermute_b32 v48, v35, v40
	s_waitcnt vmcnt(9) lgkmcnt(2)
	v_sub_f32_e32 v42, v42, v47
	ds_bpermute_b32 v47, v35, v39
	s_waitcnt vmcnt(8)
	v_mul_f32_e32 v42, v43, v42
	s_waitcnt lgkmcnt(2)
	v_mul_f32_e32 v42, v42, v46
	ds_bpermute_b32 v46, v36, v40
	s_waitcnt vmcnt(6) lgkmcnt(2)
	v_sub_f32_e32 v18, v18, v48
	v_mul_f32_e32 v18, v19, v18
	s_waitcnt lgkmcnt(1)
	v_mul_f32_e32 v18, v18, v47
	ds_bpermute_b32 v47, v36, v39
	ds_bpermute_b32 v48, v37, v40
	v_pk_add_f32 v[8:9], v[8:9], v[44:45]
	s_waitcnt vmcnt(5) lgkmcnt(2)
	v_sub_f32_e32 v16, v16, v46
	ds_bpermute_b32 v46, v37, v39
	v_pk_add_f32 v[8:9], v[8:9], v[52:53]
	s_waitcnt vmcnt(4)
	v_mul_f32_e32 v16, v17, v16
	s_waitcnt lgkmcnt(2)
	v_mul_f32_e32 v16, v16, v47
	v_pk_add_f32 v[8:9], v[8:9], v[42:43]
	s_waitcnt vmcnt(3) lgkmcnt(1)
	v_sub_f32_e32 v47, v57, v48
	v_pk_add_f32 v[8:9], v[8:9], v[18:19]
	s_waitcnt vmcnt(2)
	v_mul_f32_e32 v47, v55, v47
	s_waitcnt lgkmcnt(0)
	v_mul_f32_e32 v54, v47, v46
	v_pk_add_f32 v[8:9], v[8:9], v[16:17]
	s_waitcnt vmcnt(1)
	v_sub_f32_e32 v10, v58, v10
	s_waitcnt vmcnt(0)
	v_mul_f32_e32 v10, v41, v10
	v_pk_add_f32 v[8:9], v[8:9], v[54:55]
	v_mul_f32_e32 v40, v10, v11
	v_pk_add_f32 v[8:9], v[8:9], v[40:41]
	s_cbranch_vccz .LBB58_10
.LBB58_7:                               ; =>This Inner Loop Header: Depth=1
	v_mov_b32_e32 v39, 0
	v_mov_b32_e32 v40, 0
	s_and_saveexec_b64 s[28:29], s[0:1]
	s_cbranch_execz .LBB58_6
; %bb.8:                                ;   in Loop: Header=BB58_7 Depth=1
	v_cmp_gt_i64_e32 vcc, s[16:17], v[0:1]
	v_mov_b32_e32 v40, 0
	v_mov_b32_e32 v39, 0
	s_and_saveexec_b64 s[30:31], vcc
	s_cbranch_execz .LBB58_5
; %bb.9:                                ;   in Loop: Header=BB58_7 Depth=1
	v_lshl_add_u64 v[12:13], s[8:9], 0, v[2:3]
	v_lshl_add_u64 v[10:11], s[10:11], 0, v[2:3]
	global_load_dword v40, v[12:13], off
	global_load_dword v39, v[10:11], off
	s_branch .LBB58_5
.LBB58_10:
	v_mov_b32_e32 v1, v22
.LBB58_11:
	s_movk_i32 s0, 0x41
	v_mad_u32_u24 v0, v1, s0, v20
	v_lshl_add_u32 v0, v0, 2, 0
	ds_write_b32 v0, v8
	ds_write_b32 v0, v9 offset:4160
	v_lshrrev_b32_e32 v0, 6, v20
	v_add_u32_e32 v0, v0, v1
	v_cmp_gt_u32_e32 vcc, 64, v0
	s_waitcnt lgkmcnt(0)
	s_barrier
	s_and_saveexec_b64 s[0:1], vcc
	s_cbranch_execz .LBB58_43
; %bb.12:
	v_and_b32_e32 v1, 63, v20
	v_cmp_lt_u32_e64 s[4:5], 15, v1
	v_cmp_gt_u32_e64 s[0:1], 16, v1
	v_mul_u32_u24_e32 v6, 0x41, v1
                                        ; implicit-def: $vgpr2
	s_and_saveexec_b64 s[6:7], s[0:1]
	s_cbranch_execz .LBB58_14
; %bb.13:
	v_add_u32_e32 v1, v0, v6
	v_lshl_add_u32 v1, v1, 2, 0
	ds_read_b32 v3, v1
	ds_read_b32 v2, v1 offset:4160
.LBB58_14:
	s_or_b64 exec, exec, s[6:7]
	v_mbcnt_hi_u32_b32 v1, -1, v21
	v_and_b32_e32 v4, 64, v1
	v_add_u32_e32 v10, 64, v4
	v_xor_b32_e32 v4, 8, v1
	v_cmp_lt_i32_e32 vcc, v4, v10
	v_xor_b32_e32 v8, 4, v1
	v_xor_b32_e32 v9, 2, v1
	v_cndmask_b32_e32 v4, v1, v4, vcc
	v_lshlrev_b32_e32 v7, 2, v4
	s_waitcnt lgkmcnt(1)
	ds_bpermute_b32 v5, v7, v3
	s_waitcnt lgkmcnt(1)
	ds_bpermute_b32 v4, v7, v2
	v_cmp_lt_i32_e32 vcc, v8, v10
	s_mov_b32 s3, 0
	s_lshl_b64 s[6:7], s[2:3], 6
	v_cndmask_b32_e32 v8, v1, v8, vcc
	v_lshlrev_b32_e32 v8, 2, v8
	s_waitcnt lgkmcnt(0)
	v_pk_add_f32 v[2:3], v[2:3], v[4:5]
	ds_bpermute_b32 v5, v8, v3
	ds_bpermute_b32 v4, v8, v2
	v_cmp_lt_i32_e32 vcc, v9, v10
	s_cmp_lg_u64 s[12:13], 0
	s_cselect_b64 s[10:11], -1, 0
	v_cndmask_b32_e32 v9, v1, v9, vcc
	v_lshlrev_b32_e32 v9, 2, v9
	s_waitcnt lgkmcnt(0)
	v_pk_add_f32 v[2:3], v[2:3], v[4:5]
	ds_bpermute_b32 v5, v9, v3
	ds_bpermute_b32 v4, v9, v2
	s_cmp_lg_u64 s[14:15], 0
	v_cmp_eq_u32_e64 s[2:3], 0, v20
	s_cselect_b64 s[8:9], -1, 0
	s_waitcnt lgkmcnt(0)
	v_pk_add_f32 v[2:3], v[2:3], v[4:5]
	v_xor_b32_e32 v4, 1, v1
	v_cmp_lt_i32_e32 vcc, v4, v10
	s_nop 1
	v_cndmask_b32_e32 v1, v1, v4, vcc
	v_lshlrev_b32_e32 v10, 2, v1
	ds_bpermute_b32 v5, v10, v3
	ds_bpermute_b32 v4, v10, v2
	v_mov_b32_e32 v1, 0
	s_waitcnt lgkmcnt(0)
	v_pk_add_f32 v[2:3], v[2:3], v[4:5]
	s_and_saveexec_b64 s[16:17], s[2:3]
	s_cbranch_execz .LBB58_19
; %bb.15:
	v_mov_b32_e32 v5, s7
	s_andn2_b64 vcc, exec, s[10:11]
	v_or_b32_e32 v4, s6, v0
	s_cbranch_vccnz .LBB58_17
; %bb.16:
	v_lshl_add_u64 v[12:13], v[4:5], 2, s[12:13]
	global_store_dword v[12:13], v3, off
.LBB58_17:
	s_andn2_b64 vcc, exec, s[8:9]
	s_cbranch_vccnz .LBB58_19
; %bb.18:
	v_lshl_add_u64 v[4:5], v[4:5], 2, s[14:15]
	global_store_dword v[4:5], v2, off
.LBB58_19:
	s_or_b64 exec, exec, s[16:17]
	v_cmp_gt_u32_e32 vcc, 48, v0
	s_and_b64 exec, exec, vcc
	s_cbranch_execz .LBB58_43
; %bb.20:
	s_and_saveexec_b64 s[16:17], s[4:5]
	s_xor_b64 s[16:17], exec, s[16:17]
	s_andn2_saveexec_b64 s[16:17], s[16:17]
	s_cbranch_execz .LBB58_22
; %bb.21:
	v_add_u32_e32 v2, v0, v6
	v_lshl_add_u32 v2, v2, 2, 0
	ds_read_b32 v3, v2 offset:64
	ds_read_b32 v2, v2 offset:4224
.LBB58_22:
	s_or_b64 exec, exec, s[16:17]
	s_waitcnt lgkmcnt(1)
	ds_bpermute_b32 v5, v7, v3
	s_waitcnt lgkmcnt(1)
	ds_bpermute_b32 v4, v7, v2
	s_waitcnt lgkmcnt(0)
	v_pk_add_f32 v[2:3], v[2:3], v[4:5]
	ds_bpermute_b32 v5, v8, v3
	ds_bpermute_b32 v4, v8, v2
	s_waitcnt lgkmcnt(0)
	v_pk_add_f32 v[2:3], v[2:3], v[4:5]
	ds_bpermute_b32 v5, v9, v3
	;; [unrolled: 4-line block ×3, first 2 shown]
	ds_bpermute_b32 v4, v10, v2
	s_waitcnt lgkmcnt(0)
	v_pk_add_f32 v[2:3], v[2:3], v[4:5]
	s_and_saveexec_b64 s[16:17], s[2:3]
	s_cbranch_execz .LBB58_27
; %bb.23:
	s_andn2_b64 vcc, exec, s[10:11]
	s_cbranch_vccnz .LBB58_25
; %bb.24:
	v_lshl_add_u64 v[4:5], s[6:7], 0, v[0:1]
	v_lshl_add_u64 v[4:5], v[4:5], 2, s[12:13]
	global_store_dword v[4:5], v3, off offset:64
.LBB58_25:
	s_andn2_b64 vcc, exec, s[8:9]
	s_cbranch_vccnz .LBB58_27
; %bb.26:
	v_lshl_add_u64 v[4:5], s[6:7], 0, v[0:1]
	v_lshl_add_u64 v[4:5], v[4:5], 2, s[14:15]
	global_store_dword v[4:5], v2, off offset:64
.LBB58_27:
	s_or_b64 exec, exec, s[16:17]
	v_cmp_gt_u32_e32 vcc, 32, v0
	s_and_b64 exec, exec, vcc
	s_cbranch_execz .LBB58_43
; %bb.28:
	s_and_saveexec_b64 s[16:17], s[4:5]
	s_xor_b64 s[4:5], exec, s[16:17]
	s_andn2_saveexec_b64 s[4:5], s[4:5]
	s_cbranch_execz .LBB58_30
; %bb.29:
	v_add_u32_e32 v2, v0, v6
	v_lshl_add_u32 v2, v2, 2, 0
	ds_read_b32 v3, v2 offset:128
	ds_read_b32 v2, v2 offset:4288
.LBB58_30:
	s_or_b64 exec, exec, s[4:5]
	s_waitcnt lgkmcnt(1)
	ds_bpermute_b32 v5, v7, v3
	s_waitcnt lgkmcnt(1)
	ds_bpermute_b32 v4, v7, v2
	s_waitcnt lgkmcnt(0)
	v_pk_add_f32 v[2:3], v[2:3], v[4:5]
	ds_bpermute_b32 v5, v8, v3
	ds_bpermute_b32 v4, v8, v2
	s_waitcnt lgkmcnt(0)
	v_pk_add_f32 v[2:3], v[2:3], v[4:5]
	ds_bpermute_b32 v5, v9, v3
	;; [unrolled: 4-line block ×3, first 2 shown]
	ds_bpermute_b32 v4, v10, v2
	s_waitcnt lgkmcnt(0)
	v_pk_add_f32 v[2:3], v[2:3], v[4:5]
	s_and_saveexec_b64 s[4:5], s[2:3]
	s_cbranch_execz .LBB58_35
; %bb.31:
	s_andn2_b64 vcc, exec, s[10:11]
	s_cbranch_vccnz .LBB58_33
; %bb.32:
	v_lshl_add_u64 v[4:5], s[6:7], 0, v[0:1]
	v_lshl_add_u64 v[4:5], v[4:5], 2, s[12:13]
	global_store_dword v[4:5], v3, off offset:128
.LBB58_33:
	s_andn2_b64 vcc, exec, s[8:9]
	s_cbranch_vccnz .LBB58_35
; %bb.34:
	v_lshl_add_u64 v[4:5], s[6:7], 0, v[0:1]
	v_lshl_add_u64 v[4:5], v[4:5], 2, s[14:15]
	global_store_dword v[4:5], v2, off offset:128
.LBB58_35:
	s_or_b64 exec, exec, s[4:5]
	v_cmp_gt_u32_e32 vcc, 16, v0
	s_and_b64 exec, exec, vcc
	s_cbranch_execz .LBB58_43
; %bb.36:
	s_and_saveexec_b64 s[4:5], s[0:1]
	s_cbranch_execz .LBB58_38
; %bb.37:
	v_add_u32_e32 v2, v0, v6
	v_lshl_add_u32 v2, v2, 2, 0
	ds_read_b32 v3, v2 offset:192
	ds_read_b32 v2, v2 offset:4352
.LBB58_38:
	s_or_b64 exec, exec, s[4:5]
	s_waitcnt lgkmcnt(1)
	ds_bpermute_b32 v4, v7, v3
	s_waitcnt lgkmcnt(1)
	ds_bpermute_b32 v5, v7, v2
	s_waitcnt lgkmcnt(1)
	v_add_f32_e32 v3, v3, v4
	s_waitcnt lgkmcnt(0)
	v_add_f32_e32 v2, v2, v5
	ds_bpermute_b32 v4, v8, v3
	ds_bpermute_b32 v5, v8, v2
	s_waitcnt lgkmcnt(1)
	v_add_f32_e32 v3, v3, v4
	s_waitcnt lgkmcnt(0)
	v_add_f32_e32 v2, v2, v5
	ds_bpermute_b32 v4, v9, v3
	;; [unrolled: 6-line block ×3, first 2 shown]
	ds_bpermute_b32 v3, v10, v2
	s_and_b64 exec, exec, s[2:3]
	s_cbranch_execz .LBB58_43
; %bb.39:
	s_andn2_b64 vcc, exec, s[10:11]
	v_lshl_add_u64 v[0:1], s[6:7], 0, v[0:1]
	s_cbranch_vccnz .LBB58_41
; %bb.40:
	s_waitcnt lgkmcnt(1)
	v_add_f32_e32 v6, v4, v5
	v_lshl_add_u64 v[4:5], v[0:1], 2, s[12:13]
	global_store_dword v[4:5], v6, off offset:192
.LBB58_41:
	s_andn2_b64 vcc, exec, s[8:9]
	s_cbranch_vccnz .LBB58_43
; %bb.42:
	s_waitcnt lgkmcnt(0)
	v_add_f32_e32 v2, v2, v3
	v_lshl_add_u64 v[0:1], v[0:1], 2, s[14:15]
	global_store_dword v[0:1], v2, off offset:192
.LBB58_43:
	s_endpgm
	.section	.rodata,"a",@progbits
	.p2align	6, 0x0
	.amdhsa_kernel _ZN2at6native12_GLOBAL__N_135GammaBetaBackwardCUDAKernelTemplateIffLj64ELj16ELj256ELb0ELb1ELb0EEEvllPKT_S5_PKT0_S8_PS3_S9_
		.amdhsa_group_segment_fixed_size 0
		.amdhsa_private_segment_fixed_size 0
		.amdhsa_kernarg_size 320
		.amdhsa_user_sgpr_count 2
		.amdhsa_user_sgpr_dispatch_ptr 0
		.amdhsa_user_sgpr_queue_ptr 0
		.amdhsa_user_sgpr_kernarg_segment_ptr 1
		.amdhsa_user_sgpr_dispatch_id 0
		.amdhsa_user_sgpr_kernarg_preload_length 0
		.amdhsa_user_sgpr_kernarg_preload_offset 0
		.amdhsa_user_sgpr_private_segment_size 0
		.amdhsa_uses_dynamic_stack 0
		.amdhsa_enable_private_segment 0
		.amdhsa_system_sgpr_workgroup_id_x 1
		.amdhsa_system_sgpr_workgroup_id_y 1
		.amdhsa_system_sgpr_workgroup_id_z 0
		.amdhsa_system_sgpr_workgroup_info 0
		.amdhsa_system_vgpr_workitem_id 1
		.amdhsa_next_free_vgpr 60
		.amdhsa_next_free_sgpr 32
		.amdhsa_accum_offset 60
		.amdhsa_reserve_vcc 1
		.amdhsa_float_round_mode_32 0
		.amdhsa_float_round_mode_16_64 0
		.amdhsa_float_denorm_mode_32 3
		.amdhsa_float_denorm_mode_16_64 3
		.amdhsa_dx10_clamp 1
		.amdhsa_ieee_mode 1
		.amdhsa_fp16_overflow 0
		.amdhsa_tg_split 0
		.amdhsa_exception_fp_ieee_invalid_op 0
		.amdhsa_exception_fp_denorm_src 0
		.amdhsa_exception_fp_ieee_div_zero 0
		.amdhsa_exception_fp_ieee_overflow 0
		.amdhsa_exception_fp_ieee_underflow 0
		.amdhsa_exception_fp_ieee_inexact 0
		.amdhsa_exception_int_div_zero 0
	.end_amdhsa_kernel
	.section	.text._ZN2at6native12_GLOBAL__N_135GammaBetaBackwardCUDAKernelTemplateIffLj64ELj16ELj256ELb0ELb1ELb0EEEvllPKT_S5_PKT0_S8_PS3_S9_,"axG",@progbits,_ZN2at6native12_GLOBAL__N_135GammaBetaBackwardCUDAKernelTemplateIffLj64ELj16ELj256ELb0ELb1ELb0EEEvllPKT_S5_PKT0_S8_PS3_S9_,comdat
.Lfunc_end58:
	.size	_ZN2at6native12_GLOBAL__N_135GammaBetaBackwardCUDAKernelTemplateIffLj64ELj16ELj256ELb0ELb1ELb0EEEvllPKT_S5_PKT0_S8_PS3_S9_, .Lfunc_end58-_ZN2at6native12_GLOBAL__N_135GammaBetaBackwardCUDAKernelTemplateIffLj64ELj16ELj256ELb0ELb1ELb0EEEvllPKT_S5_PKT0_S8_PS3_S9_
                                        ; -- End function
	.set _ZN2at6native12_GLOBAL__N_135GammaBetaBackwardCUDAKernelTemplateIffLj64ELj16ELj256ELb0ELb1ELb0EEEvllPKT_S5_PKT0_S8_PS3_S9_.num_vgpr, 60
	.set _ZN2at6native12_GLOBAL__N_135GammaBetaBackwardCUDAKernelTemplateIffLj64ELj16ELj256ELb0ELb1ELb0EEEvllPKT_S5_PKT0_S8_PS3_S9_.num_agpr, 0
	.set _ZN2at6native12_GLOBAL__N_135GammaBetaBackwardCUDAKernelTemplateIffLj64ELj16ELj256ELb0ELb1ELb0EEEvllPKT_S5_PKT0_S8_PS3_S9_.numbered_sgpr, 32
	.set _ZN2at6native12_GLOBAL__N_135GammaBetaBackwardCUDAKernelTemplateIffLj64ELj16ELj256ELb0ELb1ELb0EEEvllPKT_S5_PKT0_S8_PS3_S9_.num_named_barrier, 0
	.set _ZN2at6native12_GLOBAL__N_135GammaBetaBackwardCUDAKernelTemplateIffLj64ELj16ELj256ELb0ELb1ELb0EEEvllPKT_S5_PKT0_S8_PS3_S9_.private_seg_size, 0
	.set _ZN2at6native12_GLOBAL__N_135GammaBetaBackwardCUDAKernelTemplateIffLj64ELj16ELj256ELb0ELb1ELb0EEEvllPKT_S5_PKT0_S8_PS3_S9_.uses_vcc, 1
	.set _ZN2at6native12_GLOBAL__N_135GammaBetaBackwardCUDAKernelTemplateIffLj64ELj16ELj256ELb0ELb1ELb0EEEvllPKT_S5_PKT0_S8_PS3_S9_.uses_flat_scratch, 0
	.set _ZN2at6native12_GLOBAL__N_135GammaBetaBackwardCUDAKernelTemplateIffLj64ELj16ELj256ELb0ELb1ELb0EEEvllPKT_S5_PKT0_S8_PS3_S9_.has_dyn_sized_stack, 0
	.set _ZN2at6native12_GLOBAL__N_135GammaBetaBackwardCUDAKernelTemplateIffLj64ELj16ELj256ELb0ELb1ELb0EEEvllPKT_S5_PKT0_S8_PS3_S9_.has_recursion, 0
	.set _ZN2at6native12_GLOBAL__N_135GammaBetaBackwardCUDAKernelTemplateIffLj64ELj16ELj256ELb0ELb1ELb0EEEvllPKT_S5_PKT0_S8_PS3_S9_.has_indirect_call, 0
	.section	.AMDGPU.csdata,"",@progbits
; Kernel info:
; codeLenInByte = 2972
; TotalNumSgprs: 38
; NumVgprs: 60
; NumAgprs: 0
; TotalNumVgprs: 60
; ScratchSize: 0
; MemoryBound: 0
; FloatMode: 240
; IeeeMode: 1
; LDSByteSize: 0 bytes/workgroup (compile time only)
; SGPRBlocks: 4
; VGPRBlocks: 7
; NumSGPRsForWavesPerEU: 38
; NumVGPRsForWavesPerEU: 60
; AccumOffset: 60
; Occupancy: 8
; WaveLimiterHint : 0
; COMPUTE_PGM_RSRC2:SCRATCH_EN: 0
; COMPUTE_PGM_RSRC2:USER_SGPR: 2
; COMPUTE_PGM_RSRC2:TRAP_HANDLER: 0
; COMPUTE_PGM_RSRC2:TGID_X_EN: 1
; COMPUTE_PGM_RSRC2:TGID_Y_EN: 1
; COMPUTE_PGM_RSRC2:TGID_Z_EN: 0
; COMPUTE_PGM_RSRC2:TIDIG_COMP_CNT: 1
; COMPUTE_PGM_RSRC3_GFX90A:ACCUM_OFFSET: 14
; COMPUTE_PGM_RSRC3_GFX90A:TG_SPLIT: 0
	.section	.text._ZN2at6native12_GLOBAL__N_135GammaBetaBackwardCUDAKernelTemplateIffLj64ELj16ELj256ELb0ELb0ELb0EEEvllPKT_S5_PKT0_S8_PS3_S9_,"axG",@progbits,_ZN2at6native12_GLOBAL__N_135GammaBetaBackwardCUDAKernelTemplateIffLj64ELj16ELj256ELb0ELb0ELb0EEEvllPKT_S5_PKT0_S8_PS3_S9_,comdat
	.globl	_ZN2at6native12_GLOBAL__N_135GammaBetaBackwardCUDAKernelTemplateIffLj64ELj16ELj256ELb0ELb0ELb0EEEvllPKT_S5_PKT0_S8_PS3_S9_ ; -- Begin function _ZN2at6native12_GLOBAL__N_135GammaBetaBackwardCUDAKernelTemplateIffLj64ELj16ELj256ELb0ELb0ELb0EEEvllPKT_S5_PKT0_S8_PS3_S9_
	.p2align	8
	.type	_ZN2at6native12_GLOBAL__N_135GammaBetaBackwardCUDAKernelTemplateIffLj64ELj16ELj256ELb0ELb0ELb0EEEvllPKT_S5_PKT0_S8_PS3_S9_,@function
_ZN2at6native12_GLOBAL__N_135GammaBetaBackwardCUDAKernelTemplateIffLj64ELj16ELj256ELb0ELb0ELb0EEEvllPKT_S5_PKT0_S8_PS3_S9_: ; @_ZN2at6native12_GLOBAL__N_135GammaBetaBackwardCUDAKernelTemplateIffLj64ELj16ELj256ELb0ELb0ELb0EEEvllPKT_S5_PKT0_S8_PS3_S9_
; %bb.0:
	s_load_dwordx8 s[8:15], s[0:1], 0x0
	s_load_dwordx4 s[16:19], s[0:1], 0x20
	s_lshl_b32 s33, s2, 6
	s_mov_b32 s21, 0
	s_lshl_b32 s20, s3, 8
	v_mov_b32_e32 v118, v0
	s_or_b32 s4, s33, 63
	v_mov_b64_e32 v[0:1], s[20:21]
	v_mov_b32_e32 v36, s4
	v_mov_b32_e32 v37, 0
	s_waitcnt lgkmcnt(0)
	v_cmp_gt_i64_e64 s[4:5], s[8:9], v[0:1]
	v_cmp_le_i64_e32 vcc, s[10:11], v[36:37]
	s_nop 0
	v_cndmask_b32_e64 v0, 0, 1, s[4:5]
	v_cmp_ne_u32_e64 s[4:5], 1, v0
	s_cbranch_vccz .LBB59_80
; %bb.1:
	s_and_b64 vcc, exec, s[4:5]
	v_mov_b32_e32 v36, 0
	s_cbranch_vccnz .LBB59_81
; %bb.2:
	v_and_b32_e32 v108, 0x3ff, v118
	v_mov_b32_e32 v2, 0
	v_bfe_u32 v109, v118, 10, 10
	v_add_u32_e32 v4, s33, v108
	v_mov_b32_e32 v5, v2
	v_lshlrev_b32_e32 v0, 4, v109
	v_mov_b32_e32 v1, v2
	v_cmp_gt_i64_e64 s[6:7], s[10:11], v[4:5]
	v_lshlrev_b64 v[38:39], 2, v[4:5]
	v_lshl_add_u64 v[4:5], v[0:1], 0, s[20:21]
	v_mul_lo_u32 v3, s11, v4
	v_mul_lo_u32 v8, s10, v5
	v_mad_u64_u32 v[6:7], s[24:25], s10, v4, 0
	v_add3_u32 v7, v7, v8, v3
	v_lshlrev_b64 v[6:7], 2, v[6:7]
	v_lshl_add_u64 v[40:41], s[12:13], 0, v[6:7]
	v_lshl_add_u64 v[42:43], s[14:15], 0, v[6:7]
	v_lshl_add_u64 v[6:7], v[4:5], 0, 15
	v_mul_lo_u32 v9, s11, v6
	v_mul_lo_u32 v10, s10, v7
	v_mad_u64_u32 v[6:7], s[26:27], s10, v6, 0
	v_add3_u32 v7, v7, v10, v9
	v_lshlrev_b64 v[6:7], 2, v[6:7]
	v_lshl_add_u64 v[44:45], s[12:13], 0, v[6:7]
	v_lshl_add_u64 v[46:47], s[14:15], 0, v[6:7]
	;; [unrolled: 8-line block ×13, first 2 shown]
	v_lshl_add_u64 v[6:7], v[4:5], 0, 3
	v_mul_lo_u32 v9, s11, v6
	v_mul_lo_u32 v10, s10, v7
	v_mad_u64_u32 v[6:7], s[26:27], s10, v6, 0
	v_add3_u32 v7, v7, v10, v9
	s_load_dword s3, s[0:1], 0x44
	v_lshlrev_b64 v[6:7], 2, v[6:7]
	v_lshl_add_u64 v[92:93], s[12:13], 0, v[6:7]
	v_lshl_add_u64 v[94:95], s[14:15], 0, v[6:7]
	;; [unrolled: 1-line block ×3, first 2 shown]
	v_mul_lo_u32 v5, s11, v6
	v_mul_lo_u32 v9, s10, v7
	v_mad_u64_u32 v[6:7], s[26:27], s10, v6, 0
	v_add3_u32 v7, v7, v9, v5
	s_add_u32 s22, s0, 64
	v_lshlrev_b64 v[6:7], 2, v[6:7]
	s_addc_u32 s23, s1, 0
	s_waitcnt lgkmcnt(0)
	s_lshl_b32 s3, s3, 8
	v_lshl_add_u64 v[96:97], s[12:13], 0, v[6:7]
	v_lshl_add_u64 v[98:99], s[14:15], 0, v[6:7]
	v_mov_b64_e32 v[6:7], s[10:11]
	s_mul_i32 s24, s11, s3
	s_mul_hi_u32 s25, s10, s3
	v_mad_u64_u32 v[4:5], s[26:27], s10, v4, v[6:7]
	s_add_i32 s25, s25, s24
	s_mul_i32 s24, s10, s3
	v_add3_u32 v5, v3, v5, v8
	v_mbcnt_lo_u32_b32 v3, -1, 0
	s_lshl_b64 s[24:25], s[24:25], 2
	v_mbcnt_hi_u32_b32 v3, -1, v3
	v_lshlrev_b64 v[4:5], 2, v[4:5]
	s_add_u32 s26, s20, 0xff
	s_movk_i32 s28, 0xff01
	s_movk_i32 s30, 0xff02
	;; [unrolled: 1-line block ×16, first 2 shown]
	v_lshlrev_b32_e32 v3, 2, v3
	v_lshl_add_u64 v[100:101], s[12:13], 0, v[4:5]
	v_lshl_add_u64 v[102:103], s[14:15], 0, v[4:5]
	s_addc_u32 s27, 0, 0
	s_mov_b32 s29, -1
	s_mov_b32 s31, -1
	;; [unrolled: 1-line block ×16, first 2 shown]
	v_and_b32_e32 v110, 0x100, v3
	s_mov_b64 s[62:63], s[20:21]
	v_mov_b32_e32 v36, 0
	v_mov_b32_e32 v37, v2
	s_branch .LBB59_5
.LBB59_3:                               ;   in Loop: Header=BB59_5 Depth=1
	s_or_b64 exec, exec, s[64:65]
	s_waitcnt vmcnt(1)
	ds_bpermute_b32 v3, v110, v107
	ds_bpermute_b32 v104, v110, v107 offset:4
	s_waitcnt vmcnt(0)
	ds_bpermute_b32 v105, v110, v106
	ds_bpermute_b32 v111, v110, v106 offset:4
	v_mov_b32_e32 v113, v7
	s_waitcnt lgkmcnt(3)
	v_sub_f32_e32 v3, v20, v3
	v_mul_f32_e32 v3, v4, v3
	s_waitcnt lgkmcnt(2)
	v_sub_f32_e32 v21, v21, v104
	s_waitcnt lgkmcnt(1)
	v_mul_f32_e32 v20, v3, v105
	ds_bpermute_b32 v3, v110, v107 offset:8
	v_mul_f32_e32 v21, v5, v21
	s_waitcnt lgkmcnt(1)
	v_mul_f32_e32 v104, v21, v111
	ds_bpermute_b32 v21, v110, v106 offset:8
	ds_bpermute_b32 v105, v110, v107 offset:12
	;; [unrolled: 1-line block ×3, first 2 shown]
	s_waitcnt lgkmcnt(3)
	v_sub_f32_e32 v3, v22, v3
	v_mul_f32_e32 v3, v6, v3
	s_waitcnt lgkmcnt(2)
	v_mul_f32_e32 v22, v3, v21
	s_waitcnt lgkmcnt(1)
	v_sub_f32_e32 v3, v23, v105
	ds_bpermute_b32 v21, v110, v107 offset:16
	v_mul_f32_e32 v3, v7, v3
	s_waitcnt lgkmcnt(1)
	v_mul_f32_e32 v112, v3, v111
	ds_bpermute_b32 v3, v110, v106 offset:16
	ds_bpermute_b32 v23, v110, v107 offset:20
	;; [unrolled: 1-line block ×3, first 2 shown]
	s_waitcnt lgkmcnt(3)
	v_sub_f32_e32 v21, v24, v21
	v_mul_f32_e32 v21, v8, v21
	s_waitcnt lgkmcnt(2)
	v_mul_f32_e32 v24, v21, v3
	s_waitcnt lgkmcnt(1)
	v_sub_f32_e32 v3, v25, v23
	v_mul_f32_e32 v3, v9, v3
	s_waitcnt lgkmcnt(0)
	v_mul_f32_e32 v114, v3, v105
	ds_bpermute_b32 v3, v110, v107 offset:24
	v_mov_b32_e32 v23, v6
	ds_bpermute_b32 v6, v110, v106 offset:24
	ds_bpermute_b32 v7, v110, v107 offset:28
	v_mov_b32_e32 v25, v8
	ds_bpermute_b32 v8, v110, v106 offset:28
	s_waitcnt lgkmcnt(3)
	v_sub_f32_e32 v3, v26, v3
	v_mul_f32_e32 v3, v10, v3
	s_waitcnt lgkmcnt(2)
	v_mul_f32_e32 v6, v3, v6
	s_waitcnt lgkmcnt(1)
	v_sub_f32_e32 v3, v27, v7
	ds_bpermute_b32 v7, v110, v107 offset:32
	v_mul_f32_e32 v3, v11, v3
	v_mov_b32_e32 v21, v4
	v_mov_b32_e32 v115, v9
	s_waitcnt lgkmcnt(1)
	v_mul_f32_e32 v8, v3, v8
	ds_bpermute_b32 v3, v110, v106 offset:32
	ds_bpermute_b32 v9, v110, v107 offset:36
	v_pk_add_f32 v[20:21], v[36:37], v[20:21]
	v_mov_b32_e32 v105, v5
	v_pk_add_f32 v[4:5], v[104:105], v[20:21]
	ds_bpermute_b32 v21, v110, v106 offset:36
	s_waitcnt lgkmcnt(3)
	v_sub_f32_e32 v7, v28, v7
	v_mul_f32_e32 v7, v12, v7
	s_waitcnt lgkmcnt(2)
	v_mul_f32_e32 v20, v7, v3
	s_waitcnt lgkmcnt(1)
	v_sub_f32_e32 v3, v29, v9
	ds_bpermute_b32 v7, v110, v107 offset:40
	v_mul_f32_e32 v3, v13, v3
	v_pk_add_f32 v[4:5], v[22:23], v[4:5]
	s_waitcnt lgkmcnt(1)
	v_mul_f32_e32 v22, v3, v21
	ds_bpermute_b32 v3, v110, v106 offset:40
	ds_bpermute_b32 v9, v110, v107 offset:44
	;; [unrolled: 1-line block ×3, first 2 shown]
	s_waitcnt lgkmcnt(3)
	v_sub_f32_e32 v7, v30, v7
	v_pk_add_f32 v[4:5], v[112:113], v[4:5]
	v_mul_f32_e32 v7, v14, v7
	v_pk_add_f32 v[4:5], v[24:25], v[4:5]
	s_waitcnt lgkmcnt(2)
	v_mul_f32_e32 v24, v7, v3
	s_waitcnt lgkmcnt(1)
	v_sub_f32_e32 v3, v31, v9
	ds_bpermute_b32 v7, v110, v107 offset:48
	v_mul_f32_e32 v3, v15, v3
	s_waitcnt lgkmcnt(1)
	v_mul_f32_e32 v26, v3, v21
	ds_bpermute_b32 v3, v110, v106 offset:48
	ds_bpermute_b32 v9, v110, v107 offset:52
	ds_bpermute_b32 v21, v110, v106 offset:52
	s_waitcnt lgkmcnt(3)
	v_sub_f32_e32 v7, v32, v7
	v_mul_f32_e32 v7, v16, v7
	v_pk_add_f32 v[4:5], v[114:115], v[4:5]
	s_waitcnt lgkmcnt(2)
	v_mul_f32_e32 v28, v7, v3
	s_waitcnt lgkmcnt(1)
	v_sub_f32_e32 v3, v33, v9
	v_mov_b32_e32 v7, v10
	v_mul_f32_e32 v3, v17, v3
	v_pk_add_f32 v[4:5], v[6:7], v[4:5]
	v_mov_b32_e32 v9, v11
	s_waitcnt lgkmcnt(0)
	v_mul_f32_e32 v30, v3, v21
	v_pk_add_f32 v[4:5], v[8:9], v[4:5]
	v_mov_b32_e32 v21, v12
	v_pk_add_f32 v[4:5], v[20:21], v[4:5]
	v_mov_b32_e32 v23, v13
	;; [unrolled: 2-line block ×4, first 2 shown]
	ds_bpermute_b32 v3, v110, v107 offset:56
	v_pk_add_f32 v[4:5], v[26:27], v[4:5]
	v_mov_b32_e32 v29, v16
	v_pk_add_f32 v[4:5], v[28:29], v[4:5]
	v_mov_b32_e32 v31, v17
	v_pk_add_f32 v[6:7], v[30:31], v[4:5]
	ds_bpermute_b32 v5, v110, v106 offset:56
	s_waitcnt lgkmcnt(1)
	v_sub_f32_e32 v8, v34, v3
	ds_bpermute_b32 v3, v110, v106 offset:60
	ds_bpermute_b32 v4, v110, v107 offset:60
	v_mul_f32_e32 v8, v18, v8
	s_waitcnt lgkmcnt(2)
	v_mul_f32_e32 v8, v8, v5
	v_mov_b32_e32 v9, v18
	v_pk_add_f32 v[106:107], v[8:9], v[6:7]
.LBB59_4:                               ;   in Loop: Header=BB59_5 Depth=1
	s_waitcnt lgkmcnt(0)
	v_sub_f32_e32 v4, v35, v4
	v_mul_f32_e32 v4, v19, v4
	s_add_u32 s62, s62, s3
	v_mul_f32_e32 v18, v4, v3
	s_addc_u32 s63, s63, 0
	v_mov_b64_e32 v[4:5], s[8:9]
	s_add_u32 s26, s26, s3
	v_cmp_lt_i64_e32 vcc, s[62:63], v[4:5]
	v_pk_add_f32 v[36:37], v[106:107], v[18:19]
	v_lshl_add_u64 v[40:41], v[40:41], 0, s[24:25]
	v_lshl_add_u64 v[42:43], v[42:43], 0, s[24:25]
	;; [unrolled: 1-line block ×32, first 2 shown]
	s_addc_u32 s27, s27, 0
	s_cbranch_vccz .LBB59_81
.LBB59_5:                               ; =>This Inner Loop Header: Depth=1
	v_mov_b64_e32 v[4:5], s[8:9]
	v_cmp_ge_i64_e32 vcc, s[26:27], v[4:5]
	v_lshl_add_u64 v[104:105], v[0:1], 0, s[26:27]
	s_mov_b64 s[64:65], -1
	s_and_b64 vcc, exec, vcc
                                        ; implicit-def: $vgpr4_vgpr5_vgpr6_vgpr7_vgpr8_vgpr9_vgpr10_vgpr11_vgpr12_vgpr13_vgpr14_vgpr15_vgpr16_vgpr17_vgpr18_vgpr19
                                        ; implicit-def: $vgpr106_vgpr107
                                        ; implicit-def: $vgpr3
                                        ; implicit-def: $vgpr20_vgpr21_vgpr22_vgpr23_vgpr24_vgpr25_vgpr26_vgpr27_vgpr28_vgpr29_vgpr30_vgpr31_vgpr32_vgpr33_vgpr34_vgpr35
                                        ; implicit-def: $vgpr4
	s_cbranch_vccz .LBB59_43
; %bb.6:                                ;   in Loop: Header=BB59_5 Depth=1
	s_load_dword s64, s[22:23], 0xc
	v_mov_b32_e32 v106, 0
	v_mov_b32_e32 v107, 0
	s_waitcnt lgkmcnt(0)
	s_and_b32 s64, s64, 0xffff
	v_mad_u32_u24 v3, v109, s64, v108
	v_and_b32_e32 v4, 63, v3
	v_cmp_gt_u32_e32 vcc, 16, v4
	s_and_saveexec_b64 s[64:65], vcc
	s_cbranch_execz .LBB59_10
; %bb.7:                                ;   in Loop: Header=BB59_5 Depth=1
	v_mov_b32_e32 v5, v2
	v_lshl_add_u64 v[4:5], v[104:105], 0, v[4:5]
	v_lshl_add_u64 v[4:5], v[4:5], 0, s[28:29]
	v_cmp_gt_i64_e32 vcc, s[8:9], v[4:5]
	v_mov_b32_e32 v107, 0
	v_mov_b32_e32 v106, 0
	s_and_saveexec_b64 s[66:67], vcc
	s_cbranch_execz .LBB59_9
; %bb.8:                                ;   in Loop: Header=BB59_5 Depth=1
	v_lshlrev_b64 v[4:5], 2, v[4:5]
	v_lshl_add_u64 v[6:7], s[18:19], 0, v[4:5]
	v_lshl_add_u64 v[4:5], s[16:17], 0, v[4:5]
	global_load_dword v107, v[4:5], off
	global_load_dword v106, v[6:7], off
.LBB59_9:                               ;   in Loop: Header=BB59_5 Depth=1
	s_or_b64 exec, exec, s[66:67]
.LBB59_10:                              ;   in Loop: Header=BB59_5 Depth=1
	s_or_b64 exec, exec, s[64:65]
	v_lshl_add_u64 v[4:5], v[104:105], 0, s[28:29]
	v_mov_b32_e32 v16, v2
	v_mov_b32_e32 v17, v2
	v_cmp_gt_i64_e32 vcc, s[8:9], v[4:5]
	v_mov_b32_e32 v3, v2
	v_mov_b32_e32 v4, v2
	;; [unrolled: 1-line block ×13, first 2 shown]
	v_mov_b64_e32 v[34:35], v[16:17]
	v_mov_b64_e32 v[32:33], v[14:15]
	;; [unrolled: 1-line block ×9, first 2 shown]
	s_and_b64 s[66:67], s[6:7], vcc
	v_mov_b64_e32 v[16:17], v[14:15]
	v_mov_b64_e32 v[14:15], v[12:13]
	v_mov_b64_e32 v[12:13], v[10:11]
	v_mov_b64_e32 v[10:11], v[8:9]
	v_mov_b64_e32 v[8:9], v[6:7]
	v_mov_b64_e32 v[6:7], v[4:5]
	v_mov_b64_e32 v[4:5], v[2:3]
	s_and_saveexec_b64 s[64:65], s[66:67]
	s_cbranch_execz .LBB59_12
; %bb.11:                               ;   in Loop: Header=BB59_5 Depth=1
	v_lshl_add_u64 v[4:5], v[40:41], 0, v[38:39]
	v_lshl_add_u64 v[6:7], v[42:43], 0, v[38:39]
	global_load_dword v4, v[4:5], off
	v_mov_b32_e32 v5, v2
	global_load_dword v20, v[6:7], off
	v_mov_b32_e32 v6, v2
	v_mov_b32_e32 v7, v2
	;; [unrolled: 1-line block ×29, first 2 shown]
.LBB59_12:                              ;   in Loop: Header=BB59_5 Depth=1
	s_or_b64 exec, exec, s[64:65]
	v_lshl_add_u64 v[112:113], v[104:105], 0, s[30:31]
	v_cmp_gt_i64_e32 vcc, s[8:9], v[112:113]
	s_and_b64 s[66:67], s[6:7], vcc
	s_and_saveexec_b64 s[64:65], s[66:67]
	s_cbranch_execz .LBB59_14
; %bb.13:                               ;   in Loop: Header=BB59_5 Depth=1
	v_lshl_add_u64 v[112:113], v[100:101], 0, v[38:39]
	global_load_dword v5, v[112:113], off
	v_lshl_add_u64 v[112:113], v[102:103], 0, v[38:39]
	global_load_dword v21, v[112:113], off
.LBB59_14:                              ;   in Loop: Header=BB59_5 Depth=1
	s_or_b64 exec, exec, s[64:65]
	v_lshl_add_u64 v[112:113], v[104:105], 0, s[34:35]
	v_cmp_gt_i64_e32 vcc, s[8:9], v[112:113]
	s_and_b64 s[66:67], s[6:7], vcc
	s_and_saveexec_b64 s[64:65], s[66:67]
	s_cbranch_execz .LBB59_16
; %bb.15:                               ;   in Loop: Header=BB59_5 Depth=1
	v_lshl_add_u64 v[112:113], v[96:97], 0, v[38:39]
	global_load_dword v6, v[112:113], off
	v_lshl_add_u64 v[112:113], v[98:99], 0, v[38:39]
	global_load_dword v22, v[112:113], off
.LBB59_16:                              ;   in Loop: Header=BB59_5 Depth=1
	s_or_b64 exec, exec, s[64:65]
	v_lshl_add_u64 v[112:113], v[104:105], 0, s[36:37]
	v_cmp_gt_i64_e32 vcc, s[8:9], v[112:113]
	s_and_b64 s[66:67], s[6:7], vcc
	s_and_saveexec_b64 s[64:65], s[66:67]
	s_cbranch_execz .LBB59_18
; %bb.17:                               ;   in Loop: Header=BB59_5 Depth=1
	v_lshl_add_u64 v[112:113], v[92:93], 0, v[38:39]
	global_load_dword v7, v[112:113], off
	v_lshl_add_u64 v[112:113], v[94:95], 0, v[38:39]
	global_load_dword v23, v[112:113], off
.LBB59_18:                              ;   in Loop: Header=BB59_5 Depth=1
	s_or_b64 exec, exec, s[64:65]
	v_lshl_add_u64 v[112:113], v[104:105], 0, s[38:39]
	v_cmp_gt_i64_e32 vcc, s[8:9], v[112:113]
	s_and_b64 s[66:67], s[6:7], vcc
	s_and_saveexec_b64 s[64:65], s[66:67]
	s_cbranch_execz .LBB59_20
; %bb.19:                               ;   in Loop: Header=BB59_5 Depth=1
	v_lshl_add_u64 v[112:113], v[88:89], 0, v[38:39]
	global_load_dword v8, v[112:113], off
	v_lshl_add_u64 v[112:113], v[90:91], 0, v[38:39]
	global_load_dword v24, v[112:113], off
.LBB59_20:                              ;   in Loop: Header=BB59_5 Depth=1
	s_or_b64 exec, exec, s[64:65]
	v_lshl_add_u64 v[112:113], v[104:105], 0, s[40:41]
	v_cmp_gt_i64_e32 vcc, s[8:9], v[112:113]
	s_and_b64 s[66:67], s[6:7], vcc
	s_and_saveexec_b64 s[64:65], s[66:67]
	s_cbranch_execz .LBB59_22
; %bb.21:                               ;   in Loop: Header=BB59_5 Depth=1
	v_lshl_add_u64 v[112:113], v[84:85], 0, v[38:39]
	global_load_dword v9, v[112:113], off
	v_lshl_add_u64 v[112:113], v[86:87], 0, v[38:39]
	global_load_dword v25, v[112:113], off
.LBB59_22:                              ;   in Loop: Header=BB59_5 Depth=1
	s_or_b64 exec, exec, s[64:65]
	v_lshl_add_u64 v[112:113], v[104:105], 0, s[42:43]
	v_cmp_gt_i64_e32 vcc, s[8:9], v[112:113]
	s_and_b64 s[66:67], s[6:7], vcc
	s_and_saveexec_b64 s[64:65], s[66:67]
	s_cbranch_execz .LBB59_24
; %bb.23:                               ;   in Loop: Header=BB59_5 Depth=1
	v_lshl_add_u64 v[112:113], v[80:81], 0, v[38:39]
	global_load_dword v10, v[112:113], off
	v_lshl_add_u64 v[112:113], v[82:83], 0, v[38:39]
	global_load_dword v26, v[112:113], off
.LBB59_24:                              ;   in Loop: Header=BB59_5 Depth=1
	s_or_b64 exec, exec, s[64:65]
	v_lshl_add_u64 v[112:113], v[104:105], 0, s[44:45]
	v_cmp_gt_i64_e32 vcc, s[8:9], v[112:113]
	s_and_b64 s[66:67], s[6:7], vcc
	s_and_saveexec_b64 s[64:65], s[66:67]
	s_cbranch_execz .LBB59_26
; %bb.25:                               ;   in Loop: Header=BB59_5 Depth=1
	v_lshl_add_u64 v[112:113], v[76:77], 0, v[38:39]
	global_load_dword v11, v[112:113], off
	v_lshl_add_u64 v[112:113], v[78:79], 0, v[38:39]
	global_load_dword v27, v[112:113], off
.LBB59_26:                              ;   in Loop: Header=BB59_5 Depth=1
	s_or_b64 exec, exec, s[64:65]
	v_lshl_add_u64 v[112:113], v[104:105], 0, s[46:47]
	v_cmp_gt_i64_e32 vcc, s[8:9], v[112:113]
	s_and_b64 s[66:67], s[6:7], vcc
	s_and_saveexec_b64 s[64:65], s[66:67]
	s_cbranch_execz .LBB59_28
; %bb.27:                               ;   in Loop: Header=BB59_5 Depth=1
	v_lshl_add_u64 v[112:113], v[72:73], 0, v[38:39]
	global_load_dword v12, v[112:113], off
	v_lshl_add_u64 v[112:113], v[74:75], 0, v[38:39]
	global_load_dword v28, v[112:113], off
.LBB59_28:                              ;   in Loop: Header=BB59_5 Depth=1
	s_or_b64 exec, exec, s[64:65]
	v_lshl_add_u64 v[112:113], v[104:105], 0, s[48:49]
	v_cmp_gt_i64_e32 vcc, s[8:9], v[112:113]
	s_and_b64 s[66:67], s[6:7], vcc
	s_and_saveexec_b64 s[64:65], s[66:67]
	s_cbranch_execz .LBB59_30
; %bb.29:                               ;   in Loop: Header=BB59_5 Depth=1
	v_lshl_add_u64 v[112:113], v[68:69], 0, v[38:39]
	global_load_dword v13, v[112:113], off
	v_lshl_add_u64 v[112:113], v[70:71], 0, v[38:39]
	global_load_dword v29, v[112:113], off
.LBB59_30:                              ;   in Loop: Header=BB59_5 Depth=1
	s_or_b64 exec, exec, s[64:65]
	v_lshl_add_u64 v[112:113], v[104:105], 0, s[50:51]
	v_cmp_gt_i64_e32 vcc, s[8:9], v[112:113]
	s_and_b64 s[66:67], s[6:7], vcc
	s_and_saveexec_b64 s[64:65], s[66:67]
	s_cbranch_execz .LBB59_32
; %bb.31:                               ;   in Loop: Header=BB59_5 Depth=1
	v_lshl_add_u64 v[112:113], v[64:65], 0, v[38:39]
	global_load_dword v14, v[112:113], off
	v_lshl_add_u64 v[112:113], v[66:67], 0, v[38:39]
	global_load_dword v30, v[112:113], off
.LBB59_32:                              ;   in Loop: Header=BB59_5 Depth=1
	s_or_b64 exec, exec, s[64:65]
	v_lshl_add_u64 v[112:113], v[104:105], 0, s[52:53]
	v_cmp_gt_i64_e32 vcc, s[8:9], v[112:113]
	s_and_b64 s[66:67], s[6:7], vcc
	s_and_saveexec_b64 s[64:65], s[66:67]
	s_cbranch_execz .LBB59_34
; %bb.33:                               ;   in Loop: Header=BB59_5 Depth=1
	v_lshl_add_u64 v[112:113], v[60:61], 0, v[38:39]
	global_load_dword v15, v[112:113], off
	v_lshl_add_u64 v[112:113], v[62:63], 0, v[38:39]
	global_load_dword v31, v[112:113], off
.LBB59_34:                              ;   in Loop: Header=BB59_5 Depth=1
	s_or_b64 exec, exec, s[64:65]
	v_lshl_add_u64 v[112:113], v[104:105], 0, s[54:55]
	v_cmp_gt_i64_e32 vcc, s[8:9], v[112:113]
	s_and_b64 s[66:67], s[6:7], vcc
	s_and_saveexec_b64 s[64:65], s[66:67]
	s_cbranch_execz .LBB59_36
; %bb.35:                               ;   in Loop: Header=BB59_5 Depth=1
	v_lshl_add_u64 v[112:113], v[56:57], 0, v[38:39]
	global_load_dword v16, v[112:113], off
	v_lshl_add_u64 v[112:113], v[58:59], 0, v[38:39]
	global_load_dword v32, v[112:113], off
.LBB59_36:                              ;   in Loop: Header=BB59_5 Depth=1
	s_or_b64 exec, exec, s[64:65]
	v_lshl_add_u64 v[112:113], v[104:105], 0, s[56:57]
	v_cmp_gt_i64_e32 vcc, s[8:9], v[112:113]
	s_and_b64 s[66:67], s[6:7], vcc
	s_and_saveexec_b64 s[64:65], s[66:67]
	s_cbranch_execz .LBB59_38
; %bb.37:                               ;   in Loop: Header=BB59_5 Depth=1
	v_lshl_add_u64 v[112:113], v[52:53], 0, v[38:39]
	global_load_dword v17, v[112:113], off
	v_lshl_add_u64 v[112:113], v[54:55], 0, v[38:39]
	global_load_dword v33, v[112:113], off
.LBB59_38:                              ;   in Loop: Header=BB59_5 Depth=1
	s_or_b64 exec, exec, s[64:65]
	v_lshl_add_u64 v[112:113], v[104:105], 0, s[58:59]
	v_cmp_gt_i64_e32 vcc, s[8:9], v[112:113]
	s_and_b64 s[66:67], s[6:7], vcc
	s_and_saveexec_b64 s[64:65], s[66:67]
	s_cbranch_execz .LBB59_40
; %bb.39:                               ;   in Loop: Header=BB59_5 Depth=1
	v_lshl_add_u64 v[112:113], v[48:49], 0, v[38:39]
	global_load_dword v18, v[112:113], off
	v_lshl_add_u64 v[112:113], v[50:51], 0, v[38:39]
	global_load_dword v34, v[112:113], off
.LBB59_40:                              ;   in Loop: Header=BB59_5 Depth=1
	s_or_b64 exec, exec, s[64:65]
	v_lshl_add_u64 v[112:113], v[104:105], 0, s[60:61]
	v_cmp_gt_i64_e32 vcc, s[8:9], v[112:113]
	s_and_b64 s[66:67], s[6:7], vcc
	s_and_saveexec_b64 s[64:65], s[66:67]
	s_cbranch_execz .LBB59_42
; %bb.41:                               ;   in Loop: Header=BB59_5 Depth=1
	v_lshl_add_u64 v[112:113], v[44:45], 0, v[38:39]
	global_load_dword v19, v[112:113], off
	v_lshl_add_u64 v[112:113], v[46:47], 0, v[38:39]
	global_load_dword v35, v[112:113], off
.LBB59_42:                              ;   in Loop: Header=BB59_5 Depth=1
	s_or_b64 exec, exec, s[64:65]
	s_waitcnt vmcnt(1)
	ds_bpermute_b32 v3, v110, v107
	ds_bpermute_b32 v111, v110, v107 offset:4
	s_waitcnt vmcnt(0)
	ds_bpermute_b32 v112, v110, v106
	ds_bpermute_b32 v113, v110, v106 offset:4
	v_mov_b32_e32 v115, v7
	s_waitcnt lgkmcnt(3)
	v_sub_f32_e32 v3, v20, v3
	v_mul_f32_e32 v3, v4, v3
	s_waitcnt lgkmcnt(2)
	v_sub_f32_e32 v21, v21, v111
	s_waitcnt lgkmcnt(1)
	v_mul_f32_e32 v20, v3, v112
	ds_bpermute_b32 v3, v110, v107 offset:8
	v_mul_f32_e32 v21, v5, v21
	s_waitcnt lgkmcnt(1)
	v_mul_f32_e32 v112, v21, v113
	ds_bpermute_b32 v21, v110, v106 offset:8
	ds_bpermute_b32 v111, v110, v107 offset:12
	ds_bpermute_b32 v113, v110, v106 offset:12
	s_waitcnt lgkmcnt(3)
	v_sub_f32_e32 v3, v22, v3
	v_mul_f32_e32 v3, v6, v3
	s_waitcnt lgkmcnt(2)
	v_mul_f32_e32 v22, v3, v21
	s_waitcnt lgkmcnt(1)
	v_sub_f32_e32 v3, v23, v111
	ds_bpermute_b32 v21, v110, v107 offset:16
	v_mul_f32_e32 v3, v7, v3
	s_waitcnt lgkmcnt(1)
	v_mul_f32_e32 v114, v3, v113
	ds_bpermute_b32 v3, v110, v106 offset:16
	ds_bpermute_b32 v23, v110, v107 offset:20
	;; [unrolled: 1-line block ×3, first 2 shown]
	s_waitcnt lgkmcnt(3)
	v_sub_f32_e32 v21, v24, v21
	v_mul_f32_e32 v21, v8, v21
	s_waitcnt lgkmcnt(2)
	v_mul_f32_e32 v24, v21, v3
	s_waitcnt lgkmcnt(1)
	v_sub_f32_e32 v3, v25, v23
	v_mul_f32_e32 v3, v9, v3
	s_waitcnt lgkmcnt(0)
	v_mul_f32_e32 v116, v3, v111
	ds_bpermute_b32 v3, v110, v107 offset:24
	v_mov_b32_e32 v23, v6
	ds_bpermute_b32 v6, v110, v106 offset:24
	ds_bpermute_b32 v7, v110, v107 offset:28
	v_mov_b32_e32 v25, v8
	ds_bpermute_b32 v8, v110, v106 offset:28
	s_waitcnt lgkmcnt(3)
	v_sub_f32_e32 v3, v26, v3
	v_mul_f32_e32 v3, v10, v3
	s_waitcnt lgkmcnt(2)
	v_mul_f32_e32 v6, v3, v6
	s_waitcnt lgkmcnt(1)
	v_sub_f32_e32 v3, v27, v7
	ds_bpermute_b32 v7, v110, v107 offset:32
	v_mul_f32_e32 v3, v11, v3
	v_mov_b32_e32 v21, v4
	v_mov_b32_e32 v117, v9
	s_waitcnt lgkmcnt(1)
	v_mul_f32_e32 v8, v3, v8
	ds_bpermute_b32 v3, v110, v106 offset:32
	ds_bpermute_b32 v9, v110, v107 offset:36
	v_pk_add_f32 v[20:21], v[36:37], v[20:21]
	v_mov_b32_e32 v113, v5
	v_pk_add_f32 v[4:5], v[112:113], v[20:21]
	ds_bpermute_b32 v21, v110, v106 offset:36
	s_waitcnt lgkmcnt(3)
	v_sub_f32_e32 v7, v28, v7
	v_mul_f32_e32 v7, v12, v7
	s_waitcnt lgkmcnt(2)
	v_mul_f32_e32 v20, v7, v3
	s_waitcnt lgkmcnt(1)
	v_sub_f32_e32 v3, v29, v9
	ds_bpermute_b32 v7, v110, v107 offset:40
	v_mul_f32_e32 v3, v13, v3
	v_pk_add_f32 v[4:5], v[22:23], v[4:5]
	s_waitcnt lgkmcnt(1)
	v_mul_f32_e32 v22, v3, v21
	ds_bpermute_b32 v3, v110, v106 offset:40
	ds_bpermute_b32 v9, v110, v107 offset:44
	;; [unrolled: 1-line block ×3, first 2 shown]
	s_waitcnt lgkmcnt(3)
	v_sub_f32_e32 v7, v30, v7
	v_pk_add_f32 v[4:5], v[114:115], v[4:5]
	v_mul_f32_e32 v7, v14, v7
	v_pk_add_f32 v[4:5], v[24:25], v[4:5]
	s_waitcnt lgkmcnt(2)
	v_mul_f32_e32 v24, v7, v3
	s_waitcnt lgkmcnt(1)
	v_sub_f32_e32 v3, v31, v9
	ds_bpermute_b32 v7, v110, v107 offset:48
	v_mul_f32_e32 v3, v15, v3
	s_waitcnt lgkmcnt(1)
	v_mul_f32_e32 v26, v3, v21
	ds_bpermute_b32 v3, v110, v106 offset:48
	ds_bpermute_b32 v9, v110, v107 offset:52
	;; [unrolled: 1-line block ×3, first 2 shown]
	s_waitcnt lgkmcnt(3)
	v_sub_f32_e32 v7, v32, v7
	v_mul_f32_e32 v7, v16, v7
	v_pk_add_f32 v[4:5], v[116:117], v[4:5]
	s_waitcnt lgkmcnt(2)
	v_mul_f32_e32 v28, v7, v3
	s_waitcnt lgkmcnt(1)
	v_sub_f32_e32 v3, v33, v9
	v_mov_b32_e32 v7, v10
	v_mul_f32_e32 v3, v17, v3
	v_pk_add_f32 v[4:5], v[6:7], v[4:5]
	v_mov_b32_e32 v9, v11
	s_waitcnt lgkmcnt(0)
	v_mul_f32_e32 v30, v3, v21
	v_pk_add_f32 v[4:5], v[8:9], v[4:5]
	v_mov_b32_e32 v21, v12
	v_pk_add_f32 v[4:5], v[20:21], v[4:5]
	v_mov_b32_e32 v23, v13
	;; [unrolled: 2-line block ×3, first 2 shown]
	ds_bpermute_b32 v3, v110, v107 offset:56
	v_pk_add_f32 v[4:5], v[24:25], v[4:5]
	v_mov_b32_e32 v27, v15
	v_pk_add_f32 v[4:5], v[26:27], v[4:5]
	v_mov_b32_e32 v29, v16
	;; [unrolled: 2-line block ×3, first 2 shown]
	v_pk_add_f32 v[6:7], v[30:31], v[4:5]
	ds_bpermute_b32 v5, v110, v106 offset:56
	s_waitcnt lgkmcnt(1)
	v_sub_f32_e32 v3, v34, v3
	v_mul_f32_e32 v8, v18, v3
	ds_bpermute_b32 v3, v110, v106 offset:60
	ds_bpermute_b32 v4, v110, v107 offset:60
	s_waitcnt lgkmcnt(2)
	v_mul_f32_e32 v8, v8, v5
	v_mov_b32_e32 v9, v18
	v_pk_add_f32 v[106:107], v[8:9], v[6:7]
	s_mov_b64 s[64:65], 0
.LBB59_43:                              ;   in Loop: Header=BB59_5 Depth=1
	s_and_b64 vcc, exec, s[64:65]
	s_cbranch_vccz .LBB59_4
; %bb.44:                               ;   in Loop: Header=BB59_5 Depth=1
	s_load_dword s64, s[22:23], 0x0
	v_mov_b32_e32 v106, 0
	v_mov_b32_e32 v107, 0
	s_waitcnt lgkmcnt(0)
	s_cmp_lt_u32 s2, s64
	s_cselect_b32 s64, 12, 18
	s_add_u32 s64, s22, s64
	s_addc_u32 s65, s23, 0
	global_load_ushort v3, v2, s[64:65]
	s_waitcnt vmcnt(0)
	v_mad_u32_u24 v3, v109, v3, v108
	v_and_b32_e32 v4, 63, v3
	v_cmp_gt_u32_e32 vcc, 16, v4
	s_and_saveexec_b64 s[64:65], vcc
	s_cbranch_execz .LBB59_48
; %bb.45:                               ;   in Loop: Header=BB59_5 Depth=1
	v_mov_b32_e32 v5, v2
	v_lshl_add_u64 v[4:5], v[104:105], 0, v[4:5]
	v_lshl_add_u64 v[4:5], v[4:5], 0, s[28:29]
	v_cmp_gt_i64_e32 vcc, s[8:9], v[4:5]
	v_mov_b32_e32 v107, 0
	v_mov_b32_e32 v106, 0
	s_and_saveexec_b64 s[66:67], vcc
	s_cbranch_execz .LBB59_47
; %bb.46:                               ;   in Loop: Header=BB59_5 Depth=1
	v_lshlrev_b64 v[4:5], 2, v[4:5]
	v_lshl_add_u64 v[6:7], s[18:19], 0, v[4:5]
	v_lshl_add_u64 v[4:5], s[16:17], 0, v[4:5]
	global_load_dword v107, v[4:5], off
	global_load_dword v106, v[6:7], off
.LBB59_47:                              ;   in Loop: Header=BB59_5 Depth=1
	s_or_b64 exec, exec, s[66:67]
.LBB59_48:                              ;   in Loop: Header=BB59_5 Depth=1
	s_or_b64 exec, exec, s[64:65]
	v_mov_b32_e32 v16, v2
	v_mov_b32_e32 v17, v2
	;; [unrolled: 1-line block ×15, first 2 shown]
	v_mov_b64_e32 v[34:35], v[16:17]
	v_mov_b64_e32 v[32:33], v[14:15]
	;; [unrolled: 1-line block ×16, first 2 shown]
	s_and_saveexec_b64 s[64:65], s[6:7]
	s_cbranch_execnz .LBB59_64
; %bb.49:                               ;   in Loop: Header=BB59_5 Depth=1
	s_or_b64 exec, exec, s[64:65]
	s_and_saveexec_b64 s[64:65], s[6:7]
	s_cbranch_execnz .LBB59_65
.LBB59_50:                              ;   in Loop: Header=BB59_5 Depth=1
	s_or_b64 exec, exec, s[64:65]
	s_and_saveexec_b64 s[64:65], s[6:7]
	s_cbranch_execnz .LBB59_66
.LBB59_51:                              ;   in Loop: Header=BB59_5 Depth=1
	s_or_b64 exec, exec, s[64:65]
	s_and_saveexec_b64 s[64:65], s[6:7]
	s_cbranch_execnz .LBB59_67
.LBB59_52:                              ;   in Loop: Header=BB59_5 Depth=1
	s_or_b64 exec, exec, s[64:65]
	s_and_saveexec_b64 s[64:65], s[6:7]
	s_cbranch_execnz .LBB59_68
.LBB59_53:                              ;   in Loop: Header=BB59_5 Depth=1
	s_or_b64 exec, exec, s[64:65]
	s_and_saveexec_b64 s[64:65], s[6:7]
	s_cbranch_execnz .LBB59_69
.LBB59_54:                              ;   in Loop: Header=BB59_5 Depth=1
	s_or_b64 exec, exec, s[64:65]
	s_and_saveexec_b64 s[64:65], s[6:7]
	s_cbranch_execnz .LBB59_70
.LBB59_55:                              ;   in Loop: Header=BB59_5 Depth=1
	s_or_b64 exec, exec, s[64:65]
	s_and_saveexec_b64 s[64:65], s[6:7]
	s_cbranch_execnz .LBB59_71
.LBB59_56:                              ;   in Loop: Header=BB59_5 Depth=1
	s_or_b64 exec, exec, s[64:65]
	s_and_saveexec_b64 s[64:65], s[6:7]
	s_cbranch_execnz .LBB59_72
.LBB59_57:                              ;   in Loop: Header=BB59_5 Depth=1
	s_or_b64 exec, exec, s[64:65]
	s_and_saveexec_b64 s[64:65], s[6:7]
	s_cbranch_execnz .LBB59_73
.LBB59_58:                              ;   in Loop: Header=BB59_5 Depth=1
	s_or_b64 exec, exec, s[64:65]
	s_and_saveexec_b64 s[64:65], s[6:7]
	s_cbranch_execnz .LBB59_74
.LBB59_59:                              ;   in Loop: Header=BB59_5 Depth=1
	s_or_b64 exec, exec, s[64:65]
	s_and_saveexec_b64 s[64:65], s[6:7]
	s_cbranch_execnz .LBB59_75
.LBB59_60:                              ;   in Loop: Header=BB59_5 Depth=1
	s_or_b64 exec, exec, s[64:65]
	s_and_saveexec_b64 s[64:65], s[6:7]
	s_cbranch_execnz .LBB59_76
.LBB59_61:                              ;   in Loop: Header=BB59_5 Depth=1
	s_or_b64 exec, exec, s[64:65]
	s_and_saveexec_b64 s[64:65], s[6:7]
	s_cbranch_execnz .LBB59_77
.LBB59_62:                              ;   in Loop: Header=BB59_5 Depth=1
	s_or_b64 exec, exec, s[64:65]
	s_and_saveexec_b64 s[64:65], s[6:7]
	s_cbranch_execnz .LBB59_78
.LBB59_63:                              ;   in Loop: Header=BB59_5 Depth=1
	s_or_b64 exec, exec, s[64:65]
	s_and_saveexec_b64 s[64:65], s[6:7]
	s_cbranch_execz .LBB59_3
	s_branch .LBB59_79
.LBB59_64:                              ;   in Loop: Header=BB59_5 Depth=1
	v_lshl_add_u64 v[4:5], v[40:41], 0, v[38:39]
	v_lshl_add_u64 v[6:7], v[42:43], 0, v[38:39]
	global_load_dword v4, v[4:5], off
	v_mov_b32_e32 v5, v2
	global_load_dword v20, v[6:7], off
	v_mov_b32_e32 v6, v2
	v_mov_b32_e32 v7, v2
	;; [unrolled: 1-line block ×29, first 2 shown]
	s_or_b64 exec, exec, s[64:65]
	s_and_saveexec_b64 s[64:65], s[6:7]
	s_cbranch_execz .LBB59_50
.LBB59_65:                              ;   in Loop: Header=BB59_5 Depth=1
	v_lshl_add_u64 v[104:105], v[100:101], 0, v[38:39]
	global_load_dword v5, v[104:105], off
	v_lshl_add_u64 v[104:105], v[102:103], 0, v[38:39]
	global_load_dword v21, v[104:105], off
	s_or_b64 exec, exec, s[64:65]
	s_and_saveexec_b64 s[64:65], s[6:7]
	s_cbranch_execz .LBB59_51
.LBB59_66:                              ;   in Loop: Header=BB59_5 Depth=1
	v_lshl_add_u64 v[104:105], v[96:97], 0, v[38:39]
	global_load_dword v6, v[104:105], off
	v_lshl_add_u64 v[104:105], v[98:99], 0, v[38:39]
	global_load_dword v22, v[104:105], off
	s_or_b64 exec, exec, s[64:65]
	s_and_saveexec_b64 s[64:65], s[6:7]
	s_cbranch_execz .LBB59_52
.LBB59_67:                              ;   in Loop: Header=BB59_5 Depth=1
	v_lshl_add_u64 v[104:105], v[92:93], 0, v[38:39]
	global_load_dword v7, v[104:105], off
	v_lshl_add_u64 v[104:105], v[94:95], 0, v[38:39]
	global_load_dword v23, v[104:105], off
	s_or_b64 exec, exec, s[64:65]
	s_and_saveexec_b64 s[64:65], s[6:7]
	s_cbranch_execz .LBB59_53
.LBB59_68:                              ;   in Loop: Header=BB59_5 Depth=1
	v_lshl_add_u64 v[104:105], v[88:89], 0, v[38:39]
	global_load_dword v8, v[104:105], off
	v_lshl_add_u64 v[104:105], v[90:91], 0, v[38:39]
	global_load_dword v24, v[104:105], off
	s_or_b64 exec, exec, s[64:65]
	s_and_saveexec_b64 s[64:65], s[6:7]
	s_cbranch_execz .LBB59_54
.LBB59_69:                              ;   in Loop: Header=BB59_5 Depth=1
	v_lshl_add_u64 v[104:105], v[84:85], 0, v[38:39]
	global_load_dword v9, v[104:105], off
	v_lshl_add_u64 v[104:105], v[86:87], 0, v[38:39]
	global_load_dword v25, v[104:105], off
	s_or_b64 exec, exec, s[64:65]
	s_and_saveexec_b64 s[64:65], s[6:7]
	s_cbranch_execz .LBB59_55
.LBB59_70:                              ;   in Loop: Header=BB59_5 Depth=1
	v_lshl_add_u64 v[104:105], v[80:81], 0, v[38:39]
	global_load_dword v10, v[104:105], off
	v_lshl_add_u64 v[104:105], v[82:83], 0, v[38:39]
	global_load_dword v26, v[104:105], off
	s_or_b64 exec, exec, s[64:65]
	s_and_saveexec_b64 s[64:65], s[6:7]
	s_cbranch_execz .LBB59_56
.LBB59_71:                              ;   in Loop: Header=BB59_5 Depth=1
	v_lshl_add_u64 v[104:105], v[76:77], 0, v[38:39]
	global_load_dword v11, v[104:105], off
	v_lshl_add_u64 v[104:105], v[78:79], 0, v[38:39]
	global_load_dword v27, v[104:105], off
	s_or_b64 exec, exec, s[64:65]
	s_and_saveexec_b64 s[64:65], s[6:7]
	s_cbranch_execz .LBB59_57
.LBB59_72:                              ;   in Loop: Header=BB59_5 Depth=1
	v_lshl_add_u64 v[104:105], v[72:73], 0, v[38:39]
	global_load_dword v12, v[104:105], off
	v_lshl_add_u64 v[104:105], v[74:75], 0, v[38:39]
	global_load_dword v28, v[104:105], off
	s_or_b64 exec, exec, s[64:65]
	s_and_saveexec_b64 s[64:65], s[6:7]
	s_cbranch_execz .LBB59_58
.LBB59_73:                              ;   in Loop: Header=BB59_5 Depth=1
	v_lshl_add_u64 v[104:105], v[68:69], 0, v[38:39]
	global_load_dword v13, v[104:105], off
	v_lshl_add_u64 v[104:105], v[70:71], 0, v[38:39]
	global_load_dword v29, v[104:105], off
	s_or_b64 exec, exec, s[64:65]
	s_and_saveexec_b64 s[64:65], s[6:7]
	s_cbranch_execz .LBB59_59
.LBB59_74:                              ;   in Loop: Header=BB59_5 Depth=1
	v_lshl_add_u64 v[104:105], v[64:65], 0, v[38:39]
	global_load_dword v14, v[104:105], off
	v_lshl_add_u64 v[104:105], v[66:67], 0, v[38:39]
	global_load_dword v30, v[104:105], off
	s_or_b64 exec, exec, s[64:65]
	s_and_saveexec_b64 s[64:65], s[6:7]
	s_cbranch_execz .LBB59_60
.LBB59_75:                              ;   in Loop: Header=BB59_5 Depth=1
	v_lshl_add_u64 v[104:105], v[60:61], 0, v[38:39]
	global_load_dword v15, v[104:105], off
	v_lshl_add_u64 v[104:105], v[62:63], 0, v[38:39]
	global_load_dword v31, v[104:105], off
	s_or_b64 exec, exec, s[64:65]
	s_and_saveexec_b64 s[64:65], s[6:7]
	s_cbranch_execz .LBB59_61
.LBB59_76:                              ;   in Loop: Header=BB59_5 Depth=1
	v_lshl_add_u64 v[104:105], v[56:57], 0, v[38:39]
	global_load_dword v16, v[104:105], off
	v_lshl_add_u64 v[104:105], v[58:59], 0, v[38:39]
	global_load_dword v32, v[104:105], off
	s_or_b64 exec, exec, s[64:65]
	s_and_saveexec_b64 s[64:65], s[6:7]
	s_cbranch_execz .LBB59_62
.LBB59_77:                              ;   in Loop: Header=BB59_5 Depth=1
	v_lshl_add_u64 v[104:105], v[52:53], 0, v[38:39]
	global_load_dword v17, v[104:105], off
	v_lshl_add_u64 v[104:105], v[54:55], 0, v[38:39]
	global_load_dword v33, v[104:105], off
	s_or_b64 exec, exec, s[64:65]
	s_and_saveexec_b64 s[64:65], s[6:7]
	s_cbranch_execz .LBB59_63
.LBB59_78:                              ;   in Loop: Header=BB59_5 Depth=1
	v_lshl_add_u64 v[104:105], v[48:49], 0, v[38:39]
	global_load_dword v18, v[104:105], off
	v_lshl_add_u64 v[104:105], v[50:51], 0, v[38:39]
	global_load_dword v34, v[104:105], off
	s_or_b64 exec, exec, s[64:65]
	s_and_saveexec_b64 s[64:65], s[6:7]
	s_cbranch_execz .LBB59_3
.LBB59_79:                              ;   in Loop: Header=BB59_5 Depth=1
	v_lshl_add_u64 v[104:105], v[44:45], 0, v[38:39]
	global_load_dword v19, v[104:105], off
	v_lshl_add_u64 v[104:105], v[46:47], 0, v[38:39]
	global_load_dword v35, v[104:105], off
	s_branch .LBB59_3
.LBB59_80:
                                        ; implicit-def: $vgpr37
	s_branch .LBB59_82
.LBB59_81:
	s_cbranch_execnz .LBB59_130
.LBB59_82:
	v_mov_b32_e32 v37, 0
	s_and_b64 vcc, exec, s[4:5]
	v_mov_b32_e32 v36, v37
	s_cbranch_vccnz .LBB59_130
; %bb.83:
	v_mov_b32_e32 v2, 0
	v_bfe_u32 v25, v118, 10, 10
	v_lshlrev_b32_e32 v0, 6, v25
	v_mov_b32_e32 v1, v2
	v_lshl_add_u64 v[0:1], s[20:21], 2, v[0:1]
	v_lshl_add_u64 v[6:7], v[0:1], 0, 4
	v_mov_b64_e32 v[4:5], s[12:13]
	v_mad_u64_u32 v[8:9], s[4:5], s10, v6, v[4:5]
	v_mul_lo_u32 v3, s10, v7
	v_mul_lo_u32 v7, s11, v6
	v_add3_u32 v9, v7, v9, v3
	scratch_store_dwordx2 off, v[8:9], off  ; 8-byte Folded Spill
	v_lshl_add_u64 v[8:9], v[0:1], 0, 8
	v_mad_u64_u32 v[10:11], s[4:5], s10, v8, v[4:5]
	v_mul_lo_u32 v9, s10, v9
	v_mul_lo_u32 v20, s11, v8
	v_add3_u32 v11, v20, v11, v9
	scratch_store_dwordx2 off, v[10:11], off offset:8 ; 8-byte Folded Spill
	v_lshl_add_u64 v[10:11], v[0:1], 0, 12
	v_mad_u64_u32 v[12:13], s[4:5], s10, v10, v[4:5]
	v_mul_lo_u32 v11, s10, v11
	v_mul_lo_u32 v21, s11, v10
	v_add3_u32 v13, v21, v13, v11
	scratch_store_dwordx2 off, v[12:13], off offset:16 ; 8-byte Folded Spill
	;; [unrolled: 6-line block ×5, first 2 shown]
	v_mov_b64_e32 v[18:19], s[14:15]
	v_mad_u64_u32 v[26:27], s[4:5], s10, v6, v[18:19]
	v_add3_u32 v27, v7, v27, v3
	scratch_store_dwordx2 off, v[26:27], off offset:48 ; 8-byte Folded Spill
	v_mad_u64_u32 v[26:27], s[4:5], s10, v8, v[18:19]
	v_lshl_add_u64 v[6:7], v[0:1], 0, 28
	v_add3_u32 v27, v20, v27, v9
	scratch_store_dwordx2 off, v[26:27], off offset:56 ; 8-byte Folded Spill
	v_mad_u64_u32 v[8:9], s[4:5], s10, v6, v[4:5]
	v_mad_u64_u32 v[26:27], s[4:5], s10, v10, v[18:19]
	v_mul_lo_u32 v3, s10, v7
	v_mul_lo_u32 v7, s11, v6
	v_add3_u32 v27, v21, v27, v11
	v_add3_u32 v9, v7, v9, v3
	v_mad_u64_u32 v[10:11], s[4:5], s10, v14, v[18:19]
	scratch_store_dwordx2 off, v[8:9], off offset:64 ; 8-byte Folded Spill
	v_mad_u64_u32 v[8:9], s[4:5], s10, v12, v[18:19]
	v_add3_u32 v11, v23, v11, v15
	v_add3_u32 v9, v22, v9, v13
	scratch_store_dwordx2 off, v[10:11], off offset:88 ; 8-byte Folded Spill
	v_mad_u64_u32 v[10:11], s[4:5], s10, v16, v[18:19]
	scratch_store_dwordx2 off, v[8:9], off offset:80 ; 8-byte Folded Spill
	v_lshl_add_u64 v[8:9], v[0:1], 0, 32
	v_add3_u32 v11, v24, v11, v17
	v_mad_u64_u32 v[12:13], s[4:5], s10, v8, v[4:5]
	scratch_store_dwordx2 off, v[10:11], off offset:104 ; 8-byte Folded Spill
	v_mul_lo_u32 v9, s10, v9
	v_mul_lo_u32 v10, s11, v8
	v_add3_u32 v13, v10, v13, v9
	scratch_store_dwordx2 off, v[12:13], off offset:96 ; 8-byte Folded Spill
	v_mad_u64_u32 v[12:13], s[4:5], s10, v6, v[18:19]
	v_add3_u32 v13, v7, v13, v3
	scratch_store_dwordx2 off, v[12:13], off offset:112 ; 8-byte Folded Spill
	v_lshl_add_u64 v[6:7], v[0:1], 0, 36
	v_mad_u64_u32 v[12:13], s[4:5], s10, v8, v[18:19]
	v_add3_u32 v13, v10, v13, v9
	v_mul_lo_u32 v3, s10, v7
	v_mul_lo_u32 v7, s11, v6
	v_mad_u64_u32 v[8:9], s[4:5], s10, v6, v[4:5]
	v_add3_u32 v9, v7, v9, v3
	scratch_store_dwordx2 off, v[8:9], off offset:128 ; 8-byte Folded Spill
	v_mad_u64_u32 v[8:9], s[4:5], s10, v6, v[18:19]
	v_add3_u32 v9, v7, v9, v3
	v_lshl_add_u64 v[6:7], v[0:1], 0, 40
	scratch_store_dwordx2 off, v[8:9], off offset:136 ; 8-byte Folded Spill
	v_mul_lo_u32 v3, s10, v7
	v_mul_lo_u32 v7, s11, v6
	v_mad_u64_u32 v[8:9], s[4:5], s10, v6, v[4:5]
	v_add3_u32 v9, v7, v9, v3
	scratch_store_dwordx2 off, v[8:9], off offset:144 ; 8-byte Folded Spill
	v_mad_u64_u32 v[8:9], s[4:5], s10, v6, v[18:19]
	v_add3_u32 v9, v7, v9, v3
	v_lshl_add_u64 v[6:7], v[0:1], 0, 44
	scratch_store_dwordx2 off, v[8:9], off offset:152 ; 8-byte Folded Spill
	;; [unrolled: 9-line block ×3, first 2 shown]
	v_mul_lo_u32 v3, s10, v7
	v_mul_lo_u32 v7, s11, v6
	v_mad_u64_u32 v[8:9], s[4:5], s10, v6, v[4:5]
	v_mad_u64_u32 v[84:85], s[4:5], s10, v6, v[18:19]
	v_add3_u32 v9, v7, v9, v3
	v_add3_u32 v85, v7, v85, v3
	v_lshl_add_u64 v[6:7], v[0:1], 0, 52
	v_mul_lo_u32 v3, s10, v7
	v_mul_lo_u32 v7, s11, v6
	v_mad_u64_u32 v[86:87], s[4:5], s10, v6, v[4:5]
	v_mad_u64_u32 v[88:89], s[4:5], s10, v6, v[18:19]
	v_add3_u32 v87, v7, v87, v3
	v_add3_u32 v89, v7, v89, v3
	v_lshl_add_u64 v[6:7], v[0:1], 0, 56
	v_lshl_add_u64 v[0:1], v[0:1], 0, 60
	v_mad_u64_u32 v[94:95], s[4:5], s10, v0, v[4:5]
	v_mad_u64_u32 v[96:97], s[4:5], s10, v0, v[18:19]
	v_mul_lo_u32 v1, s10, v1
	v_mul_lo_u32 v0, s11, v0
	;; [unrolled: 1-line block ×4, first 2 shown]
	v_mad_u64_u32 v[90:91], s[4:5], s10, v6, v[4:5]
	v_mad_u64_u32 v[92:93], s[4:5], s10, v6, v[18:19]
	v_add3_u32 v95, v0, v95, v1
	v_add3_u32 v97, v0, v97, v1
	v_lshlrev_b32_e32 v0, 4, v25
	v_mov_b32_e32 v1, v2
	v_add3_u32 v91, v7, v91, v3
	v_add3_u32 v93, v7, v93, v3
	v_lshl_add_u64 v[6:7], v[0:1], 0, s[20:21]
	scratch_store_dwordx2 off, v[0:1], off offset:188 ; 8-byte Folded Spill
	v_lshl_add_u64 v[0:1], v[6:7], 0, 15
	v_mul_lo_u32 v3, s11, v0
	v_mul_lo_u32 v4, s10, v1
	v_mad_u64_u32 v[0:1], s[4:5], s10, v0, 0
	v_add3_u32 v1, v1, v4, v3
	v_lshl_add_u64 v[4:5], v[6:7], 0, 14
	scratch_store_dwordx2 off, v[8:9], off offset:176 ; 8-byte Folded Spill
	v_mul_lo_u32 v3, s11, v4
	v_mul_lo_u32 v8, s10, v5
	v_mad_u64_u32 v[4:5], s[4:5], s10, v4, 0
	v_add3_u32 v5, v5, v8, v3
	v_lshl_add_u64 v[8:9], v[6:7], 0, 13
	v_mul_lo_u32 v3, s11, v8
	v_mul_lo_u32 v10, s10, v9
	v_mad_u64_u32 v[8:9], s[4:5], s10, v8, 0
	v_add3_u32 v9, v9, v10, v3
	v_lshl_add_u64 v[10:11], v[6:7], 0, 12
	scratch_store_dwordx2 off, v[12:13], off offset:120 ; 8-byte Folded Spill
	v_mul_lo_u32 v3, s11, v10
	v_mul_lo_u32 v12, s10, v11
	v_mad_u64_u32 v[10:11], s[4:5], s10, v10, 0
	v_add3_u32 v11, v11, v12, v3
	v_lshl_add_u64 v[12:13], v[6:7], 0, 11
	v_mul_lo_u32 v3, s11, v12
	v_mul_lo_u32 v14, s10, v13
	v_mad_u64_u32 v[12:13], s[4:5], s10, v12, 0
	v_add3_u32 v13, v13, v14, v3
	v_lshl_add_u64 v[14:15], v[6:7], 0, 10
	;; [unrolled: 5-line block ×6, first 2 shown]
	v_mul_lo_u32 v3, s11, v22
	v_mul_lo_u32 v24, s10, v23
	v_mad_u64_u32 v[22:23], s[4:5], s10, v22, 0
	scratch_store_dword off, v25, off offset:184 ; 4-byte Folded Spill
	v_add3_u32 v23, v23, v24, v3
	v_lshl_add_u64 v[24:25], v[6:7], 0, 5
	scratch_store_dwordx2 off, v[26:27], off offset:72 ; 8-byte Folded Spill
	v_mul_lo_u32 v3, s11, v24
	v_mul_lo_u32 v26, s10, v25
	v_mad_u64_u32 v[24:25], s[4:5], s10, v24, 0
	v_add3_u32 v25, v25, v26, v3
	v_lshl_add_u64 v[26:27], v[6:7], 0, 4
	v_mul_lo_u32 v3, s11, v26
	v_mul_lo_u32 v28, s10, v27
	v_mad_u64_u32 v[26:27], s[4:5], s10, v26, 0
	v_add3_u32 v27, v27, v28, v3
	v_lshl_add_u64 v[28:29], v[6:7], 0, 3
	;; [unrolled: 5-line block ×3, first 2 shown]
	v_lshlrev_b64 v[0:1], 2, v[0:1]
	v_mul_lo_u32 v3, s11, v30
	v_mul_lo_u32 v32, s10, v31
	v_mad_u64_u32 v[30:31], s[4:5], s10, v30, 0
	v_lshl_add_u64 v[106:107], s[12:13], 0, v[0:1]
	v_lshl_add_u64 v[108:109], s[14:15], 0, v[0:1]
	v_lshlrev_b64 v[0:1], 2, v[4:5]
	v_add3_u32 v31, v31, v32, v3
	v_mov_b64_e32 v[32:33], s[10:11]
	v_lshl_add_u64 v[110:111], s[12:13], 0, v[0:1]
	v_lshl_add_u64 v[112:113], s[14:15], 0, v[0:1]
	v_lshlrev_b64 v[0:1], 2, v[8:9]
	v_mad_u64_u32 v[32:33], s[4:5], s10, v6, v[32:33]
	v_mul_lo_u32 v3, s11, v6
	v_mul_lo_u32 v34, s10, v7
	v_mad_u64_u32 v[6:7], s[4:5], s10, v6, 0
	v_lshl_add_u64 v[114:115], s[12:13], 0, v[0:1]
	v_lshl_add_u64 v[116:117], s[14:15], 0, v[0:1]
	v_lshlrev_b64 v[0:1], 2, v[10:11]
	v_add3_u32 v7, v7, v34, v3
	v_add3_u32 v33, v3, v33, v34
	scratch_store_dword off, v118, off offset:200 ; 4-byte Folded Spill
	v_and_b32_e32 v3, 0x3ff, v118
	v_lshl_add_u64 v[118:119], s[12:13], 0, v[0:1]
	v_lshl_add_u64 v[120:121], s[14:15], 0, v[0:1]
	v_lshlrev_b64 v[0:1], 2, v[12:13]
	s_load_dword s3, s[0:1], 0x44
	v_lshl_add_u64 v[122:123], s[12:13], 0, v[0:1]
	v_lshl_add_u64 v[124:125], s[14:15], 0, v[0:1]
	v_lshlrev_b64 v[0:1], 2, v[14:15]
	v_lshlrev_b64 v[4:5], 2, v[16:17]
	v_lshl_add_u64 v[126:127], s[12:13], 0, v[0:1]
	v_lshl_add_u64 v[98:99], s[14:15], 0, v[0:1]
	;; [unrolled: 1-line block ×4, first 2 shown]
	v_lshlrev_b64 v[4:5], 2, v[18:19]
	v_lshl_add_u64 v[40:41], s[12:13], 0, v[4:5]
	v_lshl_add_u64 v[42:43], s[14:15], 0, v[4:5]
	v_lshlrev_b64 v[4:5], 2, v[20:21]
	v_lshl_add_u64 v[44:45], s[12:13], 0, v[4:5]
	v_lshl_add_u64 v[46:47], s[14:15], 0, v[4:5]
	v_lshlrev_b64 v[4:5], 2, v[22:23]
	s_add_u32 s4, s0, 64
	v_lshl_add_u64 v[48:49], s[12:13], 0, v[4:5]
	v_lshl_add_u64 v[50:51], s[14:15], 0, v[4:5]
	v_lshlrev_b64 v[4:5], 2, v[24:25]
	s_addc_u32 s5, s1, 0
	s_waitcnt lgkmcnt(0)
	s_lshl_b32 s3, s3, 8
	v_lshl_add_u64 v[52:53], s[12:13], 0, v[4:5]
	v_lshl_add_u64 v[54:55], s[14:15], 0, v[4:5]
	v_lshlrev_b64 v[4:5], 2, v[26:27]
	s_mul_i32 s6, s11, s3
	s_mul_hi_u32 s7, s10, s3
	v_lshl_add_u64 v[56:57], s[12:13], 0, v[4:5]
	v_lshl_add_u64 v[58:59], s[14:15], 0, v[4:5]
	v_lshlrev_b64 v[4:5], 2, v[28:29]
	scratch_store_dword off, v3, off offset:196 ; 4-byte Folded Spill
	v_add_u32_e32 v34, s33, v3
	s_add_i32 s7, s7, s6
	s_mul_i32 s6, s10, s3
	v_lshl_add_u64 v[60:61], s[12:13], 0, v[4:5]
	v_lshl_add_u64 v[62:63], s[14:15], 0, v[4:5]
	v_lshlrev_b64 v[4:5], 2, v[30:31]
	v_mbcnt_lo_u32_b32 v3, -1, 0
	v_lshlrev_b64 v[6:7], 2, v[6:7]
	s_lshl_b64 s[6:7], s[6:7], 2
	v_lshl_add_u64 v[64:65], s[12:13], 0, v[4:5]
	v_lshl_add_u64 v[66:67], s[14:15], 0, v[4:5]
	v_lshlrev_b64 v[4:5], 2, v[32:33]
	v_mbcnt_hi_u32_b32 v3, -1, v3
	v_mov_b32_e32 v35, v2
	v_lshl_add_u64 v[102:103], s[12:13], 0, v[6:7]
	v_lshl_add_u64 v[104:105], s[14:15], 0, v[6:7]
	s_add_u32 s22, s20, 0xff
	v_lshl_add_u64 v[68:69], s[12:13], 0, v[4:5]
	v_lshl_add_u64 v[70:71], s[14:15], 0, v[4:5]
	s_movk_i32 s12, 0xff01
	s_movk_i32 s14, 0xff02
	;; [unrolled: 1-line block ×16, first 2 shown]
	v_lshlrev_b32_e32 v3, 2, v3
	v_lshlrev_b64 v[100:101], 2, v[34:35]
	s_addc_u32 s23, 0, 0
	s_mov_b32 s13, -1
	s_mov_b32 s15, -1
	;; [unrolled: 1-line block ×16, first 2 shown]
	v_and_b32_e32 v74, 0x100, v3
	v_mov_b32_e32 v36, 0
	v_mov_b32_e32 v37, v2
	s_branch .LBB59_87
.LBB59_84:                              ;   in Loop: Header=BB59_87 Depth=1
	s_or_b64 exec, exec, s[56:57]
.LBB59_85:                              ;   in Loop: Header=BB59_87 Depth=1
	s_or_b64 exec, exec, s[54:55]
	v_lshl_add_u64 v[4:5], v[102:103], 0, v[100:101]
	global_load_dword v25, v[4:5], off
	v_lshl_add_u64 v[4:5], v[104:105], 0, v[100:101]
	global_load_dword v24, v[4:5], off
	s_nop 0
	scratch_load_dwordx2 v[4:5], off, off   ; 8-byte Folded Reload
	v_lshl_add_u64 v[72:73], v[92:93], 0, v[100:101]
	s_waitcnt vmcnt(4)
	ds_bpermute_b32 v75, v74, v3
	s_waitcnt vmcnt(1) lgkmcnt(0)
	v_sub_f32_e32 v24, v24, v75
	s_waitcnt vmcnt(0)
	v_lshl_add_u64 v[4:5], v[4:5], 0, v[100:101]
	global_load_dword v27, v[4:5], off
	s_nop 0
	scratch_load_dwordx2 v[4:5], off, off offset:48 ; 8-byte Folded Reload
	ds_bpermute_b32 v75, v74, v3 offset:4
	v_mul_f32_e32 v24, v25, v24
	s_waitcnt vmcnt(0)
	v_lshl_add_u64 v[4:5], v[4:5], 0, v[100:101]
	global_load_dword v26, v[4:5], off
	s_nop 0
	scratch_load_dwordx2 v[4:5], off, off offset:8 ; 8-byte Folded Reload
	s_waitcnt vmcnt(1) lgkmcnt(0)
	v_sub_f32_e32 v26, v26, v75
	s_waitcnt vmcnt(0)
	v_lshl_add_u64 v[4:5], v[4:5], 0, v[100:101]
	global_load_dword v29, v[4:5], off
	s_nop 0
	scratch_load_dwordx2 v[4:5], off, off offset:56 ; 8-byte Folded Reload
	v_mul_f32_e32 v26, v27, v26
	ds_bpermute_b32 v75, v74, v3 offset:8
	s_waitcnt vmcnt(0)
	v_lshl_add_u64 v[4:5], v[4:5], 0, v[100:101]
	global_load_dword v28, v[4:5], off
	s_nop 0
	scratch_load_dwordx2 v[4:5], off, off offset:16 ; 8-byte Folded Reload
	s_waitcnt vmcnt(1) lgkmcnt(0)
	v_sub_f32_e32 v28, v28, v75
	s_waitcnt vmcnt(0)
	v_lshl_add_u64 v[4:5], v[4:5], 0, v[100:101]
	global_load_dword v31, v[4:5], off
	s_nop 0
	scratch_load_dwordx2 v[4:5], off, off offset:72 ; 8-byte Folded Reload
	ds_bpermute_b32 v75, v74, v3 offset:12
	v_mul_f32_e32 v28, v29, v28
	s_waitcnt vmcnt(0)
	v_lshl_add_u64 v[4:5], v[4:5], 0, v[100:101]
	global_load_dword v30, v[4:5], off
	s_nop 0
	scratch_load_dwordx2 v[4:5], off, off offset:24 ; 8-byte Folded Reload
	s_waitcnt vmcnt(1) lgkmcnt(0)
	v_sub_f32_e32 v30, v30, v75
	s_waitcnt vmcnt(0)
	v_lshl_add_u64 v[4:5], v[4:5], 0, v[100:101]
	global_load_dword v33, v[4:5], off
	s_nop 0
	scratch_load_dwordx2 v[4:5], off, off offset:80 ; 8-byte Folded Reload
	ds_bpermute_b32 v75, v74, v3 offset:16
	v_mul_f32_e32 v30, v31, v30
	;; [unrolled: 14-line block ×3, first 2 shown]
	s_waitcnt vmcnt(0)
	v_lshl_add_u64 v[4:5], v[4:5], 0, v[100:101]
	global_load_dword v34, v[4:5], off
	s_nop 0
	scratch_load_dwordx2 v[4:5], off, off offset:40 ; 8-byte Folded Reload
	s_waitcnt vmcnt(1) lgkmcnt(0)
	v_sub_f32_e32 v34, v34, v75
	s_waitcnt vmcnt(0)
	v_lshl_add_u64 v[4:5], v[4:5], 0, v[100:101]
	global_load_dword v5, v[4:5], off
	s_nop 0
	scratch_load_dwordx2 v[6:7], off, off offset:104 ; 8-byte Folded Reload
	v_mul_f32_e32 v34, v35, v34
	s_waitcnt vmcnt(0)
	v_lshl_add_u64 v[6:7], v[6:7], 0, v[100:101]
	global_load_dword v4, v[6:7], off
	s_nop 0
	scratch_load_dwordx2 v[6:7], off, off offset:64 ; 8-byte Folded Reload
	s_waitcnt vmcnt(0)
	v_lshl_add_u64 v[6:7], v[6:7], 0, v[100:101]
	global_load_dword v7, v[6:7], off
	s_nop 0
	scratch_load_dwordx2 v[8:9], off, off offset:112 ; 8-byte Folded Reload
	s_waitcnt vmcnt(0)
	v_lshl_add_u64 v[8:9], v[8:9], 0, v[100:101]
	global_load_dword v6, v[8:9], off
	s_nop 0
	scratch_load_dwordx2 v[8:9], off, off offset:96 ; 8-byte Folded Reload
	s_waitcnt vmcnt(0)
	v_lshl_add_u64 v[8:9], v[8:9], 0, v[100:101]
	global_load_dword v9, v[8:9], off
	s_nop 0
	scratch_load_dwordx2 v[10:11], off, off offset:120 ; 8-byte Folded Reload
	s_waitcnt vmcnt(0)
	v_lshl_add_u64 v[10:11], v[10:11], 0, v[100:101]
	global_load_dword v8, v[10:11], off
	s_nop 0
	scratch_load_dwordx2 v[10:11], off, off offset:128 ; 8-byte Folded Reload
	s_waitcnt vmcnt(0)
	v_lshl_add_u64 v[10:11], v[10:11], 0, v[100:101]
	global_load_dword v11, v[10:11], off
	s_nop 0
	scratch_load_dwordx2 v[12:13], off, off offset:136 ; 8-byte Folded Reload
	s_waitcnt vmcnt(0)
	v_lshl_add_u64 v[12:13], v[12:13], 0, v[100:101]
	global_load_dword v10, v[12:13], off
	s_nop 0
	scratch_load_dwordx2 v[12:13], off, off offset:144 ; 8-byte Folded Reload
	s_waitcnt vmcnt(0)
	v_lshl_add_u64 v[12:13], v[12:13], 0, v[100:101]
	global_load_dword v15, v[12:13], off
	s_nop 0
	scratch_load_dwordx2 v[12:13], off, off offset:152 ; 8-byte Folded Reload
	s_waitcnt vmcnt(0)
	v_lshl_add_u64 v[12:13], v[12:13], 0, v[100:101]
	global_load_dword v14, v[12:13], off
	s_nop 0
	scratch_load_dwordx2 v[12:13], off, off offset:160 ; 8-byte Folded Reload
	s_waitcnt vmcnt(0)
	v_lshl_add_u64 v[12:13], v[12:13], 0, v[100:101]
	global_load_dword v17, v[12:13], off
	s_nop 0
	scratch_load_dwordx2 v[12:13], off, off offset:168 ; 8-byte Folded Reload
	s_waitcnt vmcnt(0)
	v_lshl_add_u64 v[12:13], v[12:13], 0, v[100:101]
	global_load_dword v16, v[12:13], off
	s_nop 0
	scratch_load_dwordx2 v[12:13], off, off offset:176 ; 8-byte Folded Reload
	s_waitcnt vmcnt(0)
	v_lshl_add_u64 v[12:13], v[12:13], 0, v[100:101]
	global_load_dword v21, v[12:13], off
	v_lshl_add_u64 v[12:13], v[84:85], 0, v[100:101]
	global_load_dword v20, v[12:13], off
	;; [unrolled: 2-line block ×5, first 2 shown]
	s_nop 0
	global_load_dword v12, v[72:73], off
	v_lshl_add_u64 v[72:73], v[94:95], 0, v[100:101]
	global_load_dword v19, v[72:73], off
	v_lshl_add_u64 v[72:73], v[96:97], 0, v[100:101]
	global_load_dword v72, v[72:73], off
	ds_bpermute_b32 v73, v74, v18
	s_waitcnt lgkmcnt(0)
	v_mul_f32_e32 v24, v24, v73
	ds_bpermute_b32 v73, v74, v18 offset:4
	v_pk_add_f32 v[24:25], v[36:37], v[24:25]
	s_waitcnt lgkmcnt(0)
	v_mul_f32_e32 v26, v26, v73
	v_pk_add_f32 v[24:25], v[24:25], v[26:27]
	ds_bpermute_b32 v27, v74, v3 offset:24
	ds_bpermute_b32 v26, v74, v18 offset:24
	;; [unrolled: 1-line block ×3, first 2 shown]
	s_waitcnt lgkmcnt(2)
	v_sub_f32_e32 v4, v4, v27
	ds_bpermute_b32 v27, v74, v3 offset:28
	v_mul_f32_e32 v4, v5, v4
	s_waitcnt lgkmcnt(2)
	v_mul_f32_e32 v4, v4, v26
	ds_bpermute_b32 v26, v74, v18 offset:28
	s_waitcnt lgkmcnt(2)
	v_mul_f32_e32 v28, v28, v73
	s_waitcnt lgkmcnt(1)
	v_sub_f32_e32 v6, v6, v27
	ds_bpermute_b32 v27, v74, v3 offset:32
	v_mul_f32_e32 v6, v7, v6
	s_waitcnt lgkmcnt(1)
	v_mul_f32_e32 v6, v6, v26
	ds_bpermute_b32 v26, v74, v18 offset:32
	ds_bpermute_b32 v73, v74, v18 offset:12
	s_waitcnt lgkmcnt(2)
	v_sub_f32_e32 v8, v8, v27
	ds_bpermute_b32 v27, v74, v3 offset:36
	v_mul_f32_e32 v8, v9, v8
	s_waitcnt lgkmcnt(2)
	v_mul_f32_e32 v8, v8, v26
	ds_bpermute_b32 v26, v74, v18 offset:36
	s_waitcnt lgkmcnt(2)
	v_mul_f32_e32 v30, v30, v73
	ds_bpermute_b32 v73, v74, v18 offset:16
	s_waitcnt lgkmcnt(2)
	v_sub_f32_e32 v10, v10, v27
	ds_bpermute_b32 v27, v74, v3 offset:40
	v_mul_f32_e32 v10, v11, v10
	s_waitcnt lgkmcnt(2)
	v_mul_f32_e32 v10, v10, v26
	ds_bpermute_b32 v26, v74, v18 offset:40
	s_waitcnt lgkmcnt(2)
	v_mul_f32_e32 v32, v32, v73
	ds_bpermute_b32 v73, v74, v18 offset:20
	s_waitcnt lgkmcnt(2)
	v_sub_f32_e32 v14, v14, v27
	ds_bpermute_b32 v27, v74, v3 offset:44
	v_mul_f32_e32 v14, v15, v14
	v_pk_add_f32 v[24:25], v[24:25], v[28:29]
	s_waitcnt lgkmcnt(2)
	v_mul_f32_e32 v14, v14, v26
	ds_bpermute_b32 v26, v74, v18 offset:44
	v_pk_add_f32 v[24:25], v[24:25], v[30:31]
	s_waitcnt lgkmcnt(2)
	v_mul_f32_e32 v34, v34, v73
	v_pk_add_f32 v[24:25], v[24:25], v[32:33]
	s_waitcnt lgkmcnt(1)
	v_sub_f32_e32 v16, v16, v27
	v_pk_add_f32 v[24:25], v[24:25], v[34:35]
	ds_bpermute_b32 v27, v74, v3 offset:48
	v_mul_f32_e32 v16, v17, v16
	v_pk_add_f32 v[4:5], v[24:25], v[4:5]
	s_waitcnt lgkmcnt(1)
	v_mul_f32_e32 v16, v16, v26
	ds_bpermute_b32 v26, v74, v18 offset:48
	v_pk_add_f32 v[4:5], v[4:5], v[6:7]
	ds_bpermute_b32 v7, v74, v3 offset:56
	ds_bpermute_b32 v6, v74, v18 offset:56
	v_pk_add_f32 v[4:5], v[4:5], v[8:9]
	s_waitcnt vmcnt(6) lgkmcnt(3)
	v_sub_f32_e32 v20, v20, v27
	ds_bpermute_b32 v27, v74, v3 offset:52
	v_mul_f32_e32 v20, v21, v20
	s_waitcnt lgkmcnt(3)
	v_mul_f32_e32 v20, v20, v26
	ds_bpermute_b32 v26, v74, v18 offset:52
	ds_bpermute_b32 v3, v74, v3 offset:60
	v_pk_add_f32 v[4:5], v[4:5], v[10:11]
	s_waitcnt vmcnt(4) lgkmcnt(2)
	v_sub_f32_e32 v22, v22, v27
	s_waitcnt vmcnt(2)
	v_sub_f32_e32 v7, v12, v7
	v_mul_f32_e32 v7, v13, v7
	v_mul_f32_e32 v12, v7, v6
	ds_bpermute_b32 v6, v74, v18 offset:60
	v_pk_add_f32 v[4:5], v[4:5], v[14:15]
	v_mul_f32_e32 v22, v23, v22
	v_pk_add_f32 v[4:5], v[4:5], v[16:17]
	s_waitcnt lgkmcnt(2)
	v_mul_f32_e32 v22, v22, v26
	v_pk_add_f32 v[4:5], v[4:5], v[20:21]
	s_waitcnt vmcnt(0) lgkmcnt(1)
	v_sub_f32_e32 v3, v72, v3
	v_pk_add_f32 v[4:5], v[4:5], v[22:23]
	v_mul_f32_e32 v3, v19, v3
	v_pk_add_f32 v[4:5], v[4:5], v[12:13]
	s_waitcnt lgkmcnt(0)
	v_mul_f32_e32 v18, v3, v6
.LBB59_86:                              ;   in Loop: Header=BB59_87 Depth=1
	s_add_u32 s20, s20, s3
	v_pk_add_f32 v[36:37], v[4:5], v[18:19]
	s_addc_u32 s21, s21, 0
	v_mov_b64_e32 v[4:5], s[8:9]
	v_cmp_ge_i64_e32 vcc, s[20:21], v[4:5]
	scratch_load_dwordx2 v[4:5], off, off   ; 8-byte Folded Reload
	s_add_u32 s22, s22, s3
	v_lshl_add_u64 v[102:103], v[102:103], 0, s[6:7]
	v_lshl_add_u64 v[104:105], v[104:105], 0, s[6:7]
	s_addc_u32 s23, s23, 0
	v_lshl_add_u64 v[86:87], v[86:87], 0, s[6:7]
	v_lshl_add_u64 v[90:91], v[90:91], 0, s[6:7]
	v_lshl_add_u64 v[94:95], v[94:95], 0, s[6:7]
	v_lshl_add_u64 v[84:85], v[84:85], 0, s[6:7]
	v_lshl_add_u64 v[88:89], v[88:89], 0, s[6:7]
	v_lshl_add_u64 v[92:93], v[92:93], 0, s[6:7]
	v_lshl_add_u64 v[96:97], v[96:97], 0, s[6:7]
	v_lshl_add_u64 v[106:107], v[106:107], 0, s[6:7]
	v_lshl_add_u64 v[108:109], v[108:109], 0, s[6:7]
	v_lshl_add_u64 v[110:111], v[110:111], 0, s[6:7]
	v_lshl_add_u64 v[112:113], v[112:113], 0, s[6:7]
	v_lshl_add_u64 v[114:115], v[114:115], 0, s[6:7]
	v_lshl_add_u64 v[116:117], v[116:117], 0, s[6:7]
	v_lshl_add_u64 v[118:119], v[118:119], 0, s[6:7]
	v_lshl_add_u64 v[120:121], v[120:121], 0, s[6:7]
	v_lshl_add_u64 v[122:123], v[122:123], 0, s[6:7]
	v_lshl_add_u64 v[124:125], v[124:125], 0, s[6:7]
	v_lshl_add_u64 v[126:127], v[126:127], 0, s[6:7]
	v_lshl_add_u64 v[98:99], v[98:99], 0, s[6:7]
	v_lshl_add_u64 v[0:1], v[0:1], 0, s[6:7]
	v_lshl_add_u64 v[38:39], v[38:39], 0, s[6:7]
	v_lshl_add_u64 v[40:41], v[40:41], 0, s[6:7]
	v_lshl_add_u64 v[42:43], v[42:43], 0, s[6:7]
	v_lshl_add_u64 v[44:45], v[44:45], 0, s[6:7]
	v_lshl_add_u64 v[46:47], v[46:47], 0, s[6:7]
	v_lshl_add_u64 v[48:49], v[48:49], 0, s[6:7]
	v_lshl_add_u64 v[50:51], v[50:51], 0, s[6:7]
	v_lshl_add_u64 v[52:53], v[52:53], 0, s[6:7]
	v_lshl_add_u64 v[54:55], v[54:55], 0, s[6:7]
	v_lshl_add_u64 v[56:57], v[56:57], 0, s[6:7]
	v_lshl_add_u64 v[58:59], v[58:59], 0, s[6:7]
	v_lshl_add_u64 v[60:61], v[60:61], 0, s[6:7]
	v_lshl_add_u64 v[62:63], v[62:63], 0, s[6:7]
	v_lshl_add_u64 v[64:65], v[64:65], 0, s[6:7]
	v_lshl_add_u64 v[66:67], v[66:67], 0, s[6:7]
	v_lshl_add_u64 v[68:69], v[68:69], 0, s[6:7]
	v_lshl_add_u64 v[70:71], v[70:71], 0, s[6:7]
	s_and_b64 vcc, exec, vcc
	s_waitcnt vmcnt(0)
	v_lshl_add_u64 v[4:5], v[4:5], 0, s[6:7]
	scratch_store_dwordx2 off, v[4:5], off  ; 8-byte Folded Spill
	scratch_load_dwordx2 v[4:5], off, off offset:8 ; 8-byte Folded Reload
	s_waitcnt vmcnt(0)
	v_lshl_add_u64 v[4:5], v[4:5], 0, s[6:7]
	scratch_store_dwordx2 off, v[4:5], off offset:8 ; 8-byte Folded Spill
	scratch_load_dwordx2 v[4:5], off, off offset:16 ; 8-byte Folded Reload
	s_waitcnt vmcnt(0)
	v_lshl_add_u64 v[4:5], v[4:5], 0, s[6:7]
	scratch_store_dwordx2 off, v[4:5], off offset:16 ; 8-byte Folded Spill
	scratch_load_dwordx2 v[4:5], off, off offset:24 ; 8-byte Folded Reload
	s_waitcnt vmcnt(0)
	v_lshl_add_u64 v[4:5], v[4:5], 0, s[6:7]
	scratch_store_dwordx2 off, v[4:5], off offset:24 ; 8-byte Folded Spill
	scratch_load_dwordx2 v[4:5], off, off offset:32 ; 8-byte Folded Reload
	s_waitcnt vmcnt(0)
	v_lshl_add_u64 v[4:5], v[4:5], 0, s[6:7]
	scratch_store_dwordx2 off, v[4:5], off offset:32 ; 8-byte Folded Spill
	scratch_load_dwordx2 v[4:5], off, off offset:40 ; 8-byte Folded Reload
	s_waitcnt vmcnt(0)
	v_lshl_add_u64 v[4:5], v[4:5], 0, s[6:7]
	scratch_store_dwordx2 off, v[4:5], off offset:40 ; 8-byte Folded Spill
	scratch_load_dwordx2 v[4:5], off, off offset:64 ; 8-byte Folded Reload
	s_waitcnt vmcnt(0)
	v_lshl_add_u64 v[4:5], v[4:5], 0, s[6:7]
	scratch_store_dwordx2 off, v[4:5], off offset:64 ; 8-byte Folded Spill
	scratch_load_dwordx2 v[4:5], off, off offset:96 ; 8-byte Folded Reload
	s_waitcnt vmcnt(0)
	v_lshl_add_u64 v[4:5], v[4:5], 0, s[6:7]
	scratch_store_dwordx2 off, v[4:5], off offset:96 ; 8-byte Folded Spill
	scratch_load_dwordx2 v[4:5], off, off offset:128 ; 8-byte Folded Reload
	s_waitcnt vmcnt(0)
	v_lshl_add_u64 v[4:5], v[4:5], 0, s[6:7]
	scratch_store_dwordx2 off, v[4:5], off offset:128 ; 8-byte Folded Spill
	scratch_load_dwordx2 v[4:5], off, off offset:144 ; 8-byte Folded Reload
	s_waitcnt vmcnt(0)
	v_lshl_add_u64 v[4:5], v[4:5], 0, s[6:7]
	scratch_store_dwordx2 off, v[4:5], off offset:144 ; 8-byte Folded Spill
	scratch_load_dwordx2 v[4:5], off, off offset:160 ; 8-byte Folded Reload
	s_waitcnt vmcnt(0)
	v_lshl_add_u64 v[4:5], v[4:5], 0, s[6:7]
	scratch_store_dwordx2 off, v[4:5], off offset:160 ; 8-byte Folded Spill
	scratch_load_dwordx2 v[4:5], off, off offset:176 ; 8-byte Folded Reload
	s_waitcnt vmcnt(0)
	v_lshl_add_u64 v[4:5], v[4:5], 0, s[6:7]
	scratch_store_dwordx2 off, v[4:5], off offset:176 ; 8-byte Folded Spill
	scratch_load_dwordx2 v[4:5], off, off offset:48 ; 8-byte Folded Reload
	s_waitcnt vmcnt(0)
	v_lshl_add_u64 v[4:5], v[4:5], 0, s[6:7]
	scratch_store_dwordx2 off, v[4:5], off offset:48 ; 8-byte Folded Spill
	scratch_load_dwordx2 v[4:5], off, off offset:56 ; 8-byte Folded Reload
	s_waitcnt vmcnt(0)
	v_lshl_add_u64 v[4:5], v[4:5], 0, s[6:7]
	scratch_store_dwordx2 off, v[4:5], off offset:56 ; 8-byte Folded Spill
	scratch_load_dwordx2 v[4:5], off, off offset:72 ; 8-byte Folded Reload
	s_waitcnt vmcnt(0)
	v_lshl_add_u64 v[4:5], v[4:5], 0, s[6:7]
	scratch_store_dwordx2 off, v[4:5], off offset:72 ; 8-byte Folded Spill
	scratch_load_dwordx2 v[4:5], off, off offset:80 ; 8-byte Folded Reload
	s_waitcnt vmcnt(0)
	v_lshl_add_u64 v[4:5], v[4:5], 0, s[6:7]
	scratch_store_dwordx2 off, v[4:5], off offset:80 ; 8-byte Folded Spill
	scratch_load_dwordx2 v[4:5], off, off offset:88 ; 8-byte Folded Reload
	s_waitcnt vmcnt(0)
	v_lshl_add_u64 v[4:5], v[4:5], 0, s[6:7]
	scratch_store_dwordx2 off, v[4:5], off offset:88 ; 8-byte Folded Spill
	scratch_load_dwordx2 v[4:5], off, off offset:104 ; 8-byte Folded Reload
	s_waitcnt vmcnt(0)
	v_lshl_add_u64 v[4:5], v[4:5], 0, s[6:7]
	scratch_store_dwordx2 off, v[4:5], off offset:104 ; 8-byte Folded Spill
	scratch_load_dwordx2 v[4:5], off, off offset:112 ; 8-byte Folded Reload
	s_waitcnt vmcnt(0)
	v_lshl_add_u64 v[4:5], v[4:5], 0, s[6:7]
	scratch_store_dwordx2 off, v[4:5], off offset:112 ; 8-byte Folded Spill
	scratch_load_dwordx2 v[4:5], off, off offset:120 ; 8-byte Folded Reload
	s_waitcnt vmcnt(0)
	v_lshl_add_u64 v[4:5], v[4:5], 0, s[6:7]
	scratch_store_dwordx2 off, v[4:5], off offset:120 ; 8-byte Folded Spill
	scratch_load_dwordx2 v[4:5], off, off offset:136 ; 8-byte Folded Reload
	s_waitcnt vmcnt(0)
	v_lshl_add_u64 v[4:5], v[4:5], 0, s[6:7]
	scratch_store_dwordx2 off, v[4:5], off offset:136 ; 8-byte Folded Spill
	scratch_load_dwordx2 v[4:5], off, off offset:152 ; 8-byte Folded Reload
	s_waitcnt vmcnt(0)
	v_lshl_add_u64 v[4:5], v[4:5], 0, s[6:7]
	scratch_store_dwordx2 off, v[4:5], off offset:152 ; 8-byte Folded Spill
	scratch_load_dwordx2 v[4:5], off, off offset:168 ; 8-byte Folded Reload
	s_waitcnt vmcnt(0)
	v_lshl_add_u64 v[4:5], v[4:5], 0, s[6:7]
	scratch_store_dwordx2 off, v[4:5], off offset:168 ; 8-byte Folded Spill
	s_cbranch_vccnz .LBB59_129
.LBB59_87:                              ; =>This Inner Loop Header: Depth=1
	v_mov_b64_e32 v[4:5], s[8:9]
	v_cmp_ge_i64_e32 vcc, s[22:23], v[4:5]
	scratch_load_dwordx2 v[4:5], off, off offset:188 ; 8-byte Folded Reload
	s_mov_b64 s[54:55], -1
	s_and_b64 vcc, exec, vcc
                                        ; implicit-def: $vgpr18_vgpr19
	s_waitcnt vmcnt(0)
	v_lshl_add_u64 v[72:73], v[4:5], 0, s[22:23]
                                        ; implicit-def: $vgpr4_vgpr5
	s_cbranch_vccz .LBB59_125
; %bb.88:                               ;   in Loop: Header=BB59_87 Depth=1
	s_load_dword s33, s[4:5], 0xc
	scratch_load_dword v3, off, off offset:184 ; 4-byte Folded Reload
	scratch_load_dword v4, off, off offset:196 ; 4-byte Folded Reload
	v_mov_b32_e32 v76, 0
	v_mov_b32_e32 v75, 0
	s_waitcnt lgkmcnt(0)
	s_and_b32 s33, s33, 0xffff
	s_waitcnt vmcnt(0)
	v_mad_u32_u24 v3, v3, s33, v4
	v_and_b32_e32 v4, 63, v3
	v_cmp_gt_u32_e32 vcc, 16, v4
	s_and_saveexec_b64 s[54:55], vcc
	s_cbranch_execz .LBB59_92
; %bb.89:                               ;   in Loop: Header=BB59_87 Depth=1
	v_mov_b32_e32 v5, v2
	v_lshl_add_u64 v[4:5], v[72:73], 0, v[4:5]
	v_lshl_add_u64 v[4:5], v[4:5], 0, s[12:13]
	v_cmp_gt_i64_e32 vcc, s[8:9], v[4:5]
	v_mov_b32_e32 v75, 0
	v_mov_b32_e32 v76, 0
	s_and_saveexec_b64 s[56:57], vcc
	s_cbranch_execz .LBB59_91
; %bb.90:                               ;   in Loop: Header=BB59_87 Depth=1
	v_lshlrev_b64 v[4:5], 2, v[4:5]
	v_lshl_add_u64 v[6:7], s[18:19], 0, v[4:5]
	v_lshl_add_u64 v[4:5], s[16:17], 0, v[4:5]
	global_load_dword v75, v[4:5], off
	global_load_dword v76, v[6:7], off
.LBB59_91:                              ;   in Loop: Header=BB59_87 Depth=1
	s_or_b64 exec, exec, s[56:57]
.LBB59_92:                              ;   in Loop: Header=BB59_87 Depth=1
	s_or_b64 exec, exec, s[54:55]
	v_lshl_add_u64 v[4:5], v[72:73], 0, s[12:13]
	v_mov_b32_e32 v16, v2
	v_mov_b32_e32 v17, v2
	v_cmp_gt_i64_e32 vcc, s[8:9], v[4:5]
	v_mov_b32_e32 v3, v2
	v_mov_b32_e32 v4, v2
	;; [unrolled: 1-line block ×13, first 2 shown]
	v_mov_b64_e32 v[34:35], v[16:17]
	v_mov_b64_e32 v[32:33], v[14:15]
	v_mov_b64_e32 v[30:31], v[12:13]
	v_mov_b64_e32 v[28:29], v[10:11]
	v_mov_b64_e32 v[26:27], v[8:9]
	v_mov_b64_e32 v[24:25], v[6:7]
	v_mov_b64_e32 v[22:23], v[4:5]
	v_mov_b64_e32 v[20:21], v[2:3]
	v_mov_b64_e32 v[18:19], v[16:17]
	v_mov_b64_e32 v[16:17], v[14:15]
	v_mov_b64_e32 v[14:15], v[12:13]
	v_mov_b64_e32 v[12:13], v[10:11]
	v_mov_b64_e32 v[10:11], v[8:9]
	v_mov_b64_e32 v[8:9], v[6:7]
	v_mov_b64_e32 v[6:7], v[4:5]
	v_mov_b64_e32 v[4:5], v[2:3]
	s_and_saveexec_b64 s[54:55], vcc
	s_cbranch_execz .LBB59_94
; %bb.93:                               ;   in Loop: Header=BB59_87 Depth=1
	v_lshl_add_u64 v[4:5], v[102:103], 0, v[100:101]
	v_lshl_add_u64 v[6:7], v[104:105], 0, v[100:101]
	global_load_dword v4, v[4:5], off
	v_mov_b32_e32 v5, v2
	global_load_dword v20, v[6:7], off
	v_mov_b32_e32 v6, v2
	v_mov_b32_e32 v7, v2
	v_mov_b32_e32 v8, v2
	v_mov_b32_e32 v9, v2
	v_mov_b32_e32 v10, v2
	v_mov_b32_e32 v11, v2
	v_mov_b32_e32 v12, v2
	v_mov_b32_e32 v13, v2
	v_mov_b32_e32 v14, v2
	v_mov_b32_e32 v15, v2
	v_mov_b32_e32 v16, v2
	v_mov_b32_e32 v17, v2
	v_mov_b32_e32 v18, v2
	v_mov_b32_e32 v19, v2
	v_mov_b32_e32 v21, v2
	v_mov_b32_e32 v22, v2
	v_mov_b32_e32 v23, v2
	v_mov_b32_e32 v24, v2
	v_mov_b32_e32 v25, v2
	v_mov_b32_e32 v26, v2
	v_mov_b32_e32 v27, v2
	v_mov_b32_e32 v28, v2
	v_mov_b32_e32 v29, v2
	v_mov_b32_e32 v30, v2
	v_mov_b32_e32 v31, v2
	v_mov_b32_e32 v32, v2
	v_mov_b32_e32 v33, v2
	v_mov_b32_e32 v34, v2
	v_mov_b32_e32 v35, v2
.LBB59_94:                              ;   in Loop: Header=BB59_87 Depth=1
	s_or_b64 exec, exec, s[54:55]
	v_lshl_add_u64 v[78:79], v[72:73], 0, s[14:15]
	v_cmp_gt_i64_e32 vcc, s[8:9], v[78:79]
	s_and_saveexec_b64 s[54:55], vcc
	s_cbranch_execz .LBB59_96
; %bb.95:                               ;   in Loop: Header=BB59_87 Depth=1
	v_lshl_add_u64 v[78:79], v[68:69], 0, v[100:101]
	global_load_dword v5, v[78:79], off
	v_lshl_add_u64 v[78:79], v[70:71], 0, v[100:101]
	global_load_dword v21, v[78:79], off
.LBB59_96:                              ;   in Loop: Header=BB59_87 Depth=1
	s_or_b64 exec, exec, s[54:55]
	v_lshl_add_u64 v[78:79], v[72:73], 0, s[24:25]
	v_cmp_gt_i64_e32 vcc, s[8:9], v[78:79]
	s_and_saveexec_b64 s[54:55], vcc
	s_cbranch_execz .LBB59_98
; %bb.97:                               ;   in Loop: Header=BB59_87 Depth=1
	v_lshl_add_u64 v[78:79], v[64:65], 0, v[100:101]
	global_load_dword v6, v[78:79], off
	v_lshl_add_u64 v[78:79], v[66:67], 0, v[100:101]
	global_load_dword v22, v[78:79], off
.LBB59_98:                              ;   in Loop: Header=BB59_87 Depth=1
	s_or_b64 exec, exec, s[54:55]
	v_lshl_add_u64 v[78:79], v[72:73], 0, s[26:27]
	v_cmp_gt_i64_e32 vcc, s[8:9], v[78:79]
	s_and_saveexec_b64 s[54:55], vcc
	s_cbranch_execz .LBB59_100
; %bb.99:                               ;   in Loop: Header=BB59_87 Depth=1
	v_lshl_add_u64 v[78:79], v[60:61], 0, v[100:101]
	global_load_dword v7, v[78:79], off
	v_lshl_add_u64 v[78:79], v[62:63], 0, v[100:101]
	global_load_dword v23, v[78:79], off
.LBB59_100:                             ;   in Loop: Header=BB59_87 Depth=1
	s_or_b64 exec, exec, s[54:55]
	v_lshl_add_u64 v[78:79], v[72:73], 0, s[28:29]
	v_cmp_gt_i64_e32 vcc, s[8:9], v[78:79]
	s_and_saveexec_b64 s[54:55], vcc
	s_cbranch_execz .LBB59_102
; %bb.101:                              ;   in Loop: Header=BB59_87 Depth=1
	v_lshl_add_u64 v[78:79], v[56:57], 0, v[100:101]
	global_load_dword v8, v[78:79], off
	v_lshl_add_u64 v[78:79], v[58:59], 0, v[100:101]
	global_load_dword v24, v[78:79], off
.LBB59_102:                             ;   in Loop: Header=BB59_87 Depth=1
	s_or_b64 exec, exec, s[54:55]
	v_lshl_add_u64 v[78:79], v[72:73], 0, s[30:31]
	v_cmp_gt_i64_e32 vcc, s[8:9], v[78:79]
	s_and_saveexec_b64 s[54:55], vcc
	s_cbranch_execz .LBB59_104
; %bb.103:                              ;   in Loop: Header=BB59_87 Depth=1
	v_lshl_add_u64 v[78:79], v[52:53], 0, v[100:101]
	global_load_dword v9, v[78:79], off
	v_lshl_add_u64 v[78:79], v[54:55], 0, v[100:101]
	global_load_dword v25, v[78:79], off
.LBB59_104:                             ;   in Loop: Header=BB59_87 Depth=1
	;; [unrolled: 11-line block ×12, first 2 shown]
	s_or_b64 exec, exec, s[54:55]
	s_waitcnt vmcnt(1)
	ds_bpermute_b32 v77, v74, v75
	s_waitcnt vmcnt(0)
	ds_bpermute_b32 v3, v74, v76
	v_mov_b32_e32 v81, v7
	v_mov_b32_e32 v79, v5
	v_mov_b32_e32 v83, v9
	s_waitcnt lgkmcnt(1)
	v_sub_f32_e32 v20, v20, v77
	ds_bpermute_b32 v77, v74, v75 offset:4
	v_mul_f32_e32 v20, v4, v20
	s_waitcnt lgkmcnt(1)
	v_mul_f32_e32 v20, v20, v3
	ds_bpermute_b32 v3, v74, v76 offset:4
	s_mov_b64 s[54:55], 0
	s_waitcnt lgkmcnt(1)
	v_sub_f32_e32 v21, v21, v77
	v_mul_f32_e32 v21, v5, v21
	s_waitcnt lgkmcnt(0)
	v_mul_f32_e32 v78, v21, v3
	ds_bpermute_b32 v21, v74, v75 offset:8
	ds_bpermute_b32 v3, v74, v76 offset:8
	s_waitcnt lgkmcnt(1)
	v_sub_f32_e32 v21, v22, v21
	v_mul_f32_e32 v21, v6, v21
	s_waitcnt lgkmcnt(0)
	v_mul_f32_e32 v22, v21, v3
	ds_bpermute_b32 v21, v74, v75 offset:12
	ds_bpermute_b32 v3, v74, v76 offset:12
	;; [unrolled: 7-line block ×3, first 2 shown]
	v_mov_b32_e32 v23, v6
	ds_bpermute_b32 v6, v74, v75 offset:24
	ds_bpermute_b32 v7, v74, v75 offset:28
	s_waitcnt lgkmcnt(3)
	v_sub_f32_e32 v21, v24, v21
	v_mul_f32_e32 v21, v8, v21
	s_waitcnt lgkmcnt(2)
	v_mul_f32_e32 v24, v21, v3
	ds_bpermute_b32 v21, v74, v75 offset:20
	ds_bpermute_b32 v3, v74, v76 offset:20
	s_waitcnt lgkmcnt(3)
	v_sub_f32_e32 v6, v26, v6
	v_mul_f32_e32 v6, v10, v6
	s_waitcnt lgkmcnt(2)
	v_sub_f32_e32 v7, v27, v7
	s_waitcnt lgkmcnt(1)
	v_sub_f32_e32 v21, v25, v21
	v_mul_f32_e32 v21, v9, v21
	s_waitcnt lgkmcnt(0)
	v_mul_f32_e32 v82, v21, v3
	ds_bpermute_b32 v3, v74, v76 offset:24
	v_mul_f32_e32 v7, v11, v7
	v_mov_b32_e32 v25, v8
	v_mov_b32_e32 v21, v4
	v_pk_add_f32 v[20:21], v[36:37], v[20:21]
	s_waitcnt lgkmcnt(0)
	v_mul_f32_e32 v6, v6, v3
	ds_bpermute_b32 v3, v74, v76 offset:28
	v_pk_add_f32 v[4:5], v[78:79], v[20:21]
	v_mov_b32_e32 v9, v11
	v_pk_add_f32 v[4:5], v[22:23], v[4:5]
	v_mov_b32_e32 v21, v12
	s_waitcnt lgkmcnt(0)
	v_mul_f32_e32 v8, v7, v3
	ds_bpermute_b32 v7, v74, v75 offset:32
	ds_bpermute_b32 v3, v74, v76 offset:32
	v_pk_add_f32 v[4:5], v[80:81], v[4:5]
	v_mov_b32_e32 v23, v13
	v_pk_add_f32 v[4:5], v[24:25], v[4:5]
	s_waitcnt lgkmcnt(1)
	v_sub_f32_e32 v7, v28, v7
	v_mul_f32_e32 v7, v12, v7
	s_waitcnt lgkmcnt(0)
	v_mul_f32_e32 v20, v7, v3
	ds_bpermute_b32 v7, v74, v75 offset:36
	ds_bpermute_b32 v3, v74, v76 offset:36
	v_pk_add_f32 v[4:5], v[82:83], v[4:5]
	v_mov_b32_e32 v25, v14
	v_mov_b32_e32 v27, v15
	s_waitcnt lgkmcnt(1)
	v_sub_f32_e32 v7, v29, v7
	v_mul_f32_e32 v7, v13, v7
	s_waitcnt lgkmcnt(0)
	v_mul_f32_e32 v22, v7, v3
	ds_bpermute_b32 v7, v74, v75 offset:40
	ds_bpermute_b32 v3, v74, v76 offset:40
	v_mov_b32_e32 v29, v16
	s_waitcnt lgkmcnt(1)
	v_sub_f32_e32 v7, v30, v7
	v_mul_f32_e32 v7, v14, v7
	s_waitcnt lgkmcnt(0)
	v_mul_f32_e32 v24, v7, v3
	ds_bpermute_b32 v7, v74, v75 offset:44
	ds_bpermute_b32 v3, v74, v76 offset:44
	s_waitcnt lgkmcnt(1)
	v_sub_f32_e32 v7, v31, v7
	v_mul_f32_e32 v7, v15, v7
	s_waitcnt lgkmcnt(0)
	v_mul_f32_e32 v26, v7, v3
	ds_bpermute_b32 v7, v74, v75 offset:48
	ds_bpermute_b32 v3, v74, v76 offset:48
	v_mov_b32_e32 v31, v17
	s_waitcnt lgkmcnt(1)
	v_sub_f32_e32 v7, v32, v7
	v_mul_f32_e32 v7, v16, v7
	s_waitcnt lgkmcnt(0)
	v_mul_f32_e32 v28, v7, v3
	ds_bpermute_b32 v7, v74, v75 offset:52
	ds_bpermute_b32 v3, v74, v76 offset:52
	s_waitcnt lgkmcnt(1)
	v_sub_f32_e32 v7, v33, v7
	v_mul_f32_e32 v7, v17, v7
	s_waitcnt lgkmcnt(0)
	v_mul_f32_e32 v30, v7, v3
	v_mov_b32_e32 v7, v10
	v_pk_add_f32 v[4:5], v[6:7], v[4:5]
	ds_bpermute_b32 v6, v74, v75 offset:56
	v_pk_add_f32 v[4:5], v[8:9], v[4:5]
	ds_bpermute_b32 v3, v74, v76 offset:56
	v_pk_add_f32 v[4:5], v[20:21], v[4:5]
	v_mov_b32_e32 v7, v18
	v_pk_add_f32 v[4:5], v[22:23], v[4:5]
	s_waitcnt lgkmcnt(1)
	v_sub_f32_e32 v6, v34, v6
	v_pk_add_f32 v[4:5], v[24:25], v[4:5]
	v_mul_f32_e32 v6, v18, v6
	v_pk_add_f32 v[4:5], v[26:27], v[4:5]
	s_waitcnt lgkmcnt(0)
	v_mul_f32_e32 v6, v6, v3
	v_pk_add_f32 v[4:5], v[28:29], v[4:5]
	ds_bpermute_b32 v3, v74, v76 offset:60
	v_pk_add_f32 v[4:5], v[30:31], v[4:5]
	s_nop 0
	v_pk_add_f32 v[4:5], v[6:7], v[4:5]
	ds_bpermute_b32 v6, v74, v75 offset:60
	s_waitcnt lgkmcnt(0)
	v_sub_f32_e32 v6, v35, v6
	v_mul_f32_e32 v6, v19, v6
	v_mul_f32_e32 v18, v6, v3
.LBB59_125:                             ;   in Loop: Header=BB59_87 Depth=1
	s_and_b64 vcc, exec, s[54:55]
	s_cbranch_vccz .LBB59_86
; %bb.126:                              ;   in Loop: Header=BB59_87 Depth=1
	s_load_dword s33, s[4:5], 0x0
	v_mov_b32_e32 v18, 0
	s_waitcnt lgkmcnt(0)
	s_cmp_lt_u32 s2, s33
	s_cselect_b32 s33, 12, 18
	s_add_u32 s54, s4, s33
	s_addc_u32 s55, s5, 0
	global_load_ushort v3, v2, s[54:55]
	scratch_load_dword v4, off, off offset:184 ; 4-byte Folded Reload
	scratch_load_dword v5, off, off offset:196 ; 4-byte Folded Reload
	s_waitcnt vmcnt(0)
	v_mad_u32_u24 v3, v4, v3, v5
	v_and_b32_e32 v4, 63, v3
	v_cmp_gt_u32_e32 vcc, 16, v4
	v_mov_b32_e32 v3, 0
	s_and_saveexec_b64 s[54:55], vcc
	s_cbranch_execz .LBB59_85
; %bb.127:                              ;   in Loop: Header=BB59_87 Depth=1
	v_mov_b32_e32 v5, v2
	v_lshl_add_u64 v[4:5], v[72:73], 0, v[4:5]
	v_lshl_add_u64 v[4:5], v[4:5], 0, s[12:13]
	v_cmp_gt_i64_e32 vcc, s[8:9], v[4:5]
	v_mov_b32_e32 v3, 0
	v_mov_b32_e32 v18, 0
	s_and_saveexec_b64 s[56:57], vcc
	s_cbranch_execz .LBB59_84
; %bb.128:                              ;   in Loop: Header=BB59_87 Depth=1
	v_lshlrev_b64 v[4:5], 2, v[4:5]
	v_lshl_add_u64 v[6:7], s[18:19], 0, v[4:5]
	v_lshl_add_u64 v[4:5], s[16:17], 0, v[4:5]
	global_load_dword v3, v[4:5], off
	global_load_dword v18, v[6:7], off
	s_branch .LBB59_84
.LBB59_129:
	scratch_load_dword v118, off, off offset:200 ; 4-byte Folded Reload
.LBB59_130:
	s_waitcnt vmcnt(0)
	v_and_b32_e32 v1, 0x3ff, v118
	v_bfe_u32 v0, v118, 10, 10
	s_movk_i32 s3, 0x41
	v_mad_u32_u24 v2, v0, s3, v1
	v_lshl_add_u32 v2, v2, 2, 0
	ds_write_b32 v2, v36
	ds_write_b32 v2, v37 offset:4160
	v_bfe_u32 v2, v118, 6, 4
	v_add_u32_e32 v0, v2, v0
	v_cmp_gt_u32_e32 vcc, 64, v0
	s_waitcnt lgkmcnt(0)
	s_barrier
	s_and_saveexec_b64 s[4:5], vcc
	s_cbranch_execz .LBB59_162
; %bb.131:
	s_load_dwordx4 s[12:15], s[0:1], 0x30
	v_and_b32_e32 v2, 63, v1
	v_cmp_lt_u32_e64 s[4:5], 15, v2
	v_cmp_gt_u32_e64 s[0:1], 16, v2
	v_mul_u32_u24_e32 v6, 0x41, v2
                                        ; implicit-def: $vgpr2
	s_and_saveexec_b64 s[6:7], s[0:1]
	s_cbranch_execz .LBB59_133
; %bb.132:
	v_add_u32_e32 v2, v0, v6
	v_lshl_add_u32 v2, v2, 2, 0
	ds_read_b32 v3, v2
	ds_read_b32 v2, v2 offset:4160
.LBB59_133:
	s_or_b64 exec, exec, s[6:7]
	v_mbcnt_lo_u32_b32 v4, -1, 0
	v_mbcnt_hi_u32_b32 v10, -1, v4
	v_and_b32_e32 v4, 64, v10
	v_add_u32_e32 v11, 64, v4
	v_xor_b32_e32 v4, 8, v10
	v_cmp_lt_i32_e32 vcc, v4, v11
	v_xor_b32_e32 v8, 4, v10
	v_xor_b32_e32 v9, 2, v10
	v_cndmask_b32_e32 v4, v10, v4, vcc
	v_lshlrev_b32_e32 v7, 2, v4
	s_waitcnt lgkmcnt(0)
	ds_bpermute_b32 v5, v7, v3
	ds_bpermute_b32 v4, v7, v2
	v_cmp_lt_i32_e32 vcc, v8, v11
	s_mov_b32 s3, 0
	s_lshl_b64 s[6:7], s[2:3], 6
	v_cndmask_b32_e32 v8, v10, v8, vcc
	v_lshlrev_b32_e32 v8, 2, v8
	s_waitcnt lgkmcnt(0)
	v_pk_add_f32 v[2:3], v[2:3], v[4:5]
	ds_bpermute_b32 v5, v8, v3
	ds_bpermute_b32 v4, v8, v2
	v_cmp_lt_i32_e32 vcc, v9, v11
	v_cmp_eq_u32_e64 s[2:3], 0, v1
	v_xor_b32_e32 v1, 1, v10
	v_cndmask_b32_e32 v9, v10, v9, vcc
	v_lshlrev_b32_e32 v9, 2, v9
	s_waitcnt lgkmcnt(0)
	v_pk_add_f32 v[2:3], v[2:3], v[4:5]
	ds_bpermute_b32 v5, v9, v3
	ds_bpermute_b32 v4, v9, v2
	v_cmp_lt_i32_e32 vcc, v1, v11
	s_cmp_lg_u64 s[12:13], 0
	s_cselect_b64 s[16:17], -1, 0
	v_cndmask_b32_e32 v1, v10, v1, vcc
	s_waitcnt lgkmcnt(0)
	v_pk_add_f32 v[2:3], v[2:3], v[4:5]
	v_lshlrev_b32_e32 v10, 2, v1
	ds_bpermute_b32 v5, v10, v3
	ds_bpermute_b32 v4, v10, v2
	s_cmp_lg_u64 s[14:15], 0
	s_cselect_b64 s[8:9], -1, 0
	v_mov_b32_e32 v1, 0
	s_waitcnt lgkmcnt(0)
	v_pk_add_f32 v[2:3], v[2:3], v[4:5]
	v_or_b32_e32 v4, s6, v0
	v_mov_b32_e32 v5, s7
	v_cmp_gt_i64_e32 vcc, s[10:11], v[4:5]
	s_and_b64 s[20:21], s[2:3], vcc
	s_and_saveexec_b64 s[18:19], s[20:21]
	s_cbranch_execz .LBB59_138
; %bb.134:
	s_andn2_b64 vcc, exec, s[16:17]
	s_cbranch_vccnz .LBB59_136
; %bb.135:
	v_lshl_add_u64 v[12:13], v[4:5], 2, s[12:13]
	global_store_dword v[12:13], v3, off
.LBB59_136:
	s_andn2_b64 vcc, exec, s[8:9]
	s_cbranch_vccnz .LBB59_138
; %bb.137:
	v_lshl_add_u64 v[4:5], v[4:5], 2, s[14:15]
	global_store_dword v[4:5], v2, off
.LBB59_138:
	s_or_b64 exec, exec, s[18:19]
	v_cmp_gt_u32_e32 vcc, 48, v0
	s_and_b64 exec, exec, vcc
	s_cbranch_execz .LBB59_162
; %bb.139:
	s_and_saveexec_b64 s[18:19], s[4:5]
	s_xor_b64 s[18:19], exec, s[18:19]
	s_andn2_saveexec_b64 s[18:19], s[18:19]
	s_cbranch_execz .LBB59_141
; %bb.140:
	v_add_u32_e32 v2, v0, v6
	v_lshl_add_u32 v2, v2, 2, 0
	ds_read_b32 v3, v2 offset:64
	ds_read_b32 v2, v2 offset:4224
.LBB59_141:
	s_or_b64 exec, exec, s[18:19]
	s_waitcnt lgkmcnt(1)
	ds_bpermute_b32 v5, v7, v3
	s_waitcnt lgkmcnt(1)
	ds_bpermute_b32 v4, v7, v2
	v_add_u32_e32 v12, 16, v0
	v_mov_b32_e32 v13, 0
	v_lshl_add_u64 v[12:13], s[6:7], 0, v[12:13]
	v_cmp_gt_i64_e32 vcc, s[10:11], v[12:13]
	s_waitcnt lgkmcnt(0)
	v_pk_add_f32 v[2:3], v[2:3], v[4:5]
	ds_bpermute_b32 v5, v8, v3
	ds_bpermute_b32 v4, v8, v2
	s_and_b64 s[20:21], s[2:3], vcc
	s_waitcnt lgkmcnt(0)
	v_pk_add_f32 v[2:3], v[2:3], v[4:5]
	ds_bpermute_b32 v5, v9, v3
	ds_bpermute_b32 v4, v9, v2
	s_waitcnt lgkmcnt(0)
	v_pk_add_f32 v[2:3], v[2:3], v[4:5]
	ds_bpermute_b32 v5, v10, v3
	ds_bpermute_b32 v4, v10, v2
	s_waitcnt lgkmcnt(0)
	v_pk_add_f32 v[2:3], v[2:3], v[4:5]
	s_and_saveexec_b64 s[18:19], s[20:21]
	s_cbranch_execz .LBB59_146
; %bb.142:
	s_andn2_b64 vcc, exec, s[16:17]
	s_cbranch_vccnz .LBB59_144
; %bb.143:
	v_lshl_add_u64 v[4:5], s[6:7], 0, v[0:1]
	v_lshl_add_u64 v[4:5], v[4:5], 2, s[12:13]
	global_store_dword v[4:5], v3, off offset:64
.LBB59_144:
	s_andn2_b64 vcc, exec, s[8:9]
	s_cbranch_vccnz .LBB59_146
; %bb.145:
	v_lshl_add_u64 v[4:5], s[6:7], 0, v[0:1]
	v_lshl_add_u64 v[4:5], v[4:5], 2, s[14:15]
	global_store_dword v[4:5], v2, off offset:64
.LBB59_146:
	s_or_b64 exec, exec, s[18:19]
	v_cmp_gt_u32_e32 vcc, 32, v0
	s_and_b64 exec, exec, vcc
	s_cbranch_execz .LBB59_162
; %bb.147:
	s_and_saveexec_b64 s[18:19], s[4:5]
	s_xor_b64 s[4:5], exec, s[18:19]
	s_andn2_saveexec_b64 s[4:5], s[4:5]
	s_cbranch_execz .LBB59_149
; %bb.148:
	v_add_u32_e32 v2, v0, v6
	v_lshl_add_u32 v2, v2, 2, 0
	ds_read_b32 v3, v2 offset:128
	ds_read_b32 v2, v2 offset:4288
.LBB59_149:
	s_or_b64 exec, exec, s[4:5]
	s_waitcnt lgkmcnt(1)
	ds_bpermute_b32 v5, v7, v3
	s_waitcnt lgkmcnt(1)
	ds_bpermute_b32 v4, v7, v2
	v_add_u32_e32 v11, 32, v0
	v_mov_b32_e32 v13, s7
	v_or_b32_e32 v12, s6, v11
	v_cmp_gt_i64_e32 vcc, s[10:11], v[12:13]
	s_waitcnt lgkmcnt(0)
	v_pk_add_f32 v[2:3], v[2:3], v[4:5]
	ds_bpermute_b32 v5, v8, v3
	ds_bpermute_b32 v4, v8, v2
	s_and_b64 s[18:19], s[2:3], vcc
	s_waitcnt lgkmcnt(0)
	v_pk_add_f32 v[2:3], v[2:3], v[4:5]
	ds_bpermute_b32 v5, v9, v3
	ds_bpermute_b32 v4, v9, v2
	s_waitcnt lgkmcnt(0)
	v_pk_add_f32 v[2:3], v[2:3], v[4:5]
	ds_bpermute_b32 v5, v10, v3
	ds_bpermute_b32 v4, v10, v2
	s_waitcnt lgkmcnt(0)
	v_pk_add_f32 v[2:3], v[2:3], v[4:5]
	s_and_saveexec_b64 s[4:5], s[18:19]
	s_cbranch_execz .LBB59_154
; %bb.150:
	s_andn2_b64 vcc, exec, s[16:17]
	s_cbranch_vccnz .LBB59_152
; %bb.151:
	v_lshl_add_u64 v[4:5], s[6:7], 0, v[0:1]
	v_lshl_add_u64 v[4:5], v[4:5], 2, s[12:13]
	global_store_dword v[4:5], v3, off offset:128
.LBB59_152:
	s_andn2_b64 vcc, exec, s[8:9]
	s_cbranch_vccnz .LBB59_154
; %bb.153:
	v_lshl_add_u64 v[4:5], s[6:7], 0, v[0:1]
	v_lshl_add_u64 v[4:5], v[4:5], 2, s[14:15]
	global_store_dword v[4:5], v2, off offset:128
.LBB59_154:
	s_or_b64 exec, exec, s[4:5]
	v_cmp_gt_u32_e32 vcc, 16, v0
	s_and_b64 exec, exec, vcc
	s_cbranch_execz .LBB59_162
; %bb.155:
	s_and_saveexec_b64 s[4:5], s[0:1]
	s_cbranch_execz .LBB59_157
; %bb.156:
	v_add_u32_e32 v2, v0, v6
	v_lshl_add_u32 v2, v2, 2, 0
	ds_read_b32 v3, v2 offset:192
	ds_read_b32 v2, v2 offset:4352
.LBB59_157:
	s_or_b64 exec, exec, s[4:5]
	s_waitcnt lgkmcnt(1)
	ds_bpermute_b32 v4, v7, v3
	s_waitcnt lgkmcnt(1)
	ds_bpermute_b32 v5, v7, v2
	v_add_u32_e32 v6, 48, v0
	v_or_b32_e32 v6, s6, v6
	v_mov_b32_e32 v7, s7
	s_waitcnt lgkmcnt(1)
	v_add_f32_e32 v3, v3, v4
	s_waitcnt lgkmcnt(0)
	v_add_f32_e32 v2, v2, v5
	ds_bpermute_b32 v4, v8, v3
	ds_bpermute_b32 v5, v8, v2
	v_cmp_gt_i64_e32 vcc, s[10:11], v[6:7]
	s_and_b64 s[0:1], s[2:3], vcc
	s_waitcnt lgkmcnt(1)
	v_add_f32_e32 v3, v3, v4
	s_waitcnt lgkmcnt(0)
	v_add_f32_e32 v2, v2, v5
	ds_bpermute_b32 v4, v9, v3
	ds_bpermute_b32 v5, v9, v2
	s_waitcnt lgkmcnt(1)
	v_add_f32_e32 v4, v3, v4
	s_waitcnt lgkmcnt(0)
	v_add_f32_e32 v2, v2, v5
	ds_bpermute_b32 v5, v10, v4
	ds_bpermute_b32 v3, v10, v2
	s_and_b64 exec, exec, s[0:1]
	s_cbranch_execz .LBB59_162
; %bb.158:
	s_andn2_b64 vcc, exec, s[16:17]
	v_lshl_add_u64 v[0:1], s[6:7], 0, v[0:1]
	s_cbranch_vccnz .LBB59_160
; %bb.159:
	s_waitcnt lgkmcnt(1)
	v_add_f32_e32 v6, v4, v5
	v_lshl_add_u64 v[4:5], v[0:1], 2, s[12:13]
	global_store_dword v[4:5], v6, off offset:192
.LBB59_160:
	s_andn2_b64 vcc, exec, s[8:9]
	s_cbranch_vccnz .LBB59_162
; %bb.161:
	s_waitcnt lgkmcnt(0)
	v_add_f32_e32 v2, v2, v3
	v_lshl_add_u64 v[0:1], v[0:1], 2, s[14:15]
	global_store_dword v[0:1], v2, off offset:192
.LBB59_162:
	s_endpgm
	.section	.rodata,"a",@progbits
	.p2align	6, 0x0
	.amdhsa_kernel _ZN2at6native12_GLOBAL__N_135GammaBetaBackwardCUDAKernelTemplateIffLj64ELj16ELj256ELb0ELb0ELb0EEEvllPKT_S5_PKT0_S8_PS3_S9_
		.amdhsa_group_segment_fixed_size 0
		.amdhsa_private_segment_fixed_size 208
		.amdhsa_kernarg_size 320
		.amdhsa_user_sgpr_count 2
		.amdhsa_user_sgpr_dispatch_ptr 0
		.amdhsa_user_sgpr_queue_ptr 0
		.amdhsa_user_sgpr_kernarg_segment_ptr 1
		.amdhsa_user_sgpr_dispatch_id 0
		.amdhsa_user_sgpr_kernarg_preload_length 0
		.amdhsa_user_sgpr_kernarg_preload_offset 0
		.amdhsa_user_sgpr_private_segment_size 0
		.amdhsa_uses_dynamic_stack 0
		.amdhsa_enable_private_segment 1
		.amdhsa_system_sgpr_workgroup_id_x 1
		.amdhsa_system_sgpr_workgroup_id_y 1
		.amdhsa_system_sgpr_workgroup_id_z 0
		.amdhsa_system_sgpr_workgroup_info 0
		.amdhsa_system_vgpr_workitem_id 1
		.amdhsa_next_free_vgpr 128
		.amdhsa_next_free_sgpr 68
		.amdhsa_accum_offset 128
		.amdhsa_reserve_vcc 1
		.amdhsa_float_round_mode_32 0
		.amdhsa_float_round_mode_16_64 0
		.amdhsa_float_denorm_mode_32 3
		.amdhsa_float_denorm_mode_16_64 3
		.amdhsa_dx10_clamp 1
		.amdhsa_ieee_mode 1
		.amdhsa_fp16_overflow 0
		.amdhsa_tg_split 0
		.amdhsa_exception_fp_ieee_invalid_op 0
		.amdhsa_exception_fp_denorm_src 0
		.amdhsa_exception_fp_ieee_div_zero 0
		.amdhsa_exception_fp_ieee_overflow 0
		.amdhsa_exception_fp_ieee_underflow 0
		.amdhsa_exception_fp_ieee_inexact 0
		.amdhsa_exception_int_div_zero 0
	.end_amdhsa_kernel
	.section	.text._ZN2at6native12_GLOBAL__N_135GammaBetaBackwardCUDAKernelTemplateIffLj64ELj16ELj256ELb0ELb0ELb0EEEvllPKT_S5_PKT0_S8_PS3_S9_,"axG",@progbits,_ZN2at6native12_GLOBAL__N_135GammaBetaBackwardCUDAKernelTemplateIffLj64ELj16ELj256ELb0ELb0ELb0EEEvllPKT_S5_PKT0_S8_PS3_S9_,comdat
.Lfunc_end59:
	.size	_ZN2at6native12_GLOBAL__N_135GammaBetaBackwardCUDAKernelTemplateIffLj64ELj16ELj256ELb0ELb0ELb0EEEvllPKT_S5_PKT0_S8_PS3_S9_, .Lfunc_end59-_ZN2at6native12_GLOBAL__N_135GammaBetaBackwardCUDAKernelTemplateIffLj64ELj16ELj256ELb0ELb0ELb0EEEvllPKT_S5_PKT0_S8_PS3_S9_
                                        ; -- End function
	.set _ZN2at6native12_GLOBAL__N_135GammaBetaBackwardCUDAKernelTemplateIffLj64ELj16ELj256ELb0ELb0ELb0EEEvllPKT_S5_PKT0_S8_PS3_S9_.num_vgpr, 128
	.set _ZN2at6native12_GLOBAL__N_135GammaBetaBackwardCUDAKernelTemplateIffLj64ELj16ELj256ELb0ELb0ELb0EEEvllPKT_S5_PKT0_S8_PS3_S9_.num_agpr, 0
	.set _ZN2at6native12_GLOBAL__N_135GammaBetaBackwardCUDAKernelTemplateIffLj64ELj16ELj256ELb0ELb0ELb0EEEvllPKT_S5_PKT0_S8_PS3_S9_.numbered_sgpr, 68
	.set _ZN2at6native12_GLOBAL__N_135GammaBetaBackwardCUDAKernelTemplateIffLj64ELj16ELj256ELb0ELb0ELb0EEEvllPKT_S5_PKT0_S8_PS3_S9_.num_named_barrier, 0
	.set _ZN2at6native12_GLOBAL__N_135GammaBetaBackwardCUDAKernelTemplateIffLj64ELj16ELj256ELb0ELb0ELb0EEEvllPKT_S5_PKT0_S8_PS3_S9_.private_seg_size, 208
	.set _ZN2at6native12_GLOBAL__N_135GammaBetaBackwardCUDAKernelTemplateIffLj64ELj16ELj256ELb0ELb0ELb0EEEvllPKT_S5_PKT0_S8_PS3_S9_.uses_vcc, 1
	.set _ZN2at6native12_GLOBAL__N_135GammaBetaBackwardCUDAKernelTemplateIffLj64ELj16ELj256ELb0ELb0ELb0EEEvllPKT_S5_PKT0_S8_PS3_S9_.uses_flat_scratch, 0
	.set _ZN2at6native12_GLOBAL__N_135GammaBetaBackwardCUDAKernelTemplateIffLj64ELj16ELj256ELb0ELb0ELb0EEEvllPKT_S5_PKT0_S8_PS3_S9_.has_dyn_sized_stack, 0
	.set _ZN2at6native12_GLOBAL__N_135GammaBetaBackwardCUDAKernelTemplateIffLj64ELj16ELj256ELb0ELb0ELb0EEEvllPKT_S5_PKT0_S8_PS3_S9_.has_recursion, 0
	.set _ZN2at6native12_GLOBAL__N_135GammaBetaBackwardCUDAKernelTemplateIffLj64ELj16ELj256ELb0ELb0ELb0EEEvllPKT_S5_PKT0_S8_PS3_S9_.has_indirect_call, 0
	.section	.AMDGPU.csdata,"",@progbits
; Kernel info:
; codeLenInByte = 14428
; TotalNumSgprs: 74
; NumVgprs: 128
; NumAgprs: 0
; TotalNumVgprs: 128
; ScratchSize: 208
; MemoryBound: 0
; FloatMode: 240
; IeeeMode: 1
; LDSByteSize: 0 bytes/workgroup (compile time only)
; SGPRBlocks: 9
; VGPRBlocks: 15
; NumSGPRsForWavesPerEU: 74
; NumVGPRsForWavesPerEU: 128
; AccumOffset: 128
; Occupancy: 4
; WaveLimiterHint : 0
; COMPUTE_PGM_RSRC2:SCRATCH_EN: 1
; COMPUTE_PGM_RSRC2:USER_SGPR: 2
; COMPUTE_PGM_RSRC2:TRAP_HANDLER: 0
; COMPUTE_PGM_RSRC2:TGID_X_EN: 1
; COMPUTE_PGM_RSRC2:TGID_Y_EN: 1
; COMPUTE_PGM_RSRC2:TGID_Z_EN: 0
; COMPUTE_PGM_RSRC2:TIDIG_COMP_CNT: 1
; COMPUTE_PGM_RSRC3_GFX90A:ACCUM_OFFSET: 31
; COMPUTE_PGM_RSRC3_GFX90A:TG_SPLIT: 0
	.section	.text._ZN2at6native12_GLOBAL__N_135GammaBetaBackwardCUDAKernelTemplateIffLj32ELj1ELj32ELb1ELb1ELb0EEEvllPKT_S5_PKT0_S8_PS3_S9_,"axG",@progbits,_ZN2at6native12_GLOBAL__N_135GammaBetaBackwardCUDAKernelTemplateIffLj32ELj1ELj32ELb1ELb1ELb0EEEvllPKT_S5_PKT0_S8_PS3_S9_,comdat
	.globl	_ZN2at6native12_GLOBAL__N_135GammaBetaBackwardCUDAKernelTemplateIffLj32ELj1ELj32ELb1ELb1ELb0EEEvllPKT_S5_PKT0_S8_PS3_S9_ ; -- Begin function _ZN2at6native12_GLOBAL__N_135GammaBetaBackwardCUDAKernelTemplateIffLj32ELj1ELj32ELb1ELb1ELb0EEEvllPKT_S5_PKT0_S8_PS3_S9_
	.p2align	8
	.type	_ZN2at6native12_GLOBAL__N_135GammaBetaBackwardCUDAKernelTemplateIffLj32ELj1ELj32ELb1ELb1ELb0EEEvllPKT_S5_PKT0_S8_PS3_S9_,@function
_ZN2at6native12_GLOBAL__N_135GammaBetaBackwardCUDAKernelTemplateIffLj32ELj1ELj32ELb1ELb1ELb0EEEvllPKT_S5_PKT0_S8_PS3_S9_: ; @_ZN2at6native12_GLOBAL__N_135GammaBetaBackwardCUDAKernelTemplateIffLj32ELj1ELj32ELb1ELb1ELb0EEEvllPKT_S5_PKT0_S8_PS3_S9_
; %bb.0:
	s_load_dwordx4 s[16:19], s[0:1], 0x0
	s_lshl_b32 s6, s3, 5
	s_mov_b32 s7, 0
	v_mov_b64_e32 v[2:3], s[6:7]
	s_mov_b32 s4, s3
	s_waitcnt lgkmcnt(0)
	v_cmp_gt_i64_e32 vcc, s[16:17], v[2:3]
	v_bfe_u32 v1, v0, 10, 10
	s_cbranch_vccnz .LBB60_2
; %bb.1:
	s_add_u32 s24, s0, 64
	s_addc_u32 s25, s1, 0
	s_mov_b64 s[8:9], 0
	v_bfe_u32 v2, v0, 10, 10
	s_branch .LBB60_3
.LBB60_2:
	s_mov_b64 s[8:9], -1
                                        ; implicit-def: $sgpr24_sgpr25
                                        ; implicit-def: $vgpr2
.LBB60_3:
	s_load_dwordx4 s[20:23], s[0:1], 0x30
	v_mov_b32_e32 v9, 0
	v_and_b32_e32 v0, 0x3ff, v0
	s_andn2_b64 vcc, exec, s[8:9]
	v_mov_b32_e32 v8, v9
	s_cbranch_vccnz .LBB60_11
; %bb.4:
	s_load_dword s3, s[0:1], 0x4c
	s_load_dword s5, s[0:1], 0x44
	s_load_dwordx8 s[8:15], s[0:1], 0x10
	s_add_u32 s24, s0, 64
	s_addc_u32 s25, s1, 0
	s_waitcnt lgkmcnt(0)
	s_and_b32 s0, s3, 0xffff
	v_mad_u32_u24 v2, v1, s0, v0
	v_lshlrev_b32_e32 v8, 5, v1
	v_mov_b32_e32 v9, 0
	v_mbcnt_lo_u32_b32 v4, -1, 0
	v_and_b32_e32 v2, 63, v2
	v_mov_b32_e32 v3, v9
	v_mbcnt_hi_u32_b32 v4, -1, v4
	s_lshl_b32 s26, s5, 5
	v_lshl_add_u64 v[10:11], v[8:9], 0, s[6:7]
	v_cmp_gt_u32_e64 s[0:1], 32, v2
	v_lshl_add_u32 v6, s2, 5, v0
	v_mov_b32_e32 v7, v9
	v_lshlrev_b32_e32 v4, 2, v4
	v_lshl_add_u64 v[2:3], v[10:11], 0, v[2:3]
	v_mul_lo_u32 v8, s19, v10
	v_mul_lo_u32 v12, s18, v11
	v_mad_u64_u32 v[10:11], s[30:31], s18, v10, 0
	s_mul_i32 s3, s19, s26
	s_mul_hi_u32 s5, s18, s26
	s_mov_b32 s27, 0
	v_and_b32_e32 v14, 0x100, v4
	v_add3_u32 v11, v11, v12, v8
	v_lshlrev_b64 v[6:7], 2, v[6:7]
	s_add_i32 s31, s5, s3
	s_mul_i32 s30, s18, s26
	v_or_b32_e32 v15, 4, v14
	v_or_b32_e32 v16, 8, v14
	;; [unrolled: 1-line block ×31, first 2 shown]
	v_lshlrev_b64 v[4:5], 2, v[2:3]
	s_lshl_b64 s[28:29], s[26:27], 2
	v_lshl_add_u64 v[6:7], v[10:11], 2, v[6:7]
	s_lshl_b64 s[30:31], s[30:31], 2
	s_lshl_b64 s[34:35], s[18:19], 2
	v_mov_b32_e32 v8, v9
	s_branch .LBB60_7
.LBB60_5:                               ;   in Loop: Header=BB60_7 Depth=1
	s_or_b64 exec, exec, s[38:39]
.LBB60_6:                               ;   in Loop: Header=BB60_7 Depth=1
	s_or_b64 exec, exec, s[36:37]
	v_lshl_add_u64 v[10:11], s[10:11], 0, v[6:7]
	v_lshl_add_u64 v[48:49], v[10:11], 0, s[34:35]
	global_load_dword v13, v[10:11], off
	global_load_dword v53, v[48:49], off
	v_lshl_add_u64 v[10:11], s[8:9], 0, v[6:7]
	global_load_dword v12, v[10:11], off
	v_lshl_add_u64 v[50:51], v[10:11], 0, s[34:35]
	;; [unrolled: 2-line block ×3, first 2 shown]
	v_lshl_add_u64 v[50:51], v[50:51], 0, s[34:35]
	global_load_dword v55, v[48:49], off
	global_load_dword v52, v[50:51], off
	v_lshl_add_u64 v[48:49], v[48:49], 0, s[34:35]
	global_load_dword v57, v[48:49], off
	v_lshl_add_u64 v[50:51], v[50:51], 0, s[34:35]
	global_load_dword v54, v[50:51], off
	s_waitcnt vmcnt(9)
	ds_bpermute_b32 v11, v14, v47
	v_lshl_add_u64 v[48:49], v[48:49], 0, s[34:35]
	ds_bpermute_b32 v59, v15, v47
	v_lshl_add_u64 v[50:51], v[50:51], 0, s[34:35]
	global_load_dword v65, v[48:49], off
	s_waitcnt vmcnt(9)
	ds_bpermute_b32 v58, v14, v46
	global_load_dword v56, v[50:51], off
	v_lshl_add_u64 v[48:49], v[48:49], 0, s[34:35]
	v_lshl_add_u64 v[50:51], v[50:51], 0, s[34:35]
	ds_bpermute_b32 v60, v15, v46
	ds_bpermute_b32 v61, v16, v47
	;; [unrolled: 1-line block ×7, first 2 shown]
	s_add_u32 s6, s6, s26
	s_addc_u32 s7, s7, 0
	v_lshl_add_u64 v[4:5], v[4:5], 0, s[28:29]
	v_lshl_add_u64 v[2:3], v[2:3], 0, s[26:27]
	;; [unrolled: 1-line block ×3, first 2 shown]
	s_waitcnt vmcnt(9) lgkmcnt(9)
	v_sub_f32_e32 v11, v13, v11
	s_waitcnt vmcnt(8) lgkmcnt(8)
	v_sub_f32_e32 v53, v53, v59
	global_load_dword v59, v[48:49], off
	s_waitcnt vmcnt(8)
	v_mul_f32_e32 v11, v12, v11
	s_waitcnt lgkmcnt(7)
	v_mul_f32_e32 v13, v11, v58
	global_load_dword v58, v[50:51], off
	v_lshl_add_u64 v[48:49], v[48:49], 0, s[34:35]
	v_lshl_add_u64 v[50:51], v[50:51], 0, s[34:35]
	global_load_dword v66, v[48:49], off
	v_pk_add_f32 v[8:9], v[8:9], v[12:13]
	global_load_dword v12, v[50:51], off
	v_lshl_add_u64 v[48:49], v[48:49], 0, s[34:35]
	s_waitcnt vmcnt(10)
	v_mul_f32_e32 v11, v10, v53
	v_lshl_add_u64 v[50:51], v[50:51], 0, s[34:35]
	global_load_dword v67, v[48:49], off
	v_lshl_add_u64 v[48:49], v[48:49], 0, s[34:35]
	s_waitcnt lgkmcnt(6)
	v_mul_f32_e32 v11, v11, v60
	s_waitcnt vmcnt(10) lgkmcnt(5)
	v_sub_f32_e32 v13, v55, v61
	global_load_dword v60, v[50:51], off
	v_lshl_add_u64 v[50:51], v[50:51], 0, s[34:35]
	global_load_dword v61, v[48:49], off
	v_lshl_add_u64 v[48:49], v[48:49], 0, s[34:35]
	s_waitcnt vmcnt(11)
	v_mul_f32_e32 v13, v52, v13
	v_pk_add_f32 v[8:9], v[8:9], v[10:11]
	global_load_dword v10, v[50:51], off
	v_lshl_add_u64 v[50:51], v[50:51], 0, s[34:35]
	s_waitcnt vmcnt(11) lgkmcnt(4)
	v_sub_f32_e32 v11, v57, v63
	global_load_dword v63, v[48:49], off
	s_waitcnt lgkmcnt(3)
	v_mul_f32_e32 v53, v13, v62
	global_load_dword v62, v[50:51], off
	s_waitcnt vmcnt(12)
	v_mul_f32_e32 v11, v54, v11
	s_waitcnt lgkmcnt(2)
	v_mul_f32_e32 v55, v11, v64
	ds_bpermute_b32 v11, v18, v47
	ds_bpermute_b32 v13, v18, v46
	v_pk_add_f32 v[8:9], v[8:9], v[52:53]
	ds_bpermute_b32 v52, v19, v47
	ds_bpermute_b32 v53, v20, v46
	s_waitcnt vmcnt(11) lgkmcnt(3)
	v_sub_f32_e32 v11, v65, v11
	s_waitcnt vmcnt(10)
	v_mul_f32_e32 v11, v56, v11
	s_waitcnt lgkmcnt(2)
	v_mul_f32_e32 v57, v11, v13
	ds_bpermute_b32 v11, v19, v46
	ds_bpermute_b32 v13, v20, v47
	;; [unrolled: 1-line block ×4, first 2 shown]
	v_lshl_add_u64 v[48:49], v[48:49], 0, s[34:35]
	v_lshl_add_u64 v[50:51], v[50:51], 0, s[34:35]
	v_pk_add_f32 v[8:9], v[8:9], v[54:55]
	s_waitcnt vmcnt(9) lgkmcnt(5)
	v_sub_f32_e32 v52, v59, v52
	v_pk_add_f32 v[8:9], v[8:9], v[56:57]
	s_waitcnt vmcnt(8)
	v_mul_f32_e32 v52, v58, v52
	s_waitcnt lgkmcnt(3)
	v_mul_f32_e32 v59, v52, v11
	ds_bpermute_b32 v11, v21, v47
	s_waitcnt vmcnt(7) lgkmcnt(3)
	v_sub_f32_e32 v13, v66, v13
	ds_bpermute_b32 v52, v21, v46
	s_waitcnt vmcnt(6)
	v_mul_f32_e32 v13, v12, v13
	v_mul_f32_e32 v13, v13, v53
	ds_bpermute_b32 v53, v22, v46
	ds_bpermute_b32 v66, v23, v46
	s_waitcnt vmcnt(5) lgkmcnt(3)
	v_sub_f32_e32 v11, v67, v11
	v_pk_add_f32 v[8:9], v[8:9], v[58:59]
	ds_bpermute_b32 v67, v31, v46
	v_pk_add_f32 v[8:9], v[8:9], v[12:13]
	s_waitcnt vmcnt(4)
	v_mul_f32_e32 v11, v60, v11
	s_waitcnt vmcnt(3)
	v_sub_f32_e32 v64, v61, v64
	s_waitcnt lgkmcnt(3)
	v_mul_f32_e32 v61, v11, v52
	v_pk_add_f32 v[8:9], v[8:9], v[60:61]
	ds_bpermute_b32 v60, v26, v46
	s_waitcnt vmcnt(2)
	v_mul_f32_e32 v11, v10, v64
	s_waitcnt lgkmcnt(3)
	v_mul_f32_e32 v11, v11, v53
	global_load_dword v53, v[48:49], off
	s_waitcnt vmcnt(2)
	v_sub_f32_e32 v52, v63, v65
	v_lshl_add_u64 v[48:49], v[48:49], 0, s[34:35]
	s_waitcnt vmcnt(1)
	v_mul_f32_e32 v52, v62, v52
	s_waitcnt lgkmcnt(2)
	v_mul_f32_e32 v63, v52, v66
	global_load_dword v52, v[50:51], off
	global_load_dword v65, v[48:49], off
	v_lshl_add_u64 v[50:51], v[50:51], 0, s[34:35]
	global_load_dword v54, v[50:51], off
	v_lshl_add_u64 v[48:49], v[48:49], 0, s[34:35]
	;; [unrolled: 2-line block ×5, first 2 shown]
	global_load_dword v64, v[50:51], off
	v_pk_add_f32 v[8:9], v[8:9], v[10:11]
	ds_bpermute_b32 v10, v24, v47
	v_lshl_add_u64 v[12:13], v[50:51], 0, s[34:35]
	ds_bpermute_b32 v11, v24, v46
	ds_bpermute_b32 v51, v25, v47
	v_lshl_add_u64 v[48:49], v[48:49], 0, s[34:35]
	global_load_dword v59, v[48:49], off
	global_load_dword v50, v[12:13], off
	v_pk_add_f32 v[8:9], v[8:9], v[62:63]
	ds_bpermute_b32 v62, v27, v47
	v_lshl_add_u64 v[48:49], v[48:49], 0, s[34:35]
	global_load_dword v61, v[48:49], off
	v_lshl_add_u64 v[12:13], v[12:13], 0, s[34:35]
	global_load_dword v58, v[12:13], off
	v_lshl_add_u64 v[12:13], v[12:13], 0, s[34:35]
	s_waitcnt vmcnt(11) lgkmcnt(3)
	v_sub_f32_e32 v10, v53, v10
	s_waitcnt vmcnt(10)
	v_mul_f32_e32 v10, v52, v10
	s_waitcnt lgkmcnt(2)
	v_mul_f32_e32 v53, v10, v11
	s_waitcnt vmcnt(9) lgkmcnt(1)
	v_sub_f32_e32 v10, v65, v51
	ds_bpermute_b32 v11, v25, v46
	ds_bpermute_b32 v51, v26, v47
	s_waitcnt vmcnt(8)
	v_mul_f32_e32 v10, v54, v10
	v_pk_add_f32 v[8:9], v[8:9], v[52:53]
	s_waitcnt lgkmcnt(1)
	v_mul_f32_e32 v55, v10, v11
	s_waitcnt vmcnt(7) lgkmcnt(0)
	v_sub_f32_e32 v10, v57, v51
	s_waitcnt vmcnt(6)
	v_mul_f32_e32 v10, v56, v10
	v_mul_f32_e32 v57, v10, v60
	s_waitcnt vmcnt(5)
	v_sub_f32_e32 v10, v66, v62
	s_waitcnt vmcnt(4)
	v_mul_f32_e32 v60, v64, v10
	v_lshl_add_u64 v[10:11], v[48:49], 0, s[34:35]
	global_load_dword v49, v[10:11], off
	global_load_dword v48, v[12:13], off
	v_lshl_add_u64 v[10:11], v[10:11], 0, s[34:35]
	global_load_dword v63, v[10:11], off
	v_lshl_add_u64 v[10:11], v[10:11], 0, s[34:35]
	global_load_dword v66, v[10:11], off
	ds_bpermute_b32 v51, v27, v46
	ds_bpermute_b32 v62, v28, v47
	v_lshl_add_u64 v[12:13], v[12:13], 0, s[34:35]
	v_lshl_add_u64 v[10:11], v[10:11], 0, s[34:35]
	global_load_dword v68, v[10:11], off
	s_waitcnt lgkmcnt(1)
	v_mul_f32_e32 v65, v60, v51
	ds_bpermute_b32 v51, v28, v46
	s_waitcnt vmcnt(8) lgkmcnt(1)
	v_sub_f32_e32 v59, v59, v62
	s_waitcnt vmcnt(7)
	v_mul_f32_e32 v59, v50, v59
	ds_bpermute_b32 v62, v29, v46
	global_load_dword v60, v[12:13], off
	s_waitcnt lgkmcnt(1)
	v_mul_f32_e32 v51, v59, v51
	ds_bpermute_b32 v59, v29, v47
	v_lshl_add_u64 v[12:13], v[12:13], 0, s[34:35]
	v_lshl_add_u64 v[10:11], v[10:11], 0, s[34:35]
	v_pk_add_f32 v[8:9], v[8:9], v[54:55]
	s_waitcnt vmcnt(7) lgkmcnt(0)
	v_sub_f32_e32 v59, v61, v59
	ds_bpermute_b32 v61, v30, v47
	s_waitcnt vmcnt(6)
	v_mul_f32_e32 v59, v58, v59
	v_mul_f32_e32 v59, v59, v62
	global_load_dword v62, v[12:13], off
	v_lshl_add_u64 v[12:13], v[12:13], 0, s[34:35]
	v_pk_add_f32 v[8:9], v[8:9], v[56:57]
	ds_bpermute_b32 v56, v35, v46
	v_pk_add_f32 v[8:9], v[8:9], v[64:65]
	ds_bpermute_b32 v57, v36, v47
	;; [unrolled: 2-line block ×3, first 2 shown]
	v_pk_add_f32 v[8:9], v[8:9], v[58:59]
	s_waitcnt vmcnt(6) lgkmcnt(3)
	v_sub_f32_e32 v49, v49, v61
	ds_bpermute_b32 v61, v30, v46
	s_waitcnt vmcnt(5)
	v_mul_f32_e32 v49, v48, v49
	s_waitcnt lgkmcnt(0)
	v_mul_f32_e32 v49, v49, v61
	ds_bpermute_b32 v61, v31, v47
	v_pk_add_f32 v[8:9], v[8:9], v[48:49]
	ds_bpermute_b32 v48, v35, v47
	s_waitcnt vmcnt(4) lgkmcnt(1)
	v_sub_f32_e32 v61, v63, v61
	ds_bpermute_b32 v63, v32, v47
	s_waitcnt vmcnt(1)
	v_mul_f32_e32 v61, v60, v61
	v_mul_f32_e32 v61, v61, v67
	s_waitcnt lgkmcnt(0)
	v_sub_f32_e32 v63, v66, v63
	global_load_dword v66, v[12:13], off
	ds_bpermute_b32 v67, v32, v46
	v_lshl_add_u64 v[12:13], v[12:13], 0, s[34:35]
	v_pk_add_f32 v[8:9], v[8:9], v[60:61]
	s_waitcnt vmcnt(1)
	v_mul_f32_e32 v63, v62, v63
	s_waitcnt lgkmcnt(0)
	v_mul_f32_e32 v63, v63, v67
	ds_bpermute_b32 v67, v33, v47
	v_pk_add_f32 v[8:9], v[8:9], v[62:63]
	ds_bpermute_b32 v62, v37, v46
	s_waitcnt lgkmcnt(1)
	v_sub_f32_e32 v67, v68, v67
	ds_bpermute_b32 v68, v33, v46
	s_waitcnt vmcnt(0)
	v_mul_f32_e32 v67, v66, v67
	s_waitcnt lgkmcnt(0)
	v_mul_f32_e32 v67, v67, v68
	global_load_dword v68, v[10:11], off
	v_lshl_add_u64 v[10:11], v[10:11], 0, s[34:35]
	global_load_dword v53, v[10:11], off
	v_lshl_add_u64 v[10:11], v[10:11], 0, s[34:35]
	;; [unrolled: 2-line block ×8, first 2 shown]
	global_load_dword v65, v[10:11], off
	v_pk_add_f32 v[8:9], v[8:9], v[66:67]
	ds_bpermute_b32 v66, v41, v47
	v_lshl_add_u64 v[10:11], v[10:11], 0, s[34:35]
	global_load_dword v67, v[10:11], off
	v_lshl_add_u64 v[10:11], v[10:11], 0, s[34:35]
	s_waitcnt vmcnt(9)
	v_sub_f32_e32 v69, v68, v69
	global_load_dword v68, v[12:13], off
	v_lshl_add_u64 v[12:13], v[12:13], 0, s[34:35]
	global_load_dword v52, v[12:13], off
	v_lshl_add_u64 v[12:13], v[12:13], 0, s[34:35]
	;; [unrolled: 2-line block ×4, first 2 shown]
	s_waitcnt vmcnt(12)
	v_sub_f32_e32 v53, v53, v48
	global_load_dword v48, v[12:13], off
	v_lshl_add_u64 v[12:13], v[12:13], 0, s[34:35]
	s_waitcnt vmcnt(12)
	v_sub_f32_e32 v55, v55, v57
	ds_bpermute_b32 v57, v36, v46
	s_waitcnt vmcnt(7) lgkmcnt(1)
	v_sub_f32_e32 v63, v63, v66
	ds_bpermute_b32 v66, v42, v46
	s_waitcnt vmcnt(4)
	v_mul_f32_e32 v69, v68, v69
	v_mul_f32_e32 v69, v69, v70
	s_waitcnt vmcnt(3)
	v_mul_f32_e32 v53, v52, v53
	v_mul_f32_e32 v53, v53, v56
	global_load_dword v56, v[12:13], off
	v_lshl_add_u64 v[12:13], v[12:13], 0, s[34:35]
	s_waitcnt vmcnt(3)
	v_mul_f32_e32 v55, v54, v55
	global_load_dword v58, v[12:13], off
	v_lshl_add_u64 v[12:13], v[12:13], 0, s[34:35]
	s_waitcnt lgkmcnt(1)
	v_mul_f32_e32 v55, v55, v57
	ds_bpermute_b32 v57, v37, v47
	global_load_dword v60, v[12:13], off
	v_lshl_add_u64 v[12:13], v[12:13], 0, s[34:35]
	v_pk_add_f32 v[8:9], v[8:9], v[68:69]
	global_load_dword v68, v[10:11], off
	s_waitcnt lgkmcnt(0)
	v_sub_f32_e32 v51, v51, v57
	s_waitcnt vmcnt(5)
	v_mul_f32_e32 v51, v50, v51
	v_mul_f32_e32 v51, v51, v62
	global_load_dword v62, v[12:13], off
	ds_bpermute_b32 v57, v38, v47
	v_lshl_add_u64 v[12:13], v[12:13], 0, s[34:35]
	v_lshl_add_u64 v[10:11], v[10:11], 0, s[34:35]
	global_load_dword v69, v[10:11], off
	v_pk_add_f32 v[8:9], v[8:9], v[52:53]
	s_waitcnt lgkmcnt(0)
	v_sub_f32_e32 v49, v49, v57
	ds_bpermute_b32 v57, v38, v46
	s_waitcnt vmcnt(6)
	v_mul_f32_e32 v49, v48, v49
	v_pk_add_f32 v[8:9], v[8:9], v[54:55]
	s_waitcnt lgkmcnt(0)
	v_mul_f32_e32 v49, v49, v57
	ds_bpermute_b32 v57, v39, v47
	v_pk_add_f32 v[8:9], v[8:9], v[50:51]
	s_waitcnt lgkmcnt(0)
	v_sub_f32_e32 v57, v59, v57
	ds_bpermute_b32 v59, v40, v47
	v_pk_add_f32 v[8:9], v[8:9], v[48:49]
	s_waitcnt lgkmcnt(0)
	v_sub_f32_e32 v59, v61, v59
	ds_bpermute_b32 v61, v41, v46
	s_waitcnt vmcnt(5)
	v_mul_f32_e32 v57, v56, v57
	v_mul_f32_e32 v57, v57, v64
	ds_bpermute_b32 v64, v40, v46
	s_waitcnt vmcnt(4)
	v_mul_f32_e32 v59, v58, v59
	v_pk_add_f32 v[8:9], v[8:9], v[56:57]
	s_waitcnt vmcnt(3)
	v_mul_f32_e32 v63, v60, v63
	s_waitcnt lgkmcnt(0)
	v_mul_f32_e32 v59, v59, v64
	v_mul_f32_e32 v61, v63, v61
	ds_bpermute_b32 v63, v42, v47
	global_load_dword v64, v[12:13], off
	v_lshl_add_u64 v[12:13], v[12:13], 0, s[34:35]
	v_lshl_add_u64 v[10:11], v[12:13], 0, s[34:35]
	global_load_dword v10, v[10:11], off
	s_waitcnt lgkmcnt(0)
	v_sub_f32_e32 v63, v65, v63
	s_waitcnt vmcnt(3)
	v_mul_f32_e32 v63, v62, v63
	v_mul_f32_e32 v63, v63, v66
	global_load_dword v66, v[12:13], off
	ds_bpermute_b32 v11, v43, v47
	ds_bpermute_b32 v12, v43, v46
	v_pk_add_f32 v[8:9], v[8:9], v[58:59]
	s_waitcnt lgkmcnt(1)
	v_sub_f32_e32 v11, v67, v11
	v_pk_add_f32 v[8:9], v[8:9], v[60:61]
	s_waitcnt vmcnt(2)
	v_mul_f32_e32 v11, v64, v11
	s_waitcnt lgkmcnt(0)
	v_mul_f32_e32 v65, v11, v12
	ds_bpermute_b32 v11, v44, v47
	ds_bpermute_b32 v12, v44, v46
	v_pk_add_f32 v[8:9], v[8:9], v[62:63]
	s_waitcnt lgkmcnt(1)
	v_sub_f32_e32 v11, v68, v11
	s_waitcnt vmcnt(0)
	v_mul_f32_e32 v11, v66, v11
	s_waitcnt lgkmcnt(0)
	v_mul_f32_e32 v67, v11, v12
	ds_bpermute_b32 v11, v45, v47
	ds_bpermute_b32 v12, v45, v46
	v_pk_add_f32 v[8:9], v[8:9], v[64:65]
	s_waitcnt lgkmcnt(1)
	v_sub_f32_e32 v11, v69, v11
	v_mul_f32_e32 v11, v10, v11
	v_pk_add_f32 v[8:9], v[8:9], v[66:67]
	s_waitcnt lgkmcnt(0)
	v_mul_f32_e32 v11, v11, v12
	v_pk_add_f32 v[8:9], v[8:9], v[10:11]
	v_mov_b64_e32 v[10:11], s[16:17]
	v_cmp_lt_i64_e32 vcc, s[6:7], v[10:11]
	s_cbranch_vccz .LBB60_10
.LBB60_7:                               ; =>This Inner Loop Header: Depth=1
	v_mov_b32_e32 v46, 0
	v_mov_b32_e32 v47, 0
	s_and_saveexec_b64 s[36:37], s[0:1]
	s_cbranch_execz .LBB60_6
; %bb.8:                                ;   in Loop: Header=BB60_7 Depth=1
	v_cmp_gt_i64_e32 vcc, s[16:17], v[2:3]
	v_mov_b32_e32 v47, 0
	v_mov_b32_e32 v46, 0
	s_and_saveexec_b64 s[38:39], vcc
	s_cbranch_execz .LBB60_5
; %bb.9:                                ;   in Loop: Header=BB60_7 Depth=1
	v_lshl_add_u64 v[12:13], s[12:13], 0, v[4:5]
	v_lshl_add_u64 v[10:11], s[14:15], 0, v[4:5]
	global_load_dword v47, v[12:13], off
	global_load_dword v46, v[10:11], off
	s_branch .LBB60_5
.LBB60_10:
	v_mov_b32_e32 v2, v1
.LBB60_11:
	s_load_dword s5, s[24:25], 0xc
	s_mov_b32 s3, 0
	v_mov_b32_e32 v1, 0
	s_lshl_b64 s[0:1], s[2:3], 5
	v_lshl_add_u64 v[4:5], s[0:1], 0, v[0:1]
	s_waitcnt lgkmcnt(0)
	s_lshr_b32 s0, s5, 16
	v_mov_b32_e32 v3, v1
	v_mov_b32_e32 v0, s4
	v_mad_u64_u32 v[0:1], s[0:1], s0, v0, v[2:3]
	s_cmp_eq_u64 s[20:21], 0
	v_mul_lo_u32 v1, v1, s18
	v_mul_lo_u32 v2, v0, s19
	s_cbranch_scc1 .LBB60_13
; %bb.12:
	v_mad_u64_u32 v[6:7], s[0:1], v0, s18, 0
	v_add3_u32 v7, v7, v2, v1
	v_lshl_add_u64 v[6:7], v[6:7], 2, s[20:21]
	v_lshl_add_u64 v[6:7], v[4:5], 2, v[6:7]
	global_store_dword v[6:7], v9, off
.LBB60_13:
	s_cmp_eq_u64 s[22:23], 0
	s_cbranch_scc1 .LBB60_15
; %bb.14:
	v_mad_u64_u32 v[6:7], s[0:1], v0, s18, 0
	v_add3_u32 v7, v7, v2, v1
	v_lshl_add_u64 v[0:1], v[6:7], 2, s[22:23]
	v_lshl_add_u64 v[0:1], v[4:5], 2, v[0:1]
	global_store_dword v[0:1], v8, off
.LBB60_15:
	s_endpgm
	.section	.rodata,"a",@progbits
	.p2align	6, 0x0
	.amdhsa_kernel _ZN2at6native12_GLOBAL__N_135GammaBetaBackwardCUDAKernelTemplateIffLj32ELj1ELj32ELb1ELb1ELb0EEEvllPKT_S5_PKT0_S8_PS3_S9_
		.amdhsa_group_segment_fixed_size 0
		.amdhsa_private_segment_fixed_size 0
		.amdhsa_kernarg_size 320
		.amdhsa_user_sgpr_count 2
		.amdhsa_user_sgpr_dispatch_ptr 0
		.amdhsa_user_sgpr_queue_ptr 0
		.amdhsa_user_sgpr_kernarg_segment_ptr 1
		.amdhsa_user_sgpr_dispatch_id 0
		.amdhsa_user_sgpr_kernarg_preload_length 0
		.amdhsa_user_sgpr_kernarg_preload_offset 0
		.amdhsa_user_sgpr_private_segment_size 0
		.amdhsa_uses_dynamic_stack 0
		.amdhsa_enable_private_segment 0
		.amdhsa_system_sgpr_workgroup_id_x 1
		.amdhsa_system_sgpr_workgroup_id_y 1
		.amdhsa_system_sgpr_workgroup_id_z 0
		.amdhsa_system_sgpr_workgroup_info 0
		.amdhsa_system_vgpr_workitem_id 1
		.amdhsa_next_free_vgpr 71
		.amdhsa_next_free_sgpr 40
		.amdhsa_accum_offset 72
		.amdhsa_reserve_vcc 1
		.amdhsa_float_round_mode_32 0
		.amdhsa_float_round_mode_16_64 0
		.amdhsa_float_denorm_mode_32 3
		.amdhsa_float_denorm_mode_16_64 3
		.amdhsa_dx10_clamp 1
		.amdhsa_ieee_mode 1
		.amdhsa_fp16_overflow 0
		.amdhsa_tg_split 0
		.amdhsa_exception_fp_ieee_invalid_op 0
		.amdhsa_exception_fp_denorm_src 0
		.amdhsa_exception_fp_ieee_div_zero 0
		.amdhsa_exception_fp_ieee_overflow 0
		.amdhsa_exception_fp_ieee_underflow 0
		.amdhsa_exception_fp_ieee_inexact 0
		.amdhsa_exception_int_div_zero 0
	.end_amdhsa_kernel
	.section	.text._ZN2at6native12_GLOBAL__N_135GammaBetaBackwardCUDAKernelTemplateIffLj32ELj1ELj32ELb1ELb1ELb0EEEvllPKT_S5_PKT0_S8_PS3_S9_,"axG",@progbits,_ZN2at6native12_GLOBAL__N_135GammaBetaBackwardCUDAKernelTemplateIffLj32ELj1ELj32ELb1ELb1ELb0EEEvllPKT_S5_PKT0_S8_PS3_S9_,comdat
.Lfunc_end60:
	.size	_ZN2at6native12_GLOBAL__N_135GammaBetaBackwardCUDAKernelTemplateIffLj32ELj1ELj32ELb1ELb1ELb0EEEvllPKT_S5_PKT0_S8_PS3_S9_, .Lfunc_end60-_ZN2at6native12_GLOBAL__N_135GammaBetaBackwardCUDAKernelTemplateIffLj32ELj1ELj32ELb1ELb1ELb0EEEvllPKT_S5_PKT0_S8_PS3_S9_
                                        ; -- End function
	.set _ZN2at6native12_GLOBAL__N_135GammaBetaBackwardCUDAKernelTemplateIffLj32ELj1ELj32ELb1ELb1ELb0EEEvllPKT_S5_PKT0_S8_PS3_S9_.num_vgpr, 71
	.set _ZN2at6native12_GLOBAL__N_135GammaBetaBackwardCUDAKernelTemplateIffLj32ELj1ELj32ELb1ELb1ELb0EEEvllPKT_S5_PKT0_S8_PS3_S9_.num_agpr, 0
	.set _ZN2at6native12_GLOBAL__N_135GammaBetaBackwardCUDAKernelTemplateIffLj32ELj1ELj32ELb1ELb1ELb0EEEvllPKT_S5_PKT0_S8_PS3_S9_.numbered_sgpr, 40
	.set _ZN2at6native12_GLOBAL__N_135GammaBetaBackwardCUDAKernelTemplateIffLj32ELj1ELj32ELb1ELb1ELb0EEEvllPKT_S5_PKT0_S8_PS3_S9_.num_named_barrier, 0
	.set _ZN2at6native12_GLOBAL__N_135GammaBetaBackwardCUDAKernelTemplateIffLj32ELj1ELj32ELb1ELb1ELb0EEEvllPKT_S5_PKT0_S8_PS3_S9_.private_seg_size, 0
	.set _ZN2at6native12_GLOBAL__N_135GammaBetaBackwardCUDAKernelTemplateIffLj32ELj1ELj32ELb1ELb1ELb0EEEvllPKT_S5_PKT0_S8_PS3_S9_.uses_vcc, 1
	.set _ZN2at6native12_GLOBAL__N_135GammaBetaBackwardCUDAKernelTemplateIffLj32ELj1ELj32ELb1ELb1ELb0EEEvllPKT_S5_PKT0_S8_PS3_S9_.uses_flat_scratch, 0
	.set _ZN2at6native12_GLOBAL__N_135GammaBetaBackwardCUDAKernelTemplateIffLj32ELj1ELj32ELb1ELb1ELb0EEEvllPKT_S5_PKT0_S8_PS3_S9_.has_dyn_sized_stack, 0
	.set _ZN2at6native12_GLOBAL__N_135GammaBetaBackwardCUDAKernelTemplateIffLj32ELj1ELj32ELb1ELb1ELb0EEEvllPKT_S5_PKT0_S8_PS3_S9_.has_recursion, 0
	.set _ZN2at6native12_GLOBAL__N_135GammaBetaBackwardCUDAKernelTemplateIffLj32ELj1ELj32ELb1ELb1ELb0EEEvllPKT_S5_PKT0_S8_PS3_S9_.has_indirect_call, 0
	.section	.AMDGPU.csdata,"",@progbits
; Kernel info:
; codeLenInByte = 3340
; TotalNumSgprs: 46
; NumVgprs: 71
; NumAgprs: 0
; TotalNumVgprs: 71
; ScratchSize: 0
; MemoryBound: 0
; FloatMode: 240
; IeeeMode: 1
; LDSByteSize: 0 bytes/workgroup (compile time only)
; SGPRBlocks: 5
; VGPRBlocks: 8
; NumSGPRsForWavesPerEU: 46
; NumVGPRsForWavesPerEU: 71
; AccumOffset: 72
; Occupancy: 7
; WaveLimiterHint : 0
; COMPUTE_PGM_RSRC2:SCRATCH_EN: 0
; COMPUTE_PGM_RSRC2:USER_SGPR: 2
; COMPUTE_PGM_RSRC2:TRAP_HANDLER: 0
; COMPUTE_PGM_RSRC2:TGID_X_EN: 1
; COMPUTE_PGM_RSRC2:TGID_Y_EN: 1
; COMPUTE_PGM_RSRC2:TGID_Z_EN: 0
; COMPUTE_PGM_RSRC2:TIDIG_COMP_CNT: 1
; COMPUTE_PGM_RSRC3_GFX90A:ACCUM_OFFSET: 17
; COMPUTE_PGM_RSRC3_GFX90A:TG_SPLIT: 0
	.section	.text._ZN2at6native12_GLOBAL__N_135GammaBetaBackwardCUDAKernelTemplateIffLj32ELj1ELj32ELb1ELb0ELb0EEEvllPKT_S5_PKT0_S8_PS3_S9_,"axG",@progbits,_ZN2at6native12_GLOBAL__N_135GammaBetaBackwardCUDAKernelTemplateIffLj32ELj1ELj32ELb1ELb0ELb0EEEvllPKT_S5_PKT0_S8_PS3_S9_,comdat
	.globl	_ZN2at6native12_GLOBAL__N_135GammaBetaBackwardCUDAKernelTemplateIffLj32ELj1ELj32ELb1ELb0ELb0EEEvllPKT_S5_PKT0_S8_PS3_S9_ ; -- Begin function _ZN2at6native12_GLOBAL__N_135GammaBetaBackwardCUDAKernelTemplateIffLj32ELj1ELj32ELb1ELb0ELb0EEEvllPKT_S5_PKT0_S8_PS3_S9_
	.p2align	8
	.type	_ZN2at6native12_GLOBAL__N_135GammaBetaBackwardCUDAKernelTemplateIffLj32ELj1ELj32ELb1ELb0ELb0EEEvllPKT_S5_PKT0_S8_PS3_S9_,@function
_ZN2at6native12_GLOBAL__N_135GammaBetaBackwardCUDAKernelTemplateIffLj32ELj1ELj32ELb1ELb0ELb0EEEvllPKT_S5_PKT0_S8_PS3_S9_: ; @_ZN2at6native12_GLOBAL__N_135GammaBetaBackwardCUDAKernelTemplateIffLj32ELj1ELj32ELb1ELb0ELb0EEEvllPKT_S5_PKT0_S8_PS3_S9_
; %bb.0:
	s_load_dwordx8 s[12:19], s[0:1], 0x0
	s_load_dwordx4 s[20:23], s[0:1], 0x20
	s_mov_b32 s8, s3
	s_lshl_b32 s3, s2, 5
	s_mov_b32 s11, 0
	s_lshl_b32 s10, s8, 5
	s_or_b32 s4, s3, 31
	v_mov_b64_e32 v[2:3], s[10:11]
	v_mov_b32_e32 v36, s4
	v_mov_b32_e32 v37, 0
	s_waitcnt lgkmcnt(0)
	v_cmp_gt_i64_e64 s[4:5], s[12:13], v[2:3]
	v_cmp_le_i64_e32 vcc, s[14:15], v[36:37]
	s_nop 0
	v_cndmask_b32_e64 v1, 0, 1, s[4:5]
	v_cmp_ne_u32_e64 s[4:5], 1, v1
	s_cbranch_vccz .LBB61_144
; %bb.1:
	s_and_b64 vcc, exec, s[4:5]
	v_mov_b32_e32 v36, 0
	s_cbranch_vccnz .LBB61_146
; %bb.2:
	v_and_b32_e32 v172, 0x3ff, v0
	v_mov_b32_e32 v2, 0
	v_bfe_u32 v173, v0, 10, 10
	v_add_u32_e32 v4, s3, v172
	v_mov_b32_e32 v5, v2
	v_mov_b32_e32 v220, v0
	v_lshlrev_b32_e32 v0, 5, v173
	v_mov_b32_e32 v1, v2
	v_cmp_gt_i64_e64 s[6:7], s[14:15], v[4:5]
	v_lshlrev_b64 v[38:39], 2, v[4:5]
	v_lshl_add_u64 v[4:5], v[0:1], 0, s[10:11]
	v_mul_lo_u32 v3, s15, v4
	v_mul_lo_u32 v8, s14, v5
	v_mad_u64_u32 v[6:7], s[28:29], s14, v4, 0
	v_add3_u32 v7, v7, v8, v3
	v_lshlrev_b64 v[6:7], 2, v[6:7]
	v_lshl_add_u64 v[40:41], s[16:17], 0, v[6:7]
	v_lshl_add_u64 v[42:43], s[18:19], 0, v[6:7]
	v_lshl_add_u64 v[6:7], v[4:5], 0, 31
	v_mul_lo_u32 v9, s15, v6
	v_mul_lo_u32 v10, s14, v7
	v_mad_u64_u32 v[6:7], s[34:35], s14, v6, 0
	v_add3_u32 v7, v7, v10, v9
	v_lshlrev_b64 v[6:7], 2, v[6:7]
	v_lshl_add_u64 v[44:45], s[16:17], 0, v[6:7]
	v_lshl_add_u64 v[46:47], s[18:19], 0, v[6:7]
	;; [unrolled: 8-line block ×30, first 2 shown]
	v_lshl_add_u64 v[6:7], v[4:5], 0, 2
	s_load_dword s9, s[0:1], 0x44
	v_mul_lo_u32 v5, s15, v6
	v_mul_lo_u32 v9, s14, v7
	v_mad_u64_u32 v[6:7], s[34:35], s14, v6, 0
	v_add3_u32 v7, v7, v9, v5
	v_lshlrev_b64 v[6:7], 2, v[6:7]
	v_lshl_add_u64 v[160:161], s[16:17], 0, v[6:7]
	v_lshl_add_u64 v[162:163], s[18:19], 0, v[6:7]
	v_mov_b64_e32 v[6:7], s[14:15]
	s_add_u32 s26, s0, 64
	v_mad_u64_u32 v[4:5], s[34:35], s14, v4, v[6:7]
	s_addc_u32 s27, s1, 0
	s_waitcnt lgkmcnt(0)
	s_lshl_b32 s24, s9, 5
	v_add3_u32 v5, v3, v5, v8
	v_mbcnt_lo_u32_b32 v3, -1, 0
	s_mul_i32 s9, s15, s24
	s_mul_hi_u32 s28, s14, s24
	v_mbcnt_hi_u32_b32 v3, -1, v3
	s_add_i32 s29, s28, s9
	s_mul_i32 s28, s14, s24
	v_lshlrev_b64 v[4:5], 2, v[4:5]
	v_lshlrev_b32_e32 v3, 2, v3
	s_mov_b32 s25, 0
	s_lshl_b64 s[28:29], s[28:29], 2
	s_mov_b64 s[30:31], 31
	v_lshl_add_u64 v[164:165], s[16:17], 0, v[4:5]
	v_lshl_add_u64 v[166:167], s[18:19], 0, v[4:5]
	v_and_b32_e32 v174, 0x100, v3
	v_mov_b32_e32 v37, v2
	v_mov_b32_e32 v36, v2
	s_mov_b64 s[34:35], s[10:11]
	s_branch .LBB61_5
.LBB61_3:                               ;   in Loop: Header=BB61_5 Depth=1
	s_or_b64 exec, exec, s[36:37]
	s_waitcnt vmcnt(1)
	ds_bpermute_b32 v204, v174, v171
	s_waitcnt vmcnt(0)
	ds_bpermute_b32 v205, v174, v170
	ds_bpermute_b32 v208, v174, v171 offset:8
	ds_bpermute_b32 v207, v174, v171 offset:4
	;; [unrolled: 1-line block ×3, first 2 shown]
	s_waitcnt lgkmcnt(4)
	v_sub_f32_e32 v175, v175, v204
	v_mul_f32_e32 v175, v4, v175
	s_waitcnt lgkmcnt(3)
	v_mul_f32_e32 v205, v175, v205
	ds_bpermute_b32 v175, v174, v170 offset:8
	ds_bpermute_b32 v204, v174, v171 offset:12
	s_waitcnt lgkmcnt(4)
	v_sub_f32_e32 v168, v168, v208
	v_mul_f32_e32 v168, v6, v168
	s_waitcnt lgkmcnt(3)
	v_sub_f32_e32 v169, v169, v207
	s_waitcnt lgkmcnt(1)
	v_mul_f32_e32 v207, v168, v175
	ds_bpermute_b32 v168, v174, v170 offset:12
	ds_bpermute_b32 v175, v174, v171 offset:16
	s_waitcnt lgkmcnt(2)
	v_sub_f32_e32 v177, v177, v204
	ds_bpermute_b32 v204, v174, v170 offset:16
	v_mul_f32_e32 v177, v7, v177
	s_waitcnt lgkmcnt(2)
	v_mul_f32_e32 v177, v177, v168
	s_waitcnt lgkmcnt(1)
	v_sub_f32_e32 v168, v176, v175
	ds_bpermute_b32 v175, v174, v171 offset:20
	v_mul_f32_e32 v168, v8, v168
	s_waitcnt lgkmcnt(1)
	v_mul_f32_e32 v209, v168, v204
	ds_bpermute_b32 v168, v174, v170 offset:20
	ds_bpermute_b32 v176, v174, v171 offset:24
	;; [unrolled: 1-line block ×3, first 2 shown]
	s_waitcnt lgkmcnt(3)
	v_sub_f32_e32 v175, v179, v175
	v_mul_f32_e32 v175, v9, v175
	s_waitcnt lgkmcnt(2)
	v_mul_f32_e32 v179, v175, v168
	s_waitcnt lgkmcnt(1)
	v_sub_f32_e32 v168, v178, v176
	ds_bpermute_b32 v175, v174, v171 offset:28
	v_mul_f32_e32 v168, v10, v168
	s_waitcnt lgkmcnt(1)
	v_mul_f32_e32 v211, v168, v204
	ds_bpermute_b32 v168, v174, v170 offset:28
	ds_bpermute_b32 v176, v174, v171 offset:32
	;; [unrolled: 1-line block ×3, first 2 shown]
	s_waitcnt lgkmcnt(3)
	v_sub_f32_e32 v175, v181, v175
	v_mul_f32_e32 v175, v11, v175
	s_waitcnt lgkmcnt(2)
	v_mul_f32_e32 v181, v175, v168
	s_waitcnt lgkmcnt(1)
	v_sub_f32_e32 v168, v180, v176
	ds_bpermute_b32 v175, v174, v171 offset:36
	v_mul_f32_e32 v168, v12, v168
	s_waitcnt lgkmcnt(1)
	v_mul_f32_e32 v213, v168, v178
	ds_bpermute_b32 v168, v174, v170 offset:36
	ds_bpermute_b32 v176, v174, v171 offset:40
	v_mul_f32_e32 v169, v5, v169
	v_mul_f32_e32 v169, v169, v206
	s_waitcnt lgkmcnt(2)
	v_sub_f32_e32 v175, v185, v175
	v_mov_b32_e32 v206, v6
	ds_bpermute_b32 v6, v174, v171 offset:44
	v_mul_f32_e32 v175, v13, v175
	s_waitcnt lgkmcnt(2)
	v_mul_f32_e32 v185, v175, v168
	s_waitcnt lgkmcnt(1)
	v_sub_f32_e32 v168, v184, v176
	v_mov_b32_e32 v176, v7
	ds_bpermute_b32 v7, v174, v170 offset:44
	v_mov_b32_e32 v208, v8
	s_waitcnt lgkmcnt(1)
	v_sub_f32_e32 v6, v183, v6
	ds_bpermute_b32 v8, v174, v171 offset:48
	v_mul_f32_e32 v6, v15, v6
	ds_bpermute_b32 v178, v174, v170 offset:40
	v_mov_b32_e32 v210, v10
	s_waitcnt lgkmcnt(2)
	v_mul_f32_e32 v7, v6, v7
	ds_bpermute_b32 v6, v174, v170 offset:48
	ds_bpermute_b32 v10, v174, v171 offset:52
	v_mov_b32_e32 v180, v11
	ds_bpermute_b32 v11, v174, v170 offset:52
	s_waitcnt lgkmcnt(4)
	v_sub_f32_e32 v8, v182, v8
	v_mul_f32_e32 v168, v14, v168
	v_mul_f32_e32 v8, v16, v8
	s_waitcnt lgkmcnt(3)
	v_mul_f32_e32 v215, v168, v178
	v_mov_b32_e32 v178, v9
	s_waitcnt lgkmcnt(2)
	v_mul_f32_e32 v9, v8, v6
	s_waitcnt lgkmcnt(1)
	v_sub_f32_e32 v6, v187, v10
	ds_bpermute_b32 v8, v174, v171 offset:56
	v_mul_f32_e32 v6, v17, v6
	s_waitcnt lgkmcnt(1)
	v_mul_f32_e32 v11, v6, v11
	ds_bpermute_b32 v6, v174, v170 offset:56
	ds_bpermute_b32 v10, v174, v171 offset:60
	v_mov_b32_e32 v212, v12
	ds_bpermute_b32 v12, v174, v170 offset:60
	s_waitcnt lgkmcnt(3)
	v_sub_f32_e32 v8, v186, v8
	v_mul_f32_e32 v8, v18, v8
	v_mov_b32_e32 v204, v4
	v_mov_b32_e32 v184, v13
	s_waitcnt lgkmcnt(2)
	v_mul_f32_e32 v13, v8, v6
	s_waitcnt lgkmcnt(1)
	v_sub_f32_e32 v6, v189, v10
	ds_bpermute_b32 v8, v174, v171 offset:64
	v_pk_add_f32 v[36:37], v[36:37], v[204:205]
	v_mov_b32_e32 v168, v5
	v_mul_f32_e32 v6, v19, v6
	v_pk_add_f32 v[4:5], v[168:169], v[36:37]
	s_waitcnt lgkmcnt(1)
	v_mul_f32_e32 v37, v6, v12
	ds_bpermute_b32 v6, v174, v170 offset:64
	ds_bpermute_b32 v10, v174, v171 offset:68
	;; [unrolled: 1-line block ×3, first 2 shown]
	s_waitcnt lgkmcnt(3)
	v_sub_f32_e32 v8, v188, v8
	v_mul_f32_e32 v8, v20, v8
	s_waitcnt lgkmcnt(2)
	v_mul_f32_e32 v169, v8, v6
	s_waitcnt lgkmcnt(1)
	v_sub_f32_e32 v6, v192, v10
	ds_bpermute_b32 v8, v174, v171 offset:72
	v_pk_add_f32 v[4:5], v[206:207], v[4:5]
	v_mul_f32_e32 v6, v21, v6
	v_pk_add_f32 v[4:5], v[176:177], v[4:5]
	s_waitcnt lgkmcnt(1)
	v_mul_f32_e32 v177, v6, v12
	ds_bpermute_b32 v6, v174, v170 offset:72
	ds_bpermute_b32 v10, v174, v171 offset:76
	ds_bpermute_b32 v12, v174, v170 offset:76
	s_waitcnt lgkmcnt(3)
	v_sub_f32_e32 v8, v190, v8
	v_pk_add_f32 v[4:5], v[208:209], v[4:5]
	v_mul_f32_e32 v8, v22, v8
	v_pk_add_f32 v[4:5], v[178:179], v[4:5]
	s_waitcnt lgkmcnt(2)
	v_mul_f32_e32 v179, v8, v6
	s_waitcnt lgkmcnt(1)
	v_sub_f32_e32 v6, v195, v10
	ds_bpermute_b32 v8, v174, v171 offset:80
	v_pk_add_f32 v[4:5], v[210:211], v[4:5]
	v_mul_f32_e32 v6, v23, v6
	v_pk_add_f32 v[4:5], v[180:181], v[4:5]
	s_waitcnt lgkmcnt(1)
	v_mul_f32_e32 v181, v6, v12
	ds_bpermute_b32 v6, v174, v170 offset:80
	ds_bpermute_b32 v10, v174, v171 offset:84
	;; [unrolled: 1-line block ×3, first 2 shown]
	s_waitcnt lgkmcnt(3)
	v_sub_f32_e32 v8, v193, v8
	v_mul_f32_e32 v8, v24, v8
	v_pk_add_f32 v[4:5], v[212:213], v[4:5]
	s_waitcnt lgkmcnt(2)
	v_mul_f32_e32 v183, v8, v6
	s_waitcnt lgkmcnt(1)
	v_sub_f32_e32 v6, v198, v10
	v_pk_add_f32 v[4:5], v[184:185], v[4:5]
	v_mov_b32_e32 v214, v14
	v_mul_f32_e32 v6, v25, v6
	v_pk_add_f32 v[4:5], v[214:215], v[4:5]
	s_waitcnt lgkmcnt(0)
	v_mul_f32_e32 v185, v6, v12
	v_mov_b32_e32 v6, v15
	v_pk_add_f32 v[4:5], v[6:7], v[4:5]
	ds_bpermute_b32 v6, v174, v171 offset:88
	v_mov_b32_e32 v8, v16
	v_pk_add_f32 v[4:5], v[8:9], v[4:5]
	ds_bpermute_b32 v7, v174, v170 offset:88
	ds_bpermute_b32 v8, v174, v171 offset:92
	;; [unrolled: 1-line block ×3, first 2 shown]
	s_waitcnt lgkmcnt(3)
	v_sub_f32_e32 v6, v191, v6
	v_mul_f32_e32 v6, v26, v6
	s_waitcnt lgkmcnt(2)
	v_mul_f32_e32 v7, v6, v7
	s_waitcnt lgkmcnt(1)
	v_sub_f32_e32 v6, v196, v8
	ds_bpermute_b32 v8, v174, v171 offset:96
	v_mov_b32_e32 v10, v17
	v_mul_f32_e32 v6, v27, v6
	v_pk_add_f32 v[4:5], v[10:11], v[4:5]
	s_waitcnt lgkmcnt(1)
	v_mul_f32_e32 v9, v6, v9
	ds_bpermute_b32 v6, v174, v170 offset:96
	ds_bpermute_b32 v10, v174, v171 offset:100
	v_mov_b32_e32 v12, v18
	v_pk_add_f32 v[4:5], v[12:13], v[4:5]
	ds_bpermute_b32 v12, v174, v170 offset:100
	s_waitcnt lgkmcnt(3)
	v_sub_f32_e32 v8, v194, v8
	v_mul_f32_e32 v8, v28, v8
	s_waitcnt lgkmcnt(2)
	v_mul_f32_e32 v11, v8, v6
	s_waitcnt lgkmcnt(1)
	v_sub_f32_e32 v6, v199, v10
	ds_bpermute_b32 v8, v174, v171 offset:104
	v_mul_f32_e32 v6, v29, v6
	s_waitcnt lgkmcnt(1)
	v_mul_f32_e32 v13, v6, v12
	ds_bpermute_b32 v6, v174, v170 offset:104
	ds_bpermute_b32 v10, v174, v171 offset:108
	;; [unrolled: 1-line block ×3, first 2 shown]
	s_waitcnt lgkmcnt(3)
	v_sub_f32_e32 v8, v197, v8
	v_mul_f32_e32 v8, v30, v8
	s_waitcnt lgkmcnt(2)
	v_mul_f32_e32 v15, v8, v6
	s_waitcnt lgkmcnt(1)
	v_sub_f32_e32 v6, v202, v10
	ds_bpermute_b32 v8, v174, v171 offset:112
	v_mul_f32_e32 v6, v31, v6
	v_mov_b32_e32 v36, v19
	s_waitcnt lgkmcnt(1)
	v_mul_f32_e32 v17, v6, v12
	ds_bpermute_b32 v6, v174, v170 offset:112
	ds_bpermute_b32 v10, v174, v171 offset:116
	v_pk_add_f32 v[4:5], v[36:37], v[4:5]
	v_mov_b32_e32 v168, v20
	v_pk_add_f32 v[4:5], v[168:169], v[4:5]
	v_mov_b32_e32 v176, v21
	ds_bpermute_b32 v12, v174, v170 offset:116
	v_pk_add_f32 v[4:5], v[176:177], v[4:5]
	v_mov_b32_e32 v178, v22
	s_waitcnt lgkmcnt(3)
	v_sub_f32_e32 v8, v200, v8
	v_pk_add_f32 v[4:5], v[178:179], v[4:5]
	v_mov_b32_e32 v180, v23
	v_mul_f32_e32 v8, v32, v8
	v_pk_add_f32 v[4:5], v[180:181], v[4:5]
	v_mov_b32_e32 v182, v24
	s_waitcnt lgkmcnt(2)
	v_mul_f32_e32 v19, v8, v6
	s_waitcnt lgkmcnt(1)
	v_sub_f32_e32 v6, v203, v10
	v_pk_add_f32 v[4:5], v[182:183], v[4:5]
	v_mov_b32_e32 v184, v25
	v_mul_f32_e32 v6, v33, v6
	v_pk_add_f32 v[4:5], v[184:185], v[4:5]
	s_waitcnt lgkmcnt(0)
	v_mul_f32_e32 v21, v6, v12
	v_mov_b32_e32 v6, v26
	v_pk_add_f32 v[4:5], v[6:7], v[4:5]
	v_mov_b32_e32 v8, v27
	v_pk_add_f32 v[4:5], v[8:9], v[4:5]
	;; [unrolled: 2-line block ×6, first 2 shown]
	v_mov_b32_e32 v18, v32
	ds_bpermute_b32 v8, v174, v171 offset:120
	v_pk_add_f32 v[4:5], v[18:19], v[4:5]
	v_mov_b32_e32 v20, v33
	v_pk_add_f32 v[6:7], v[20:21], v[4:5]
	ds_bpermute_b32 v5, v174, v170 offset:120
	ds_bpermute_b32 v175, v174, v170 offset:124
	;; [unrolled: 1-line block ×3, first 2 shown]
	s_waitcnt lgkmcnt(3)
	v_sub_f32_e32 v8, v201, v8
	v_mul_f32_e32 v8, v34, v8
	s_waitcnt lgkmcnt(2)
	v_mul_f32_e32 v9, v8, v5
	v_mov_b32_e32 v8, v34
	v_pk_add_f32 v[170:171], v[8:9], v[6:7]
.LBB61_4:                               ;   in Loop: Header=BB61_5 Depth=1
	s_waitcnt lgkmcnt(0)
	v_sub_f32_e32 v3, v3, v4
	v_mul_f32_e32 v3, v35, v3
	v_mul_f32_e32 v5, v3, v175
	v_mov_b32_e32 v4, v35
	s_add_u32 s34, s34, s24
	v_pk_add_f32 v[36:37], v[170:171], v[4:5]
	s_addc_u32 s35, s35, 0
	v_mov_b64_e32 v[4:5], s[12:13]
	s_add_u32 s30, s30, s24
	v_cmp_lt_i64_e32 vcc, s[34:35], v[4:5]
	v_lshl_add_u64 v[40:41], v[40:41], 0, s[28:29]
	v_lshl_add_u64 v[42:43], v[42:43], 0, s[28:29]
	;; [unrolled: 1-line block ×65, first 2 shown]
	s_addc_u32 s31, 0, s31
	s_cbranch_vccz .LBB61_145
.LBB61_5:                               ; =>This Inner Loop Header: Depth=1
	s_add_u32 s36, s10, s30
	s_addc_u32 s37, 0, s31
	v_mov_b64_e32 v[4:5], s[12:13]
	v_cmp_ge_i64_e32 vcc, s[36:37], v[4:5]
	v_lshl_add_u64 v[168:169], s[10:11], 0, v[0:1]
	s_mov_b64 s[36:37], -1
	s_and_b64 vcc, exec, vcc
                                        ; implicit-def: $vgpr4_vgpr5_vgpr6_vgpr7_vgpr8_vgpr9_vgpr10_vgpr11_vgpr12_vgpr13_vgpr14_vgpr15_vgpr16_vgpr17_vgpr18_vgpr19_vgpr20_vgpr21_vgpr22_vgpr23_vgpr24_vgpr25_vgpr26_vgpr27_vgpr28_vgpr29_vgpr30_vgpr31_vgpr32_vgpr33_vgpr34_vgpr35
                                        ; implicit-def: $vgpr170_vgpr171
                                        ; implicit-def: $vgpr175
                                        ; implicit-def: $vgpr3
                                        ; implicit-def: $vgpr4
	s_cbranch_vccz .LBB61_75
; %bb.6:                                ;   in Loop: Header=BB61_5 Depth=1
	s_load_dword s9, s[26:27], 0xc
	v_mov_b32_e32 v175, 0
	v_mov_b32_e32 v170, 0
	;; [unrolled: 1-line block ×3, first 2 shown]
	s_waitcnt lgkmcnt(0)
	s_and_b32 s9, s9, 0xffff
	v_mad_u32_u24 v3, v173, s9, v172
	v_and_b32_e32 v4, 63, v3
	v_cmp_gt_u32_e32 vcc, 32, v4
	s_and_saveexec_b64 s[36:37], vcc
	s_cbranch_execz .LBB61_10
; %bb.7:                                ;   in Loop: Header=BB61_5 Depth=1
	v_mov_b32_e32 v5, v2
	v_lshl_add_u64 v[4:5], v[168:169], 0, v[4:5]
	v_cmp_gt_i64_e32 vcc, s[12:13], v[4:5]
	v_mov_b32_e32 v171, 0
	v_mov_b32_e32 v170, 0
	s_and_saveexec_b64 s[38:39], vcc
	s_cbranch_execz .LBB61_9
; %bb.8:                                ;   in Loop: Header=BB61_5 Depth=1
	v_lshlrev_b64 v[4:5], 2, v[4:5]
	v_lshl_add_u64 v[6:7], s[22:23], 0, v[4:5]
	v_lshl_add_u64 v[4:5], s[20:21], 0, v[4:5]
	global_load_dword v171, v[4:5], off
	global_load_dword v170, v[6:7], off
.LBB61_9:                               ;   in Loop: Header=BB61_5 Depth=1
	s_or_b64 exec, exec, s[38:39]
.LBB61_10:                              ;   in Loop: Header=BB61_5 Depth=1
	s_or_b64 exec, exec, s[36:37]
	v_mov_b32_e32 v4, v2
	v_mov_b32_e32 v5, v2
	;; [unrolled: 1-line block ×30, first 2 shown]
	v_cmp_gt_i64_e32 vcc, s[12:13], v[168:169]
	v_mov_b32_e32 v3, v2
	v_mov_b64_e32 v[34:35], v[32:33]
	s_and_b64 s[38:39], s[6:7], vcc
	v_mov_b64_e32 v[32:33], v[30:31]
	v_mov_b64_e32 v[30:31], v[28:29]
	v_mov_b64_e32 v[28:29], v[26:27]
	v_mov_b64_e32 v[26:27], v[24:25]
	v_mov_b64_e32 v[24:25], v[22:23]
	v_mov_b64_e32 v[22:23], v[20:21]
	v_mov_b64_e32 v[20:21], v[18:19]
	v_mov_b64_e32 v[18:19], v[16:17]
	v_mov_b64_e32 v[16:17], v[14:15]
	v_mov_b64_e32 v[14:15], v[12:13]
	v_mov_b64_e32 v[12:13], v[10:11]
	v_mov_b64_e32 v[10:11], v[8:9]
	v_mov_b64_e32 v[8:9], v[6:7]
	v_mov_b64_e32 v[6:7], v[4:5]
	v_mov_b64_e32 v[4:5], v[2:3]
	s_and_saveexec_b64 s[36:37], s[38:39]
	s_cbranch_execz .LBB61_12
; %bb.11:                               ;   in Loop: Header=BB61_5 Depth=1
	v_lshl_add_u64 v[4:5], v[40:41], 0, v[38:39]
	v_lshl_add_u64 v[6:7], v[42:43], 0, v[38:39]
	global_load_dword v4, v[4:5], off
	v_mov_b32_e32 v5, v2
	global_load_dword v175, v[6:7], off
	v_mov_b32_e32 v6, v2
	v_mov_b32_e32 v7, v2
	;; [unrolled: 1-line block ×30, first 2 shown]
.LBB61_12:                              ;   in Loop: Header=BB61_5 Depth=1
	s_or_b64 exec, exec, s[36:37]
	v_lshl_add_u64 v[176:177], v[168:169], 0, 1
	v_cmp_gt_i64_e32 vcc, s[12:13], v[176:177]
	s_and_b64 s[38:39], s[6:7], vcc
	v_mov_b32_e32 v176, 0
	v_mov_b32_e32 v177, 0
	s_and_saveexec_b64 s[36:37], s[38:39]
	s_cbranch_execz .LBB61_14
; %bb.13:                               ;   in Loop: Header=BB61_5 Depth=1
	v_lshl_add_u64 v[178:179], v[164:165], 0, v[38:39]
	global_load_dword v5, v[178:179], off
	v_lshl_add_u64 v[178:179], v[166:167], 0, v[38:39]
	global_load_dword v177, v[178:179], off
.LBB61_14:                              ;   in Loop: Header=BB61_5 Depth=1
	s_or_b64 exec, exec, s[36:37]
	v_lshl_add_u64 v[178:179], v[168:169], 0, 2
	v_cmp_gt_i64_e32 vcc, s[12:13], v[178:179]
	s_and_b64 s[38:39], s[6:7], vcc
	s_and_saveexec_b64 s[36:37], s[38:39]
	s_cbranch_execz .LBB61_16
; %bb.15:                               ;   in Loop: Header=BB61_5 Depth=1
	v_lshl_add_u64 v[178:179], v[160:161], 0, v[38:39]
	global_load_dword v6, v[178:179], off
	v_lshl_add_u64 v[178:179], v[162:163], 0, v[38:39]
	global_load_dword v176, v[178:179], off
.LBB61_16:                              ;   in Loop: Header=BB61_5 Depth=1
	s_or_b64 exec, exec, s[36:37]
	v_lshl_add_u64 v[178:179], v[168:169], 0, 3
	v_cmp_gt_i64_e32 vcc, s[12:13], v[178:179]
	s_and_b64 s[38:39], s[6:7], vcc
	v_mov_b32_e32 v178, 0
	v_mov_b32_e32 v179, 0
	s_and_saveexec_b64 s[36:37], s[38:39]
	s_cbranch_execz .LBB61_18
; %bb.17:                               ;   in Loop: Header=BB61_5 Depth=1
	v_lshl_add_u64 v[180:181], v[156:157], 0, v[38:39]
	global_load_dword v7, v[180:181], off
	v_lshl_add_u64 v[180:181], v[158:159], 0, v[38:39]
	global_load_dword v179, v[180:181], off
.LBB61_18:                              ;   in Loop: Header=BB61_5 Depth=1
	s_or_b64 exec, exec, s[36:37]
	v_lshl_add_u64 v[180:181], v[168:169], 0, 4
	v_cmp_gt_i64_e32 vcc, s[12:13], v[180:181]
	s_and_b64 s[38:39], s[6:7], vcc
	s_and_saveexec_b64 s[36:37], s[38:39]
	s_cbranch_execz .LBB61_20
; %bb.19:                               ;   in Loop: Header=BB61_5 Depth=1
	v_lshl_add_u64 v[180:181], v[152:153], 0, v[38:39]
	global_load_dword v8, v[180:181], off
	v_lshl_add_u64 v[180:181], v[154:155], 0, v[38:39]
	global_load_dword v178, v[180:181], off
.LBB61_20:                              ;   in Loop: Header=BB61_5 Depth=1
	;; [unrolled: 26-line block ×15, first 2 shown]
	s_or_b64 exec, exec, s[36:37]
	v_lshl_add_u64 v[206:207], v[168:169], 0, 31
	v_cmp_gt_i64_e32 vcc, s[12:13], v[206:207]
	s_and_b64 s[38:39], s[6:7], vcc
	v_mov_b32_e32 v3, 0
	s_and_saveexec_b64 s[36:37], s[38:39]
	s_cbranch_execz .LBB61_74
; %bb.73:                               ;   in Loop: Header=BB61_5 Depth=1
	v_lshl_add_u64 v[206:207], v[44:45], 0, v[38:39]
	global_load_dword v35, v[206:207], off
	v_lshl_add_u64 v[206:207], v[46:47], 0, v[38:39]
	global_load_dword v3, v[206:207], off
.LBB61_74:                              ;   in Loop: Header=BB61_5 Depth=1
	s_or_b64 exec, exec, s[36:37]
	s_waitcnt vmcnt(1)
	ds_bpermute_b32 v206, v174, v171
	s_waitcnt vmcnt(0)
	ds_bpermute_b32 v207, v174, v170
	ds_bpermute_b32 v209, v174, v171 offset:4
	ds_bpermute_b32 v208, v174, v170 offset:4
	;; [unrolled: 1-line block ×3, first 2 shown]
	s_waitcnt lgkmcnt(4)
	v_sub_f32_e32 v175, v175, v206
	v_mul_f32_e32 v175, v4, v175
	ds_bpermute_b32 v206, v174, v170 offset:8
	s_waitcnt lgkmcnt(4)
	v_mul_f32_e32 v207, v175, v207
	s_waitcnt lgkmcnt(3)
	v_sub_f32_e32 v175, v177, v209
	v_mul_f32_e32 v175, v5, v175
	s_waitcnt lgkmcnt(2)
	v_mul_f32_e32 v177, v175, v208
	s_waitcnt lgkmcnt(1)
	v_sub_f32_e32 v175, v176, v210
	ds_bpermute_b32 v176, v174, v171 offset:12
	v_mul_f32_e32 v175, v6, v175
	s_waitcnt lgkmcnt(1)
	v_mul_f32_e32 v209, v175, v206
	ds_bpermute_b32 v175, v174, v170 offset:12
	ds_bpermute_b32 v206, v174, v171 offset:16
	ds_bpermute_b32 v208, v174, v170 offset:16
	s_waitcnt lgkmcnt(3)
	v_sub_f32_e32 v176, v179, v176
	v_mul_f32_e32 v176, v7, v176
	s_waitcnt lgkmcnt(2)
	v_mul_f32_e32 v179, v176, v175
	s_waitcnt lgkmcnt(1)
	v_sub_f32_e32 v175, v178, v206
	ds_bpermute_b32 v176, v174, v171 offset:20
	v_mul_f32_e32 v175, v8, v175
	s_waitcnt lgkmcnt(1)
	v_mul_f32_e32 v211, v175, v208
	ds_bpermute_b32 v175, v174, v170 offset:20
	ds_bpermute_b32 v178, v174, v171 offset:24
	ds_bpermute_b32 v206, v174, v170 offset:24
	s_waitcnt lgkmcnt(3)
	v_sub_f32_e32 v176, v181, v176
	v_mul_f32_e32 v176, v9, v176
	s_waitcnt lgkmcnt(2)
	v_mul_f32_e32 v181, v176, v175
	s_waitcnt lgkmcnt(1)
	v_sub_f32_e32 v175, v180, v178
	ds_bpermute_b32 v176, v174, v171 offset:28
	v_mul_f32_e32 v175, v10, v175
	s_waitcnt lgkmcnt(1)
	v_mul_f32_e32 v213, v175, v206
	ds_bpermute_b32 v175, v174, v170 offset:28
	ds_bpermute_b32 v178, v174, v171 offset:32
	ds_bpermute_b32 v180, v174, v170 offset:32
	s_waitcnt lgkmcnt(3)
	v_sub_f32_e32 v176, v183, v176
	v_mul_f32_e32 v176, v11, v176
	s_waitcnt lgkmcnt(2)
	v_mul_f32_e32 v183, v176, v175
	s_waitcnt lgkmcnt(1)
	v_sub_f32_e32 v175, v182, v178
	ds_bpermute_b32 v176, v174, v171 offset:36
	v_mul_f32_e32 v175, v12, v175
	s_waitcnt lgkmcnt(1)
	v_mul_f32_e32 v215, v175, v180
	ds_bpermute_b32 v175, v174, v170 offset:36
	ds_bpermute_b32 v178, v174, v171 offset:40
	s_waitcnt lgkmcnt(2)
	v_sub_f32_e32 v176, v187, v176
	v_mov_b32_e32 v208, v6
	ds_bpermute_b32 v6, v174, v171 offset:44
	v_mul_f32_e32 v176, v13, v176
	s_waitcnt lgkmcnt(2)
	v_mul_f32_e32 v217, v176, v175
	s_waitcnt lgkmcnt(1)
	v_sub_f32_e32 v175, v185, v178
	v_mov_b32_e32 v178, v7
	ds_bpermute_b32 v7, v174, v170 offset:44
	v_mov_b32_e32 v210, v8
	s_waitcnt lgkmcnt(1)
	v_sub_f32_e32 v6, v186, v6
	ds_bpermute_b32 v8, v174, v171 offset:48
	v_mul_f32_e32 v6, v15, v6
	ds_bpermute_b32 v180, v174, v170 offset:40
	v_mov_b32_e32 v212, v10
	s_waitcnt lgkmcnt(2)
	v_mul_f32_e32 v7, v6, v7
	ds_bpermute_b32 v6, v174, v170 offset:48
	ds_bpermute_b32 v10, v174, v171 offset:52
	v_mov_b32_e32 v182, v11
	ds_bpermute_b32 v11, v174, v170 offset:52
	s_waitcnt lgkmcnt(4)
	v_sub_f32_e32 v8, v184, v8
	v_mul_f32_e32 v175, v14, v175
	v_mul_f32_e32 v8, v16, v8
	s_waitcnt lgkmcnt(3)
	v_mul_f32_e32 v219, v175, v180
	v_mov_b32_e32 v180, v9
	s_waitcnt lgkmcnt(2)
	v_mul_f32_e32 v9, v8, v6
	s_waitcnt lgkmcnt(1)
	v_sub_f32_e32 v6, v189, v10
	ds_bpermute_b32 v8, v174, v171 offset:56
	v_mul_f32_e32 v6, v17, v6
	s_waitcnt lgkmcnt(1)
	v_mul_f32_e32 v11, v6, v11
	ds_bpermute_b32 v6, v174, v170 offset:56
	ds_bpermute_b32 v10, v174, v171 offset:60
	v_mov_b32_e32 v214, v12
	ds_bpermute_b32 v12, v174, v170 offset:60
	s_waitcnt lgkmcnt(3)
	v_sub_f32_e32 v8, v188, v8
	v_mul_f32_e32 v8, v18, v8
	v_mov_b32_e32 v206, v4
	v_mov_b32_e32 v216, v13
	s_waitcnt lgkmcnt(2)
	v_mul_f32_e32 v13, v8, v6
	s_waitcnt lgkmcnt(1)
	v_sub_f32_e32 v6, v191, v10
	ds_bpermute_b32 v8, v174, v171 offset:64
	v_pk_add_f32 v[206:207], v[36:37], v[206:207]
	v_mov_b32_e32 v176, v5
	v_mul_f32_e32 v6, v19, v6
	v_pk_add_f32 v[4:5], v[176:177], v[206:207]
	s_waitcnt lgkmcnt(1)
	v_mul_f32_e32 v177, v6, v12
	ds_bpermute_b32 v6, v174, v170 offset:64
	ds_bpermute_b32 v10, v174, v171 offset:68
	;; [unrolled: 1-line block ×3, first 2 shown]
	s_waitcnt lgkmcnt(3)
	v_sub_f32_e32 v8, v190, v8
	v_pk_add_f32 v[4:5], v[208:209], v[4:5]
	v_mul_f32_e32 v8, v20, v8
	v_pk_add_f32 v[4:5], v[178:179], v[4:5]
	s_waitcnt lgkmcnt(2)
	v_mul_f32_e32 v179, v8, v6
	s_waitcnt lgkmcnt(1)
	v_sub_f32_e32 v6, v193, v10
	ds_bpermute_b32 v8, v174, v171 offset:72
	v_pk_add_f32 v[4:5], v[210:211], v[4:5]
	v_mul_f32_e32 v6, v21, v6
	v_pk_add_f32 v[4:5], v[180:181], v[4:5]
	s_waitcnt lgkmcnt(1)
	v_mul_f32_e32 v181, v6, v12
	ds_bpermute_b32 v6, v174, v170 offset:72
	ds_bpermute_b32 v10, v174, v171 offset:76
	;; [unrolled: 1-line block ×3, first 2 shown]
	s_waitcnt lgkmcnt(3)
	v_sub_f32_e32 v8, v192, v8
	v_pk_add_f32 v[4:5], v[212:213], v[4:5]
	v_mul_f32_e32 v8, v22, v8
	v_pk_add_f32 v[4:5], v[182:183], v[4:5]
	s_waitcnt lgkmcnt(2)
	v_mul_f32_e32 v183, v8, v6
	s_waitcnt lgkmcnt(1)
	v_sub_f32_e32 v6, v196, v10
	ds_bpermute_b32 v8, v174, v171 offset:80
	v_mul_f32_e32 v6, v23, v6
	s_waitcnt lgkmcnt(1)
	v_mul_f32_e32 v185, v6, v12
	ds_bpermute_b32 v6, v174, v170 offset:80
	ds_bpermute_b32 v10, v174, v171 offset:84
	;; [unrolled: 1-line block ×3, first 2 shown]
	s_waitcnt lgkmcnt(3)
	v_sub_f32_e32 v8, v195, v8
	v_mul_f32_e32 v8, v24, v8
	v_pk_add_f32 v[4:5], v[214:215], v[4:5]
	s_waitcnt lgkmcnt(2)
	v_mul_f32_e32 v187, v8, v6
	s_waitcnt lgkmcnt(1)
	v_sub_f32_e32 v6, v199, v10
	v_pk_add_f32 v[4:5], v[216:217], v[4:5]
	v_mov_b32_e32 v218, v14
	v_mul_f32_e32 v6, v25, v6
	v_pk_add_f32 v[4:5], v[218:219], v[4:5]
	s_waitcnt lgkmcnt(0)
	v_mul_f32_e32 v189, v6, v12
	v_mov_b32_e32 v6, v15
	v_pk_add_f32 v[4:5], v[6:7], v[4:5]
	ds_bpermute_b32 v6, v174, v171 offset:88
	v_mov_b32_e32 v8, v16
	v_pk_add_f32 v[4:5], v[8:9], v[4:5]
	ds_bpermute_b32 v7, v174, v170 offset:88
	ds_bpermute_b32 v8, v174, v171 offset:92
	;; [unrolled: 1-line block ×3, first 2 shown]
	s_waitcnt lgkmcnt(3)
	v_sub_f32_e32 v6, v194, v6
	v_mul_f32_e32 v6, v26, v6
	s_waitcnt lgkmcnt(2)
	v_mul_f32_e32 v7, v6, v7
	s_waitcnt lgkmcnt(1)
	v_sub_f32_e32 v6, v198, v8
	ds_bpermute_b32 v8, v174, v171 offset:96
	v_mov_b32_e32 v10, v17
	v_mul_f32_e32 v6, v27, v6
	v_pk_add_f32 v[4:5], v[10:11], v[4:5]
	s_waitcnt lgkmcnt(1)
	v_mul_f32_e32 v9, v6, v9
	ds_bpermute_b32 v6, v174, v170 offset:96
	ds_bpermute_b32 v10, v174, v171 offset:100
	v_mov_b32_e32 v12, v18
	v_pk_add_f32 v[4:5], v[12:13], v[4:5]
	ds_bpermute_b32 v12, v174, v170 offset:100
	s_waitcnt lgkmcnt(3)
	v_sub_f32_e32 v8, v197, v8
	v_mul_f32_e32 v8, v28, v8
	s_waitcnt lgkmcnt(2)
	v_mul_f32_e32 v11, v8, v6
	s_waitcnt lgkmcnt(1)
	v_sub_f32_e32 v6, v201, v10
	ds_bpermute_b32 v8, v174, v171 offset:104
	v_mul_f32_e32 v6, v29, v6
	s_waitcnt lgkmcnt(1)
	v_mul_f32_e32 v13, v6, v12
	ds_bpermute_b32 v6, v174, v170 offset:104
	ds_bpermute_b32 v10, v174, v171 offset:108
	;; [unrolled: 1-line block ×3, first 2 shown]
	s_waitcnt lgkmcnt(3)
	v_sub_f32_e32 v8, v200, v8
	v_mul_f32_e32 v8, v30, v8
	s_waitcnt lgkmcnt(2)
	v_mul_f32_e32 v15, v8, v6
	s_waitcnt lgkmcnt(1)
	v_sub_f32_e32 v6, v204, v10
	ds_bpermute_b32 v8, v174, v171 offset:112
	v_mul_f32_e32 v6, v31, v6
	v_mov_b32_e32 v176, v19
	s_waitcnt lgkmcnt(1)
	v_mul_f32_e32 v17, v6, v12
	ds_bpermute_b32 v6, v174, v170 offset:112
	ds_bpermute_b32 v10, v174, v171 offset:116
	v_pk_add_f32 v[4:5], v[176:177], v[4:5]
	v_mov_b32_e32 v178, v20
	v_pk_add_f32 v[4:5], v[178:179], v[4:5]
	v_mov_b32_e32 v180, v21
	ds_bpermute_b32 v12, v174, v170 offset:116
	v_pk_add_f32 v[4:5], v[180:181], v[4:5]
	v_mov_b32_e32 v182, v22
	s_waitcnt lgkmcnt(3)
	v_sub_f32_e32 v8, v202, v8
	v_pk_add_f32 v[4:5], v[182:183], v[4:5]
	v_mov_b32_e32 v184, v23
	v_mul_f32_e32 v8, v32, v8
	v_pk_add_f32 v[4:5], v[184:185], v[4:5]
	v_mov_b32_e32 v186, v24
	s_waitcnt lgkmcnt(2)
	v_mul_f32_e32 v19, v8, v6
	s_waitcnt lgkmcnt(1)
	v_sub_f32_e32 v6, v205, v10
	v_pk_add_f32 v[4:5], v[186:187], v[4:5]
	v_mov_b32_e32 v188, v25
	v_mul_f32_e32 v6, v33, v6
	v_pk_add_f32 v[4:5], v[188:189], v[4:5]
	s_waitcnt lgkmcnt(0)
	v_mul_f32_e32 v21, v6, v12
	v_mov_b32_e32 v6, v26
	v_pk_add_f32 v[4:5], v[6:7], v[4:5]
	v_mov_b32_e32 v8, v27
	v_pk_add_f32 v[4:5], v[8:9], v[4:5]
	;; [unrolled: 2-line block ×4, first 2 shown]
	v_mov_b32_e32 v14, v30
	ds_bpermute_b32 v8, v174, v171 offset:120
	v_pk_add_f32 v[4:5], v[14:15], v[4:5]
	v_mov_b32_e32 v16, v31
	v_pk_add_f32 v[4:5], v[16:17], v[4:5]
	v_mov_b32_e32 v18, v32
	v_pk_add_f32 v[4:5], v[18:19], v[4:5]
	v_mov_b32_e32 v20, v33
	v_pk_add_f32 v[6:7], v[20:21], v[4:5]
	ds_bpermute_b32 v5, v174, v170 offset:120
	s_waitcnt lgkmcnt(1)
	v_sub_f32_e32 v4, v203, v8
	v_mul_f32_e32 v8, v34, v4
	ds_bpermute_b32 v175, v174, v170 offset:124
	ds_bpermute_b32 v4, v174, v171 offset:124
	s_waitcnt lgkmcnt(2)
	v_mul_f32_e32 v9, v8, v5
	v_mov_b32_e32 v8, v34
	v_pk_add_f32 v[170:171], v[8:9], v[6:7]
	s_mov_b64 s[36:37], 0
.LBB61_75:                              ;   in Loop: Header=BB61_5 Depth=1
	s_and_b64 vcc, exec, s[36:37]
	s_cbranch_vccz .LBB61_4
; %bb.76:                               ;   in Loop: Header=BB61_5 Depth=1
	s_load_dword s9, s[26:27], 0x0
	s_waitcnt lgkmcnt(0)
	v_mov_b32_e32 v175, 0
	v_mov_b32_e32 v170, 0
	;; [unrolled: 1-line block ×3, first 2 shown]
	s_cmp_lt_u32 s2, s9
	s_cselect_b32 s9, 12, 18
	s_add_u32 s36, s26, s9
	s_addc_u32 s37, s27, 0
	global_load_ushort v3, v2, s[36:37]
	s_waitcnt vmcnt(0)
	v_mad_u32_u24 v3, v173, v3, v172
	v_and_b32_e32 v4, 63, v3
	v_cmp_gt_u32_e32 vcc, 32, v4
	s_and_saveexec_b64 s[36:37], vcc
	s_cbranch_execz .LBB61_80
; %bb.77:                               ;   in Loop: Header=BB61_5 Depth=1
	v_mov_b32_e32 v5, v2
	v_lshl_add_u64 v[4:5], v[168:169], 0, v[4:5]
	v_cmp_gt_i64_e32 vcc, s[12:13], v[4:5]
	v_mov_b32_e32 v171, 0
	v_mov_b32_e32 v170, 0
	s_and_saveexec_b64 s[38:39], vcc
	s_cbranch_execz .LBB61_79
; %bb.78:                               ;   in Loop: Header=BB61_5 Depth=1
	v_lshlrev_b64 v[4:5], 2, v[4:5]
	v_lshl_add_u64 v[6:7], s[22:23], 0, v[4:5]
	v_lshl_add_u64 v[4:5], s[20:21], 0, v[4:5]
	global_load_dword v171, v[4:5], off
	global_load_dword v170, v[6:7], off
.LBB61_79:                              ;   in Loop: Header=BB61_5 Depth=1
	s_or_b64 exec, exec, s[38:39]
.LBB61_80:                              ;   in Loop: Header=BB61_5 Depth=1
	s_or_b64 exec, exec, s[36:37]
	v_mov_b32_e32 v4, v2
	v_mov_b32_e32 v5, v2
	;; [unrolled: 1-line block ×31, first 2 shown]
	v_mov_b64_e32 v[34:35], v[32:33]
	v_mov_b64_e32 v[32:33], v[30:31]
	;; [unrolled: 1-line block ×16, first 2 shown]
	s_and_saveexec_b64 s[36:37], s[6:7]
	s_cbranch_execz .LBB61_82
; %bb.81:                               ;   in Loop: Header=BB61_5 Depth=1
	v_lshl_add_u64 v[4:5], v[40:41], 0, v[38:39]
	v_lshl_add_u64 v[6:7], v[42:43], 0, v[38:39]
	global_load_dword v4, v[4:5], off
	v_mov_b32_e32 v5, v2
	global_load_dword v175, v[6:7], off
	v_mov_b32_e32 v6, v2
	v_mov_b32_e32 v7, v2
	;; [unrolled: 1-line block ×30, first 2 shown]
.LBB61_82:                              ;   in Loop: Header=BB61_5 Depth=1
	s_or_b64 exec, exec, s[36:37]
	v_mov_b32_e32 v168, 0
	v_mov_b32_e32 v169, 0
	s_and_saveexec_b64 s[36:37], s[6:7]
	s_cbranch_execz .LBB61_84
; %bb.83:                               ;   in Loop: Header=BB61_5 Depth=1
	v_lshl_add_u64 v[176:177], v[164:165], 0, v[38:39]
	global_load_dword v5, v[176:177], off
	v_lshl_add_u64 v[176:177], v[166:167], 0, v[38:39]
	global_load_dword v169, v[176:177], off
.LBB61_84:                              ;   in Loop: Header=BB61_5 Depth=1
	s_or_b64 exec, exec, s[36:37]
	s_and_saveexec_b64 s[36:37], s[6:7]
	s_cbranch_execz .LBB61_86
; %bb.85:                               ;   in Loop: Header=BB61_5 Depth=1
	v_lshl_add_u64 v[176:177], v[160:161], 0, v[38:39]
	global_load_dword v6, v[176:177], off
	v_lshl_add_u64 v[176:177], v[162:163], 0, v[38:39]
	global_load_dword v168, v[176:177], off
.LBB61_86:                              ;   in Loop: Header=BB61_5 Depth=1
	s_or_b64 exec, exec, s[36:37]
	v_mov_b32_e32 v176, 0
	v_mov_b32_e32 v177, 0
	s_and_saveexec_b64 s[36:37], s[6:7]
	s_cbranch_execz .LBB61_88
; %bb.87:                               ;   in Loop: Header=BB61_5 Depth=1
	v_lshl_add_u64 v[178:179], v[156:157], 0, v[38:39]
	global_load_dword v7, v[178:179], off
	v_lshl_add_u64 v[178:179], v[158:159], 0, v[38:39]
	global_load_dword v177, v[178:179], off
.LBB61_88:                              ;   in Loop: Header=BB61_5 Depth=1
	s_or_b64 exec, exec, s[36:37]
	s_and_saveexec_b64 s[36:37], s[6:7]
	s_cbranch_execz .LBB61_90
; %bb.89:                               ;   in Loop: Header=BB61_5 Depth=1
	v_lshl_add_u64 v[178:179], v[152:153], 0, v[38:39]
	global_load_dword v8, v[178:179], off
	v_lshl_add_u64 v[178:179], v[154:155], 0, v[38:39]
	global_load_dword v176, v[178:179], off
.LBB61_90:                              ;   in Loop: Header=BB61_5 Depth=1
	;; [unrolled: 20-line block ×4, first 2 shown]
	s_or_b64 exec, exec, s[36:37]
	v_mov_b32_e32 v184, 0
	v_mov_b32_e32 v185, 0
	s_and_saveexec_b64 s[36:37], s[6:7]
	s_cbranch_execz .LBB61_100
; %bb.99:                               ;   in Loop: Header=BB61_5 Depth=1
	v_lshl_add_u64 v[182:183], v[132:133], 0, v[38:39]
	global_load_dword v13, v[182:183], off
	v_lshl_add_u64 v[182:183], v[134:135], 0, v[38:39]
	global_load_dword v185, v[182:183], off
.LBB61_100:                             ;   in Loop: Header=BB61_5 Depth=1
	s_or_b64 exec, exec, s[36:37]
	s_and_saveexec_b64 s[36:37], s[6:7]
	s_cbranch_execz .LBB61_102
; %bb.101:                              ;   in Loop: Header=BB61_5 Depth=1
	v_lshl_add_u64 v[182:183], v[128:129], 0, v[38:39]
	global_load_dword v14, v[182:183], off
	v_lshl_add_u64 v[182:183], v[130:131], 0, v[38:39]
	global_load_dword v184, v[182:183], off
.LBB61_102:                             ;   in Loop: Header=BB61_5 Depth=1
	s_or_b64 exec, exec, s[36:37]
	v_mov_b32_e32 v182, 0
	v_mov_b32_e32 v183, 0
	s_and_saveexec_b64 s[36:37], s[6:7]
	s_cbranch_execz .LBB61_104
; %bb.103:                              ;   in Loop: Header=BB61_5 Depth=1
	v_lshl_add_u64 v[186:187], v[124:125], 0, v[38:39]
	global_load_dword v15, v[186:187], off
	v_lshl_add_u64 v[186:187], v[126:127], 0, v[38:39]
	global_load_dword v183, v[186:187], off
.LBB61_104:                             ;   in Loop: Header=BB61_5 Depth=1
	s_or_b64 exec, exec, s[36:37]
	s_and_saveexec_b64 s[36:37], s[6:7]
	s_cbranch_execz .LBB61_106
; %bb.105:                              ;   in Loop: Header=BB61_5 Depth=1
	v_lshl_add_u64 v[186:187], v[120:121], 0, v[38:39]
	global_load_dword v16, v[186:187], off
	v_lshl_add_u64 v[186:187], v[122:123], 0, v[38:39]
	global_load_dword v182, v[186:187], off
.LBB61_106:                             ;   in Loop: Header=BB61_5 Depth=1
	s_or_b64 exec, exec, s[36:37]
	v_mov_b32_e32 v186, 0
	v_mov_b32_e32 v187, 0
	s_and_saveexec_b64 s[36:37], s[6:7]
	s_cbranch_execz .LBB61_108
; %bb.107:                              ;   in Loop: Header=BB61_5 Depth=1
	v_lshl_add_u64 v[188:189], v[116:117], 0, v[38:39]
	global_load_dword v17, v[188:189], off
	v_lshl_add_u64 v[188:189], v[118:119], 0, v[38:39]
	global_load_dword v187, v[188:189], off
.LBB61_108:                             ;   in Loop: Header=BB61_5 Depth=1
	;; [unrolled: 20-line block ×9, first 2 shown]
	s_or_b64 exec, exec, s[36:37]
	s_and_saveexec_b64 s[36:37], s[6:7]
	s_cbranch_execz .LBB61_138
; %bb.137:                              ;   in Loop: Header=BB61_5 Depth=1
	v_lshl_add_u64 v[200:201], v[56:57], 0, v[38:39]
	global_load_dword v32, v[200:201], off
	v_lshl_add_u64 v[200:201], v[58:59], 0, v[38:39]
	global_load_dword v200, v[200:201], off
.LBB61_138:                             ;   in Loop: Header=BB61_5 Depth=1
	s_or_b64 exec, exec, s[36:37]
	v_mov_b32_e32 v201, 0
	v_mov_b32_e32 v203, 0
	s_and_saveexec_b64 s[36:37], s[6:7]
	s_cbranch_execnz .LBB61_141
; %bb.139:                              ;   in Loop: Header=BB61_5 Depth=1
	s_or_b64 exec, exec, s[36:37]
	s_and_saveexec_b64 s[36:37], s[6:7]
	s_cbranch_execnz .LBB61_142
.LBB61_140:                             ;   in Loop: Header=BB61_5 Depth=1
	s_or_b64 exec, exec, s[36:37]
	v_mov_b32_e32 v3, 0
	s_and_saveexec_b64 s[36:37], s[6:7]
	s_cbranch_execz .LBB61_3
	s_branch .LBB61_143
.LBB61_141:                             ;   in Loop: Header=BB61_5 Depth=1
	v_lshl_add_u64 v[204:205], v[52:53], 0, v[38:39]
	global_load_dword v33, v[204:205], off
	v_lshl_add_u64 v[204:205], v[54:55], 0, v[38:39]
	global_load_dword v203, v[204:205], off
	s_or_b64 exec, exec, s[36:37]
	s_and_saveexec_b64 s[36:37], s[6:7]
	s_cbranch_execz .LBB61_140
.LBB61_142:                             ;   in Loop: Header=BB61_5 Depth=1
	v_lshl_add_u64 v[204:205], v[48:49], 0, v[38:39]
	global_load_dword v34, v[204:205], off
	v_lshl_add_u64 v[204:205], v[50:51], 0, v[38:39]
	global_load_dword v201, v[204:205], off
	s_or_b64 exec, exec, s[36:37]
	v_mov_b32_e32 v3, 0
	s_and_saveexec_b64 s[36:37], s[6:7]
	s_cbranch_execz .LBB61_3
.LBB61_143:                             ;   in Loop: Header=BB61_5 Depth=1
	v_lshl_add_u64 v[204:205], v[44:45], 0, v[38:39]
	global_load_dword v35, v[204:205], off
	v_lshl_add_u64 v[204:205], v[46:47], 0, v[38:39]
	global_load_dword v3, v[204:205], off
	s_branch .LBB61_3
.LBB61_144:
                                        ; implicit-def: $vgpr37
	s_branch .LBB61_147
.LBB61_145:
	v_mov_b32_e32 v0, v220
.LBB61_146:
	s_cbranch_execnz .LBB61_228
.LBB61_147:
	v_mov_b32_e32 v37, 0
	s_and_b64 vcc, exec, s[4:5]
	v_mov_b32_e32 v36, v37
	s_cbranch_vccnz .LBB61_228
; %bb.148:
	v_mov_b32_e32 v2, 0
	v_bfe_u32 v6, v0, 10, 10
	v_and_b32_e32 v1, 0x3ff, v0
	v_lshlrev_b32_e32 v102, 5, v6
	v_mov_b32_e32 v103, v2
	v_accvgpr_write_b32 a0, v1
	v_add_u32_e32 v4, s3, v1
	v_mov_b32_e32 v5, v2
	v_accvgpr_write_b32 a80, v0
	v_lshl_add_u64 v[0:1], v[102:103], 0, s[10:11]
	v_lshlrev_b64 v[40:41], 2, v[4:5]
	v_mul_lo_u32 v3, s15, v0
	v_mul_lo_u32 v70, s14, v1
	v_mad_u64_u32 v[4:5], s[24:25], s14, v0, 0
	v_add3_u32 v5, v5, v70, v3
	v_lshlrev_b64 v[4:5], 2, v[4:5]
	v_lshl_add_u64 v[8:9], s[16:17], 0, v[4:5]
	v_lshl_add_u64 v[4:5], s[18:19], 0, v[4:5]
	v_accvgpr_write_b32 a7, v5
	v_accvgpr_write_b32 a6, v4
	v_lshlrev_b32_e32 v4, 7, v6
	v_mov_b32_e32 v5, v2
	v_lshl_add_u64 v[4:5], s[10:11], 2, v[4:5]
	v_lshl_add_u64 v[60:61], v[4:5], 0, 4
	v_mov_b64_e32 v[38:39], s[16:17]
	v_accvgpr_write_b32 a1, v6
	v_mad_u64_u32 v[6:7], s[26:27], s14, v60, v[38:39]
	v_mul_lo_u32 v61, s14, v61
	v_mul_lo_u32 v71, s15, v60
	v_add3_u32 v7, v71, v7, v61
	v_accvgpr_write_b32 a9, v7
	v_lshl_add_u64 v[64:65], v[4:5], 0, 8
	v_accvgpr_write_b32 a8, v6
	v_mad_u64_u32 v[6:7], s[26:27], s14, v64, v[38:39]
	v_mul_lo_u32 v65, s14, v65
	v_mul_lo_u32 v72, s15, v64
	v_add3_u32 v7, v72, v7, v65
	v_accvgpr_write_b32 a11, v7
	v_lshl_add_u64 v[66:67], v[4:5], 0, 12
	;; [unrolled: 7-line block ×15, first 2 shown]
	v_accvgpr_write_b32 a36, v6
	v_mad_u64_u32 v[6:7], s[26:27], s14, v34, v[38:39]
	v_mul_lo_u32 v35, s14, v35
	v_mul_lo_u32 v86, s15, v34
	v_add3_u32 v7, v86, v7, v35
	s_mov_b64 s[26:27], 0x44
	v_accvgpr_write_b32 a39, v7
	v_lshl_add_u64 v[32:33], v[4:5], 0, s[26:27]
	v_accvgpr_write_b32 a38, v6
	v_mad_u64_u32 v[6:7], s[26:27], s14, v32, v[38:39]
	v_mul_lo_u32 v33, s14, v33
	v_mul_lo_u32 v87, s15, v32
	v_add3_u32 v7, v87, v7, v33
	s_mov_b64 s[26:27], 0x48
	v_accvgpr_write_b32 a41, v7
	v_lshl_add_u64 v[30:31], v[4:5], 0, s[26:27]
	;; [unrolled: 8-line block ×12, first 2 shown]
	v_accvgpr_write_b32 a60, v6
	v_mad_u64_u32 v[6:7], s[26:27], s14, v10, v[38:39]
	v_mul_lo_u32 v17, s14, v11
	v_mul_lo_u32 v19, s15, v10
	v_accvgpr_write_b32 a4, v8
	v_add3_u32 v7, v19, v7, v17
	s_mov_b64 s[26:27], 0x74
	v_accvgpr_write_b32 a5, v9
	v_accvgpr_write_b32 a63, v7
	v_lshl_add_u64 v[8:9], v[4:5], 0, s[26:27]
	v_accvgpr_write_b32 a62, v6
	v_mad_u64_u32 v[6:7], s[26:27], s14, v8, v[38:39]
	v_mul_lo_u32 v13, s14, v9
	v_mul_lo_u32 v15, s15, v8
	v_add3_u32 v7, v15, v7, v13
	v_accvgpr_write_b32 a65, v7
	s_mov_b64 s[26:27], 0x78
	v_accvgpr_write_b32 a64, v6
	v_lshl_add_u64 v[6:7], v[4:5], 0, s[26:27]
	v_mad_u64_u32 v[104:105], s[26:27], s14, v6, v[38:39]
	s_mov_b64 s[26:27], 0x7c
	s_nop 0
	v_lshl_add_u64 v[4:5], v[4:5], 0, s[26:27]
	v_mul_lo_u32 v9, s14, v7
	v_mad_u64_u32 v[38:39], s[26:27], s14, v4, v[38:39]
	v_mul_lo_u32 v5, s14, v5
	v_mul_lo_u32 v7, s15, v4
	v_add3_u32 v39, v7, v39, v5
	v_accvgpr_write_b32 a69, v39
	v_accvgpr_write_b32 a68, v38
	v_mov_b64_e32 v[38:39], s[18:19]
	v_mad_u64_u32 v[168:169], s[26:27], s14, v4, v[38:39]
	v_add3_u32 v169, v7, v169, v5
	v_lshl_add_u64 v[4:5], v[0:1], 0, 31
	v_mul_lo_u32 v11, s15, v6
	v_mad_u64_u32 v[166:167], s[26:27], s14, v6, v[38:39]
	v_mul_lo_u32 v6, s15, v4
	v_mul_lo_u32 v7, s14, v5
	v_mad_u64_u32 v[4:5], s[28:29], s14, v4, 0
	v_add3_u32 v5, v5, v7, v6
	v_lshlrev_b64 v[4:5], 2, v[4:5]
	v_lshl_add_u64 v[170:171], s[16:17], 0, v[4:5]
	v_lshl_add_u64 v[172:173], s[18:19], 0, v[4:5]
	v_lshl_add_u64 v[4:5], v[0:1], 0, 30
	v_mul_lo_u32 v6, s15, v4
	v_mul_lo_u32 v7, s14, v5
	v_mad_u64_u32 v[4:5], s[28:29], s14, v4, 0
	v_add3_u32 v5, v5, v7, v6
	v_lshlrev_b64 v[4:5], 2, v[4:5]
	v_lshl_add_u64 v[174:175], s[16:17], 0, v[4:5]
	v_lshl_add_u64 v[176:177], s[18:19], 0, v[4:5]
	v_lshl_add_u64 v[4:5], v[0:1], 0, 29
	v_mul_lo_u32 v6, s15, v4
	v_mul_lo_u32 v7, s14, v5
	v_mad_u64_u32 v[4:5], s[28:29], s14, v4, 0
	v_add3_u32 v5, v5, v7, v6
	v_lshlrev_b64 v[4:5], 2, v[4:5]
	v_lshl_add_u64 v[178:179], s[16:17], 0, v[4:5]
	v_lshl_add_u64 v[180:181], s[18:19], 0, v[4:5]
	v_lshl_add_u64 v[4:5], v[0:1], 0, 28
	v_mul_lo_u32 v6, s15, v4
	v_mul_lo_u32 v7, s14, v5
	v_mad_u64_u32 v[4:5], s[28:29], s14, v4, 0
	v_add3_u32 v5, v5, v7, v6
	v_lshlrev_b64 v[4:5], 2, v[4:5]
	v_lshl_add_u64 v[182:183], s[16:17], 0, v[4:5]
	v_lshl_add_u64 v[184:185], s[18:19], 0, v[4:5]
	v_lshl_add_u64 v[4:5], v[0:1], 0, 27
	v_mul_lo_u32 v6, s15, v4
	v_mul_lo_u32 v7, s14, v5
	v_mad_u64_u32 v[4:5], s[28:29], s14, v4, 0
	v_add3_u32 v5, v5, v7, v6
	v_lshlrev_b64 v[4:5], 2, v[4:5]
	v_lshl_add_u64 v[186:187], s[16:17], 0, v[4:5]
	v_lshl_add_u64 v[188:189], s[18:19], 0, v[4:5]
	v_lshl_add_u64 v[4:5], v[0:1], 0, 26
	v_mul_lo_u32 v6, s15, v4
	v_mul_lo_u32 v7, s14, v5
	v_mad_u64_u32 v[4:5], s[28:29], s14, v4, 0
	v_add3_u32 v5, v5, v7, v6
	v_lshlrev_b64 v[4:5], 2, v[4:5]
	v_lshl_add_u64 v[190:191], s[16:17], 0, v[4:5]
	v_lshl_add_u64 v[192:193], s[18:19], 0, v[4:5]
	v_lshl_add_u64 v[4:5], v[0:1], 0, 25
	v_mul_lo_u32 v6, s15, v4
	v_mul_lo_u32 v7, s14, v5
	v_mad_u64_u32 v[4:5], s[28:29], s14, v4, 0
	v_add3_u32 v5, v5, v7, v6
	v_lshlrev_b64 v[4:5], 2, v[4:5]
	v_lshl_add_u64 v[194:195], s[16:17], 0, v[4:5]
	v_lshl_add_u64 v[196:197], s[18:19], 0, v[4:5]
	v_lshl_add_u64 v[4:5], v[0:1], 0, 24
	v_mul_lo_u32 v6, s15, v4
	v_mul_lo_u32 v7, s14, v5
	v_mad_u64_u32 v[4:5], s[28:29], s14, v4, 0
	v_add3_u32 v5, v5, v7, v6
	v_lshlrev_b64 v[4:5], 2, v[4:5]
	v_lshl_add_u64 v[198:199], s[16:17], 0, v[4:5]
	v_lshl_add_u64 v[200:201], s[18:19], 0, v[4:5]
	v_lshl_add_u64 v[4:5], v[0:1], 0, 23
	v_mul_lo_u32 v6, s15, v4
	v_mul_lo_u32 v7, s14, v5
	v_mad_u64_u32 v[4:5], s[28:29], s14, v4, 0
	v_add3_u32 v5, v5, v7, v6
	v_lshlrev_b64 v[4:5], 2, v[4:5]
	v_lshl_add_u64 v[202:203], s[16:17], 0, v[4:5]
	v_lshl_add_u64 v[204:205], s[18:19], 0, v[4:5]
	v_lshl_add_u64 v[4:5], v[0:1], 0, 22
	v_mul_lo_u32 v6, s15, v4
	v_mul_lo_u32 v7, s14, v5
	v_mad_u64_u32 v[4:5], s[28:29], s14, v4, 0
	v_add3_u32 v5, v5, v7, v6
	v_lshl_add_u64 v[6:7], v[0:1], 0, 21
	v_add3_u32 v105, v11, v105, v9
	v_mad_u64_u32 v[164:165], s[26:27], s14, v8, v[38:39]
	v_add3_u32 v167, v11, v167, v9
	v_mul_lo_u32 v8, s15, v6
	v_mul_lo_u32 v9, s14, v7
	v_mad_u64_u32 v[6:7], s[28:29], s14, v6, 0
	v_add3_u32 v7, v7, v9, v8
	v_lshl_add_u64 v[8:9], v[0:1], 0, 20
	v_mad_u64_u32 v[162:163], s[26:27], s14, v10, v[38:39]
	v_mul_lo_u32 v10, s15, v8
	v_mul_lo_u32 v11, s14, v9
	v_mad_u64_u32 v[8:9], s[28:29], s14, v8, 0
	v_add3_u32 v9, v9, v11, v10
	v_lshl_add_u64 v[10:11], v[0:1], 0, 19
	v_mad_u64_u32 v[160:161], s[26:27], s14, v12, v[38:39]
	v_add3_u32 v165, v15, v165, v13
	v_mul_lo_u32 v12, s15, v10
	v_mul_lo_u32 v13, s14, v11
	v_mad_u64_u32 v[10:11], s[28:29], s14, v10, 0
	v_add3_u32 v11, v11, v13, v12
	v_lshl_add_u64 v[12:13], v[0:1], 0, 18
	v_mad_u64_u32 v[158:159], s[26:27], s14, v14, v[38:39]
	v_mul_lo_u32 v14, s15, v12
	v_mul_lo_u32 v15, s14, v13
	v_mad_u64_u32 v[12:13], s[28:29], s14, v12, 0
	v_add3_u32 v13, v13, v15, v14
	v_lshl_add_u64 v[14:15], v[0:1], 0, 17
	v_mad_u64_u32 v[156:157], s[26:27], s14, v16, v[38:39]
	v_add3_u32 v163, v19, v163, v17
	v_mul_lo_u32 v16, s15, v14
	v_mul_lo_u32 v17, s14, v15
	v_mad_u64_u32 v[14:15], s[28:29], s14, v14, 0
	v_add3_u32 v15, v15, v17, v16
	v_lshl_add_u64 v[16:17], v[0:1], 0, 16
	v_mad_u64_u32 v[154:155], s[26:27], s14, v18, v[38:39]
	v_mul_lo_u32 v18, s15, v16
	v_mul_lo_u32 v19, s14, v17
	v_mad_u64_u32 v[16:17], s[28:29], s14, v16, 0
	v_add3_u32 v17, v17, v19, v18
	v_lshl_add_u64 v[18:19], v[0:1], 0, 15
	v_mad_u64_u32 v[152:153], s[26:27], s14, v20, v[38:39]
	v_add3_u32 v161, v23, v161, v21
	v_mul_lo_u32 v20, s15, v18
	v_mul_lo_u32 v21, s14, v19
	v_mad_u64_u32 v[18:19], s[28:29], s14, v18, 0
	v_add3_u32 v19, v19, v21, v20
	v_lshl_add_u64 v[20:21], v[0:1], 0, 14
	v_mad_u64_u32 v[150:151], s[26:27], s14, v22, v[38:39]
	v_mul_lo_u32 v22, s15, v20
	v_mul_lo_u32 v23, s14, v21
	v_mad_u64_u32 v[20:21], s[28:29], s14, v20, 0
	v_add3_u32 v21, v21, v23, v22
	v_lshl_add_u64 v[22:23], v[0:1], 0, 13
	v_mad_u64_u32 v[148:149], s[26:27], s14, v24, v[38:39]
	v_add3_u32 v159, v27, v159, v25
	v_mul_lo_u32 v24, s15, v22
	v_mul_lo_u32 v25, s14, v23
	v_mad_u64_u32 v[22:23], s[28:29], s14, v22, 0
	v_add3_u32 v23, v23, v25, v24
	v_lshl_add_u64 v[24:25], v[0:1], 0, 12
	v_mad_u64_u32 v[146:147], s[26:27], s14, v26, v[38:39]
	v_mul_lo_u32 v26, s15, v24
	v_mul_lo_u32 v27, s14, v25
	v_mad_u64_u32 v[24:25], s[28:29], s14, v24, 0
	v_accvgpr_write_b32 a66, v104
	v_add3_u32 v25, v25, v27, v26
	v_lshl_add_u64 v[26:27], v[0:1], 0, 11
	v_accvgpr_write_b32 a67, v105
	v_mad_u64_u32 v[104:105], s[26:27], s14, v60, v[38:39]
	v_mad_u64_u32 v[144:145], s[26:27], s14, v28, v[38:39]
	v_add3_u32 v157, v31, v157, v29
	v_mul_lo_u32 v28, s15, v26
	v_mul_lo_u32 v29, s14, v27
	v_mad_u64_u32 v[26:27], s[28:29], s14, v26, 0
	v_add3_u32 v105, v71, v105, v61
	v_mad_u64_u32 v[60:61], s[26:27], s14, v64, v[38:39]
	v_add3_u32 v27, v27, v29, v28
	v_lshl_add_u64 v[28:29], v[0:1], 0, 10
	v_add3_u32 v61, v72, v61, v65
	v_mad_u64_u32 v[142:143], s[26:27], s14, v30, v[38:39]
	v_mul_lo_u32 v30, s15, v28
	v_mul_lo_u32 v31, s14, v29
	v_mad_u64_u32 v[28:29], s[28:29], s14, v28, 0
	v_accvgpr_write_b32 a73, v61
	v_mad_u64_u32 v[140:141], s[26:27], s14, v32, v[38:39]
	v_add3_u32 v29, v29, v31, v30
	v_lshl_add_u64 v[30:31], v[0:1], 0, 9
	v_accvgpr_write_b32 a72, v60
	v_mad_u64_u32 v[60:61], s[26:27], s14, v66, v[38:39]
	v_add3_u32 v141, v87, v141, v33
	v_mul_lo_u32 v32, s15, v30
	v_mul_lo_u32 v33, s14, v31
	v_mad_u64_u32 v[30:31], s[28:29], s14, v30, 0
	v_add3_u32 v61, v73, v61, v67
	v_mad_u64_u32 v[138:139], s[26:27], s14, v34, v[38:39]
	v_add3_u32 v31, v31, v33, v32
	v_lshl_add_u64 v[32:33], v[0:1], 0, 8
	v_accvgpr_write_b32 a75, v61
	v_add3_u32 v139, v86, v139, v35
	v_mul_lo_u32 v34, s15, v32
	v_mul_lo_u32 v35, s14, v33
	v_mad_u64_u32 v[32:33], s[28:29], s14, v32, 0
	v_accvgpr_write_b32 a74, v60
	v_mad_u64_u32 v[60:61], s[26:27], s14, v68, v[38:39]
	v_mad_u64_u32 v[136:137], s[26:27], s14, v36, v[38:39]
	v_add3_u32 v33, v33, v35, v34
	v_lshl_add_u64 v[34:35], v[0:1], 0, 7
	v_add3_u32 v61, v74, v61, v69
	v_add3_u32 v137, v85, v137, v37
	v_mul_lo_u32 v36, s15, v34
	v_mul_lo_u32 v37, s14, v35
	v_mad_u64_u32 v[34:35], s[28:29], s14, v34, 0
	v_accvgpr_write_b32 a77, v61
	v_add3_u32 v35, v35, v37, v36
	v_lshl_add_u64 v[36:37], v[0:1], 0, 6
	v_accvgpr_write_b32 a76, v60
	v_mad_u64_u32 v[60:61], s[26:27], s14, v62, v[38:39]
	v_mad_u64_u32 v[118:119], s[26:27], s14, v58, v[38:39]
	;; [unrolled: 1-line block ×10, first 2 shown]
	v_mul_lo_u32 v38, s15, v36
	v_mul_lo_u32 v39, s14, v37
	v_mad_u64_u32 v[36:37], s[28:29], s14, v36, 0
	v_add3_u32 v37, v37, v39, v38
	v_lshl_add_u64 v[38:39], v[0:1], 0, 5
	v_add3_u32 v135, v84, v135, v43
	v_mul_lo_u32 v42, s15, v38
	v_mul_lo_u32 v43, s14, v39
	v_mad_u64_u32 v[38:39], s[28:29], s14, v38, 0
	v_add3_u32 v39, v39, v43, v42
	v_lshl_add_u64 v[42:43], v[0:1], 0, 4
	v_add3_u32 v133, v83, v133, v45
	;; [unrolled: 6-line block ×4, first 2 shown]
	v_mul_lo_u32 v1, s15, v46
	v_mul_lo_u32 v47, s14, v47
	v_mad_u64_u32 v[74:75], s[28:29], s14, v46, 0
	v_add3_u32 v75, v75, v47, v1
	v_mov_b64_e32 v[46:47], s[14:15]
	v_add3_u32 v123, v78, v123, v55
	v_add3_u32 v125, v79, v125, v53
	v_mad_u64_u32 v[78:79], s[28:29], s14, v0, v[46:47]
	v_lshlrev_b64 v[0:1], 2, v[6:7]
	v_lshl_add_u64 v[210:211], s[16:17], 0, v[0:1]
	v_lshl_add_u64 v[212:213], s[18:19], 0, v[0:1]
	v_lshlrev_b64 v[0:1], 2, v[8:9]
	v_lshl_add_u64 v[214:215], s[16:17], 0, v[0:1]
	v_lshl_add_u64 v[216:217], s[18:19], 0, v[0:1]
	;; [unrolled: 3-line block ×9, first 2 shown]
	v_lshlrev_b64 v[0:1], 2, v[24:25]
	v_lshlrev_b64 v[4:5], 2, v[4:5]
	v_lshl_add_u64 v[246:247], s[16:17], 0, v[0:1]
	v_lshl_add_u64 v[248:249], s[18:19], 0, v[0:1]
	v_lshlrev_b64 v[0:1], 2, v[26:27]
	v_lshl_add_u64 v[206:207], s[16:17], 0, v[4:5]
	v_lshl_add_u64 v[208:209], s[18:19], 0, v[4:5]
	v_lshl_add_u64 v[250:251], s[16:17], 0, v[0:1]
	v_lshl_add_u64 v[252:253], s[18:19], 0, v[0:1]
	v_lshlrev_b64 v[0:1], 2, v[28:29]
	v_lshlrev_b64 v[4:5], 2, v[30:31]
	s_load_dword s3, s[0:1], 0x44
	v_add3_u32 v129, v81, v129, v49
	v_lshl_add_u64 v[254:255], s[16:17], 0, v[0:1]
	v_lshl_add_u64 v[46:47], s[18:19], 0, v[0:1]
	;; [unrolled: 1-line block ×4, first 2 shown]
	v_lshlrev_b64 v[4:5], 2, v[32:33]
	v_add3_u32 v127, v80, v127, v51
	v_lshl_add_u64 v[50:51], s[16:17], 0, v[4:5]
	v_lshl_add_u64 v[52:53], s[18:19], 0, v[4:5]
	v_lshlrev_b64 v[4:5], 2, v[34:35]
	v_accvgpr_write_b32 a79, v61
	v_add3_u32 v121, v77, v121, v57
	v_lshl_add_u64 v[54:55], s[16:17], 0, v[4:5]
	v_lshl_add_u64 v[56:57], s[18:19], 0, v[4:5]
	v_lshlrev_b64 v[4:5], 2, v[36:37]
	v_accvgpr_write_b32 a78, v60
	v_add3_u32 v119, v76, v119, v59
	v_lshl_add_u64 v[58:59], s[16:17], 0, v[4:5]
	v_lshl_add_u64 v[60:61], s[18:19], 0, v[4:5]
	v_lshlrev_b64 v[4:5], 2, v[38:39]
	s_add_u32 s6, s0, 64
	v_lshl_add_u64 v[62:63], s[16:17], 0, v[4:5]
	v_lshl_add_u64 v[64:65], s[18:19], 0, v[4:5]
	v_lshlrev_b64 v[4:5], 2, v[42:43]
	s_addc_u32 s7, s1, 0
	s_waitcnt lgkmcnt(0)
	s_lshl_b32 s4, s3, 5
	v_add3_u32 v79, v3, v79, v70
	v_lshl_add_u64 v[66:67], s[16:17], 0, v[4:5]
	v_lshl_add_u64 v[68:69], s[18:19], 0, v[4:5]
	v_lshlrev_b64 v[4:5], 2, v[44:45]
	v_mbcnt_lo_u32_b32 v3, -1, 0
	s_mul_i32 s3, s15, s4
	s_mul_hi_u32 s9, s14, s4
	v_lshl_add_u64 v[70:71], s[16:17], 0, v[4:5]
	v_lshl_add_u64 v[72:73], s[18:19], 0, v[4:5]
	v_lshlrev_b64 v[4:5], 2, v[74:75]
	v_mbcnt_hi_u32_b32 v3, -1, v3
	s_add_i32 s25, s9, s3
	s_mul_i32 s24, s14, s4
	v_accvgpr_write_b32 a70, v104
	v_lshl_add_u64 v[74:75], s[16:17], 0, v[4:5]
	v_lshl_add_u64 v[76:77], s[18:19], 0, v[4:5]
	v_lshlrev_b64 v[4:5], 2, v[78:79]
	v_lshlrev_b32_e32 v3, 2, v3
	s_mov_b32 s5, 0
	s_lshl_b64 s[24:25], s[24:25], 2
	v_accvgpr_write_b32 a71, v105
	v_add3_u32 v143, v89, v143, v88
	v_add3_u32 v145, v91, v145, v90
	;; [unrolled: 1-line block ×7, first 2 shown]
	s_mov_b64 s[26:27], 31
	v_lshl_add_u64 v[78:79], s[16:17], 0, v[4:5]
	v_lshl_add_u64 v[80:81], s[18:19], 0, v[4:5]
	v_and_b32_e32 v108, 0x100, v3
	v_mov_b32_e32 v37, v2
	v_mov_b32_e32 v36, v2
	s_mov_b64 s[16:17], s[10:11]
.LBB61_149:                             ; =>This Inner Loop Header: Depth=1
	s_add_u32 s18, s10, s26
	s_addc_u32 s19, 0, s27
	v_mov_b64_e32 v[4:5], s[12:13]
	v_cmp_ge_i64_e32 vcc, s[18:19], v[4:5]
	v_accvgpr_write_b32 a2, v102
	v_accvgpr_write_b32 a3, v103
	v_lshl_add_u64 v[42:43], s[10:11], 0, v[102:103]
	s_mov_b64 s[18:19], -1
                                        ; implicit-def: $vgpr6_vgpr7
                                        ; implicit-def: $vgpr4_vgpr5
	s_cbranch_vccz .LBB61_219
; %bb.150:                              ;   in Loop: Header=BB61_149 Depth=1
	s_load_dword s3, s[6:7], 0xc
	v_accvgpr_read_b32 v3, a0
	v_accvgpr_read_b32 v4, a1
	v_mov_b32_e32 v38, 0
	v_mov_b32_e32 v83, 0
	s_waitcnt lgkmcnt(0)
	s_and_b32 s3, s3, 0xffff
	v_mad_u32_u24 v3, v4, s3, v3
	v_and_b32_e32 v4, 63, v3
	v_cmp_gt_u32_e32 vcc, 32, v4
	v_mov_b32_e32 v82, 0
	s_and_saveexec_b64 s[18:19], vcc
	s_cbranch_execz .LBB61_154
; %bb.151:                              ;   in Loop: Header=BB61_149 Depth=1
	v_mov_b32_e32 v5, v2
	v_lshl_add_u64 v[4:5], v[42:43], 0, v[4:5]
	v_cmp_gt_i64_e32 vcc, s[12:13], v[4:5]
	v_mov_b32_e32 v82, 0
	v_mov_b32_e32 v83, 0
	s_and_saveexec_b64 s[28:29], vcc
	s_cbranch_execz .LBB61_153
; %bb.152:                              ;   in Loop: Header=BB61_149 Depth=1
	v_lshlrev_b64 v[4:5], 2, v[4:5]
	v_lshl_add_u64 v[6:7], s[22:23], 0, v[4:5]
	v_lshl_add_u64 v[4:5], s[20:21], 0, v[4:5]
	global_load_dword v82, v[4:5], off
	global_load_dword v83, v[6:7], off
.LBB61_153:                             ;   in Loop: Header=BB61_149 Depth=1
	s_or_b64 exec, exec, s[28:29]
.LBB61_154:                             ;   in Loop: Header=BB61_149 Depth=1
	s_or_b64 exec, exec, s[18:19]
	v_mov_b32_e32 v4, v2
	v_mov_b32_e32 v5, v2
	v_mov_b32_e32 v6, v2
	v_mov_b32_e32 v7, v2
	v_mov_b32_e32 v8, v2
	v_mov_b32_e32 v9, v2
	v_mov_b32_e32 v10, v2
	v_mov_b32_e32 v11, v2
	v_mov_b32_e32 v12, v2
	v_mov_b32_e32 v13, v2
	v_mov_b32_e32 v14, v2
	v_mov_b32_e32 v15, v2
	v_mov_b32_e32 v16, v2
	v_mov_b32_e32 v17, v2
	v_mov_b32_e32 v18, v2
	v_mov_b32_e32 v19, v2
	v_mov_b32_e32 v20, v2
	v_mov_b32_e32 v21, v2
	v_mov_b32_e32 v22, v2
	v_mov_b32_e32 v23, v2
	v_mov_b32_e32 v24, v2
	v_mov_b32_e32 v25, v2
	v_mov_b32_e32 v26, v2
	v_mov_b32_e32 v27, v2
	v_mov_b32_e32 v28, v2
	v_mov_b32_e32 v29, v2
	v_mov_b32_e32 v30, v2
	v_mov_b32_e32 v31, v2
	v_mov_b32_e32 v32, v2
	v_mov_b32_e32 v33, v2
	v_mov_b32_e32 v3, v2
	v_mov_b64_e32 v[34:35], v[32:33]
	v_cmp_gt_i64_e32 vcc, s[12:13], v[42:43]
	v_mov_b64_e32 v[32:33], v[30:31]
	v_mov_b64_e32 v[30:31], v[28:29]
	;; [unrolled: 1-line block ×15, first 2 shown]
	s_and_saveexec_b64 s[18:19], vcc
	s_cbranch_execz .LBB61_156
; %bb.155:                              ;   in Loop: Header=BB61_149 Depth=1
	v_accvgpr_read_b32 v4, a4
	v_accvgpr_read_b32 v6, a6
	;; [unrolled: 1-line block ×4, first 2 shown]
	v_lshl_add_u64 v[4:5], v[4:5], 0, v[40:41]
	v_lshl_add_u64 v[6:7], v[6:7], 0, v[40:41]
	global_load_dword v4, v[4:5], off
	v_mov_b32_e32 v5, v2
	global_load_dword v38, v[6:7], off
	v_mov_b32_e32 v6, v2
	v_mov_b32_e32 v7, v2
	;; [unrolled: 1-line block ×30, first 2 shown]
.LBB61_156:                             ;   in Loop: Header=BB61_149 Depth=1
	s_or_b64 exec, exec, s[18:19]
	v_lshl_add_u64 v[44:45], v[42:43], 0, 1
	v_cmp_gt_i64_e32 vcc, s[12:13], v[44:45]
	v_mov_b32_e32 v107, 0
	v_mov_b32_e32 v45, 0
	s_and_saveexec_b64 s[18:19], vcc
	s_cbranch_execz .LBB61_158
; %bb.157:                              ;   in Loop: Header=BB61_149 Depth=1
	v_lshl_add_u64 v[44:45], v[78:79], 0, v[40:41]
	global_load_dword v5, v[44:45], off
	v_lshl_add_u64 v[44:45], v[80:81], 0, v[40:41]
	global_load_dword v45, v[44:45], off
.LBB61_158:                             ;   in Loop: Header=BB61_149 Depth=1
	s_or_b64 exec, exec, s[18:19]
	v_lshl_add_u64 v[84:85], v[42:43], 0, 2
	v_cmp_gt_i64_e32 vcc, s[12:13], v[84:85]
	s_and_saveexec_b64 s[18:19], vcc
	s_cbranch_execz .LBB61_160
; %bb.159:                              ;   in Loop: Header=BB61_149 Depth=1
	v_lshl_add_u64 v[84:85], v[74:75], 0, v[40:41]
	global_load_dword v6, v[84:85], off
	v_lshl_add_u64 v[84:85], v[76:77], 0, v[40:41]
	global_load_dword v107, v[84:85], off
.LBB61_160:                             ;   in Loop: Header=BB61_149 Depth=1
	s_or_b64 exec, exec, s[18:19]
	v_lshl_add_u64 v[84:85], v[42:43], 0, 3
	v_cmp_gt_i64_e32 vcc, s[12:13], v[84:85]
	v_mov_b32_e32 v106, 0
	v_mov_b32_e32 v85, 0
	s_and_saveexec_b64 s[18:19], vcc
	s_cbranch_execz .LBB61_162
; %bb.161:                              ;   in Loop: Header=BB61_149 Depth=1
	v_lshl_add_u64 v[84:85], v[70:71], 0, v[40:41]
	global_load_dword v7, v[84:85], off
	v_lshl_add_u64 v[84:85], v[72:73], 0, v[40:41]
	global_load_dword v85, v[84:85], off
.LBB61_162:                             ;   in Loop: Header=BB61_149 Depth=1
	s_or_b64 exec, exec, s[18:19]
	v_lshl_add_u64 v[86:87], v[42:43], 0, 4
	v_cmp_gt_i64_e32 vcc, s[12:13], v[86:87]
	s_and_saveexec_b64 s[18:19], vcc
	s_cbranch_execz .LBB61_164
; %bb.163:                              ;   in Loop: Header=BB61_149 Depth=1
	v_lshl_add_u64 v[86:87], v[66:67], 0, v[40:41]
	global_load_dword v8, v[86:87], off
	v_lshl_add_u64 v[86:87], v[68:69], 0, v[40:41]
	global_load_dword v106, v[86:87], off
.LBB61_164:                             ;   in Loop: Header=BB61_149 Depth=1
	;; [unrolled: 24-line block ×10, first 2 shown]
	s_or_b64 exec, exec, s[18:19]
	v_lshl_add_u64 v[86:87], v[42:43], 0, 21
	v_cmp_gt_i64_e32 vcc, s[12:13], v[86:87]
	v_accvgpr_write_b32 a87, 0
	v_mov_b32_e32 v94, 0
	s_and_saveexec_b64 s[18:19], vcc
	s_cbranch_execz .LBB61_198
; %bb.197:                              ;   in Loop: Header=BB61_149 Depth=1
	v_lshl_add_u64 v[86:87], v[210:211], 0, v[40:41]
	global_load_dword v25, v[86:87], off
	v_lshl_add_u64 v[86:87], v[212:213], 0, v[40:41]
	global_load_dword v94, v[86:87], off
.LBB61_198:                             ;   in Loop: Header=BB61_149 Depth=1
	s_or_b64 exec, exec, s[18:19]
	v_lshl_add_u64 v[86:87], v[42:43], 0, 22
	v_cmp_gt_i64_e32 vcc, s[12:13], v[86:87]
	s_and_saveexec_b64 s[18:19], vcc
	s_cbranch_execz .LBB61_200
; %bb.199:                              ;   in Loop: Header=BB61_149 Depth=1
	v_lshl_add_u64 v[86:87], v[206:207], 0, v[40:41]
	global_load_dword v26, v[86:87], off
	v_lshl_add_u64 v[86:87], v[208:209], 0, v[40:41]
	global_load_dword a87, v[86:87], off
.LBB61_200:                             ;   in Loop: Header=BB61_149 Depth=1
	s_or_b64 exec, exec, s[18:19]
	v_lshl_add_u64 v[86:87], v[42:43], 0, 23
	v_cmp_gt_i64_e32 vcc, s[12:13], v[86:87]
	v_accvgpr_write_b32 a85, 0
	v_mov_b32_e32 v92, 0
	s_and_saveexec_b64 s[18:19], vcc
	s_cbranch_execz .LBB61_202
; %bb.201:                              ;   in Loop: Header=BB61_149 Depth=1
	v_lshl_add_u64 v[86:87], v[202:203], 0, v[40:41]
	global_load_dword v27, v[86:87], off
	v_lshl_add_u64 v[86:87], v[204:205], 0, v[40:41]
	global_load_dword v92, v[86:87], off
.LBB61_202:                             ;   in Loop: Header=BB61_149 Depth=1
	s_or_b64 exec, exec, s[18:19]
	v_lshl_add_u64 v[86:87], v[42:43], 0, 24
	v_cmp_gt_i64_e32 vcc, s[12:13], v[86:87]
	s_and_saveexec_b64 s[18:19], vcc
	s_cbranch_execz .LBB61_204
; %bb.203:                              ;   in Loop: Header=BB61_149 Depth=1
	v_lshl_add_u64 v[86:87], v[198:199], 0, v[40:41]
	global_load_dword v28, v[86:87], off
	v_lshl_add_u64 v[86:87], v[200:201], 0, v[40:41]
	global_load_dword a85, v[86:87], off
.LBB61_204:                             ;   in Loop: Header=BB61_149 Depth=1
	s_or_b64 exec, exec, s[18:19]
	v_lshl_add_u64 v[86:87], v[42:43], 0, 25
	v_cmp_gt_i64_e32 vcc, s[12:13], v[86:87]
	v_accvgpr_write_b32 a83, 0
	v_accvgpr_write_b32 a86, 0
	s_and_saveexec_b64 s[18:19], vcc
	s_cbranch_execz .LBB61_206
; %bb.205:                              ;   in Loop: Header=BB61_149 Depth=1
	v_lshl_add_u64 v[110:111], v[194:195], 0, v[40:41]
	global_load_dword v29, v[110:111], off
	v_lshl_add_u64 v[110:111], v[196:197], 0, v[40:41]
	global_load_dword a86, v[110:111], off
.LBB61_206:                             ;   in Loop: Header=BB61_149 Depth=1
	s_or_b64 exec, exec, s[18:19]
	v_lshl_add_u64 v[110:111], v[42:43], 0, 26
	v_cmp_gt_i64_e32 vcc, s[12:13], v[110:111]
	s_and_saveexec_b64 s[18:19], vcc
	s_cbranch_execz .LBB61_208
; %bb.207:                              ;   in Loop: Header=BB61_149 Depth=1
	v_lshl_add_u64 v[86:87], v[190:191], 0, v[40:41]
	global_load_dword v30, v[86:87], off
	v_lshl_add_u64 v[86:87], v[192:193], 0, v[40:41]
	global_load_dword a83, v[86:87], off
.LBB61_208:                             ;   in Loop: Header=BB61_149 Depth=1
	s_or_b64 exec, exec, s[18:19]
	v_lshl_add_u64 v[110:111], v[42:43], 0, 27
	v_cmp_gt_i64_e32 vcc, s[12:13], v[110:111]
	v_accvgpr_write_b32 a81, 0
	v_accvgpr_write_b32 a84, 0
	s_and_saveexec_b64 s[18:19], vcc
	s_cbranch_execz .LBB61_210
; %bb.209:                              ;   in Loop: Header=BB61_149 Depth=1
	v_lshl_add_u64 v[110:111], v[186:187], 0, v[40:41]
	global_load_dword v31, v[110:111], off
	v_lshl_add_u64 v[110:111], v[188:189], 0, v[40:41]
	global_load_dword a84, v[110:111], off
.LBB61_210:                             ;   in Loop: Header=BB61_149 Depth=1
	s_or_b64 exec, exec, s[18:19]
	v_lshl_add_u64 v[110:111], v[42:43], 0, 28
	v_cmp_gt_i64_e32 vcc, s[12:13], v[110:111]
	s_and_saveexec_b64 s[18:19], vcc
	s_cbranch_execz .LBB61_212
; %bb.211:                              ;   in Loop: Header=BB61_149 Depth=1
	v_lshl_add_u64 v[110:111], v[182:183], 0, v[40:41]
	global_load_dword v32, v[110:111], off
	v_lshl_add_u64 v[110:111], v[184:185], 0, v[40:41]
	global_load_dword a81, v[110:111], off
.LBB61_212:                             ;   in Loop: Header=BB61_149 Depth=1
	s_or_b64 exec, exec, s[18:19]
	v_lshl_add_u64 v[110:111], v[42:43], 0, 29
	v_cmp_gt_i64_e32 vcc, s[12:13], v[110:111]
	v_mov_b32_e32 v116, 0
	v_accvgpr_write_b32 a82, 0
	s_and_saveexec_b64 s[18:19], vcc
	s_cbranch_execz .LBB61_214
; %bb.213:                              ;   in Loop: Header=BB61_149 Depth=1
	v_lshl_add_u64 v[110:111], v[178:179], 0, v[40:41]
	global_load_dword v33, v[110:111], off
	v_lshl_add_u64 v[110:111], v[180:181], 0, v[40:41]
	global_load_dword a82, v[110:111], off
.LBB61_214:                             ;   in Loop: Header=BB61_149 Depth=1
	s_or_b64 exec, exec, s[18:19]
	v_lshl_add_u64 v[110:111], v[42:43], 0, 30
	v_cmp_gt_i64_e32 vcc, s[12:13], v[110:111]
	s_and_saveexec_b64 s[18:19], vcc
	s_cbranch_execz .LBB61_216
; %bb.215:                              ;   in Loop: Header=BB61_149 Depth=1
	v_lshl_add_u64 v[110:111], v[174:175], 0, v[40:41]
	global_load_dword v34, v[110:111], off
	v_lshl_add_u64 v[110:111], v[176:177], 0, v[40:41]
	global_load_dword v116, v[110:111], off
.LBB61_216:                             ;   in Loop: Header=BB61_149 Depth=1
	s_or_b64 exec, exec, s[18:19]
	v_lshl_add_u64 v[110:111], v[42:43], 0, 31
	v_cmp_gt_i64_e32 vcc, s[12:13], v[110:111]
	v_mov_b32_e32 v117, 0
	s_and_saveexec_b64 s[18:19], vcc
	s_cbranch_execz .LBB61_218
; %bb.217:                              ;   in Loop: Header=BB61_149 Depth=1
	v_lshl_add_u64 v[110:111], v[170:171], 0, v[40:41]
	global_load_dword v35, v[110:111], off
	v_lshl_add_u64 v[110:111], v[172:173], 0, v[40:41]
	global_load_dword v117, v[110:111], off
.LBB61_218:                             ;   in Loop: Header=BB61_149 Depth=1
	s_or_b64 exec, exec, s[18:19]
	s_waitcnt vmcnt(1)
	ds_bpermute_b32 v86, v108, v82
	s_waitcnt vmcnt(0)
	ds_bpermute_b32 v39, v108, v83
	v_mov_b32_e32 v88, v11
	v_mov_b32_e32 v112, v13
	;; [unrolled: 1-line block ×3, first 2 shown]
	s_waitcnt lgkmcnt(1)
	v_sub_f32_e32 v38, v38, v86
	ds_bpermute_b32 v86, v108, v82 offset:4
	v_mul_f32_e32 v38, v4, v38
	s_waitcnt lgkmcnt(1)
	v_mul_f32_e32 v39, v38, v39
	ds_bpermute_b32 v38, v108, v83 offset:4
	v_mov_b32_e32 v90, v12
	s_waitcnt lgkmcnt(1)
	v_sub_f32_e32 v45, v45, v86
	ds_bpermute_b32 v86, v108, v82 offset:8
	v_mul_f32_e32 v45, v5, v45
	s_waitcnt lgkmcnt(1)
	v_mul_f32_e32 v45, v45, v38
	ds_bpermute_b32 v38, v108, v83 offset:8
	v_mov_b32_e32 v114, v14
	s_waitcnt lgkmcnt(1)
	v_sub_f32_e32 v86, v107, v86
	v_mul_f32_e32 v86, v6, v86
	s_mov_b64 s[18:19], 0
	s_waitcnt lgkmcnt(0)
	v_mul_f32_e32 v107, v86, v38
	ds_bpermute_b32 v86, v108, v82 offset:12
	ds_bpermute_b32 v38, v108, v83 offset:12
	s_waitcnt lgkmcnt(1)
	v_sub_f32_e32 v85, v85, v86
	ds_bpermute_b32 v86, v108, v82 offset:16
	v_mul_f32_e32 v85, v7, v85
	s_waitcnt lgkmcnt(1)
	v_mul_f32_e32 v85, v85, v38
	ds_bpermute_b32 v38, v108, v83 offset:16
	s_waitcnt lgkmcnt(1)
	v_sub_f32_e32 v86, v106, v86
	v_mul_f32_e32 v86, v8, v86
	v_mov_b32_e32 v106, v6
	s_waitcnt lgkmcnt(0)
	v_mul_f32_e32 v111, v86, v38
	ds_bpermute_b32 v86, v108, v82 offset:20
	ds_bpermute_b32 v38, v108, v83 offset:20
	;; [unrolled: 1-line block ×3, first 2 shown]
	v_mov_b32_e32 v8, v16
	s_waitcnt lgkmcnt(2)
	v_sub_f32_e32 v84, v84, v86
	v_mul_f32_e32 v84, v9, v84
	s_waitcnt lgkmcnt(1)
	v_mul_f32_e32 v87, v84, v38
	ds_bpermute_b32 v84, v108, v82 offset:24
	ds_bpermute_b32 v38, v108, v83 offset:24
	s_waitcnt lgkmcnt(2)
	v_sub_f32_e32 v6, v103, v6
	v_mul_f32_e32 v6, v15, v6
	v_mov_b32_e32 v86, v9
	s_waitcnt lgkmcnt(1)
	v_sub_f32_e32 v84, v105, v84
	v_mul_f32_e32 v84, v10, v84
	s_waitcnt lgkmcnt(0)
	v_mul_f32_e32 v105, v84, v38
	ds_bpermute_b32 v84, v108, v82 offset:28
	ds_bpermute_b32 v38, v108, v83 offset:28
	s_waitcnt lgkmcnt(1)
	v_sub_f32_e32 v3, v3, v84
	v_mul_f32_e32 v3, v11, v3
	s_waitcnt lgkmcnt(0)
	v_mul_f32_e32 v89, v3, v38
	ds_bpermute_b32 v38, v108, v82 offset:32
	ds_bpermute_b32 v3, v108, v83 offset:32
	v_mov_b32_e32 v84, v7
	s_waitcnt lgkmcnt(1)
	v_sub_f32_e32 v38, v104, v38
	v_mul_f32_e32 v38, v12, v38
	s_waitcnt lgkmcnt(0)
	v_mul_f32_e32 v91, v38, v3
	ds_bpermute_b32 v38, v108, v82 offset:36
	ds_bpermute_b32 v3, v108, v83 offset:36
	v_mov_b32_e32 v104, v10
	v_mov_b32_e32 v10, v17
	;; [unrolled: 1-line block ×3, first 2 shown]
	s_waitcnt lgkmcnt(1)
	v_sub_f32_e32 v38, v109, v38
	v_mul_f32_e32 v38, v13, v38
	s_waitcnt lgkmcnt(0)
	v_mul_f32_e32 v113, v38, v3
	ds_bpermute_b32 v38, v108, v82 offset:40
	ds_bpermute_b32 v3, v108, v83 offset:40
	s_waitcnt lgkmcnt(1)
	v_sub_f32_e32 v38, v44, v38
	v_mul_f32_e32 v38, v14, v38
	s_waitcnt lgkmcnt(0)
	v_mul_f32_e32 v115, v38, v3
	ds_bpermute_b32 v3, v108, v83 offset:44
	v_mov_b32_e32 v38, v4
	v_pk_add_f32 v[38:39], v[36:37], v[38:39]
	v_mov_b32_e32 v44, v5
	v_pk_add_f32 v[4:5], v[44:45], v[38:39]
	s_waitcnt lgkmcnt(0)
	v_mul_f32_e32 v7, v6, v3
	ds_bpermute_b32 v6, v108, v82 offset:48
	ds_bpermute_b32 v3, v108, v83 offset:48
	v_pk_add_f32 v[4:5], v[106:107], v[4:5]
	v_mov_b32_e32 v38, v19
	v_pk_add_f32 v[4:5], v[84:85], v[4:5]
	s_waitcnt lgkmcnt(1)
	v_sub_f32_e32 v6, v101, v6
	v_mul_f32_e32 v6, v16, v6
	s_waitcnt lgkmcnt(0)
	v_mul_f32_e32 v9, v6, v3
	ds_bpermute_b32 v6, v108, v82 offset:52
	ds_bpermute_b32 v3, v108, v83 offset:52
	v_pk_add_f32 v[4:5], v[110:111], v[4:5]
	v_mov_b32_e32 v44, v20
	v_pk_add_f32 v[4:5], v[86:87], v[4:5]
	s_waitcnt lgkmcnt(1)
	v_sub_f32_e32 v6, v102, v6
	v_mul_f32_e32 v6, v17, v6
	;; [unrolled: 10-line block ×4, first 2 shown]
	s_waitcnt lgkmcnt(0)
	v_mul_f32_e32 v39, v6, v3
	ds_bpermute_b32 v6, v108, v82 offset:64
	ds_bpermute_b32 v3, v108, v83 offset:64
	v_pk_add_f32 v[4:5], v[114:115], v[4:5]
	v_mov_b32_e32 v88, v23
	v_mov_b32_e32 v90, v24
	s_waitcnt lgkmcnt(1)
	v_sub_f32_e32 v6, v97, v6
	v_mul_f32_e32 v6, v20, v6
	s_waitcnt lgkmcnt(0)
	v_mul_f32_e32 v45, v6, v3
	ds_bpermute_b32 v6, v108, v82 offset:68
	ds_bpermute_b32 v3, v108, v83 offset:68
	v_mov_b32_e32 v14, v30
	v_mov_b32_e32 v16, v31
	;; [unrolled: 1-line block ×3, first 2 shown]
	s_waitcnt lgkmcnt(1)
	v_sub_f32_e32 v6, v98, v6
	v_mul_f32_e32 v6, v21, v6
	s_waitcnt lgkmcnt(0)
	v_mul_f32_e32 v85, v6, v3
	ds_bpermute_b32 v6, v108, v82 offset:72
	ds_bpermute_b32 v3, v108, v83 offset:72
	v_mov_b32_e32 v20, v33
	s_waitcnt lgkmcnt(1)
	v_sub_f32_e32 v6, v95, v6
	v_mul_f32_e32 v6, v22, v6
	s_waitcnt lgkmcnt(0)
	v_mul_f32_e32 v87, v6, v3
	ds_bpermute_b32 v6, v108, v82 offset:76
	ds_bpermute_b32 v3, v108, v83 offset:76
	s_waitcnt lgkmcnt(1)
	v_sub_f32_e32 v6, v96, v6
	v_mul_f32_e32 v6, v23, v6
	s_waitcnt lgkmcnt(0)
	v_mul_f32_e32 v89, v6, v3
	ds_bpermute_b32 v6, v108, v82 offset:80
	ds_bpermute_b32 v3, v108, v83 offset:80
	;; [unrolled: 7-line block ×3, first 2 shown]
	s_waitcnt lgkmcnt(1)
	v_sub_f32_e32 v6, v94, v6
	v_mul_f32_e32 v6, v25, v6
	s_waitcnt lgkmcnt(0)
	v_mul_f32_e32 v95, v6, v3
	v_mov_b32_e32 v6, v15
	v_pk_add_f32 v[4:5], v[6:7], v[4:5]
	ds_bpermute_b32 v6, v108, v82 offset:88
	ds_bpermute_b32 v3, v108, v83 offset:88
	v_accvgpr_read_b32 v7, a87
	v_pk_add_f32 v[4:5], v[8:9], v[4:5]
	v_accvgpr_read_b32 v8, a85
	s_waitcnt lgkmcnt(1)
	v_sub_f32_e32 v6, v7, v6
	v_mul_f32_e32 v6, v26, v6
	s_waitcnt lgkmcnt(0)
	v_mul_f32_e32 v7, v6, v3
	ds_bpermute_b32 v6, v108, v82 offset:92
	ds_bpermute_b32 v3, v108, v83 offset:92
	v_pk_add_f32 v[4:5], v[10:11], v[4:5]
	v_mov_b32_e32 v94, v25
	v_pk_add_f32 v[4:5], v[12:13], v[4:5]
	s_waitcnt lgkmcnt(1)
	v_sub_f32_e32 v6, v92, v6
	v_mul_f32_e32 v6, v27, v6
	s_waitcnt lgkmcnt(0)
	v_mul_f32_e32 v9, v6, v3
	ds_bpermute_b32 v6, v108, v82 offset:96
	ds_bpermute_b32 v3, v108, v83 offset:96
	v_pk_add_f32 v[4:5], v[38:39], v[4:5]
	v_mov_b32_e32 v10, v28
	v_pk_add_f32 v[4:5], v[44:45], v[4:5]
	s_waitcnt lgkmcnt(1)
	v_sub_f32_e32 v6, v8, v6
	v_mul_f32_e32 v6, v28, v6
	s_waitcnt lgkmcnt(0)
	v_mul_f32_e32 v11, v6, v3
	ds_bpermute_b32 v6, v108, v82 offset:100
	ds_bpermute_b32 v3, v108, v83 offset:100
	v_accvgpr_read_b32 v8, a86
	v_pk_add_f32 v[4:5], v[84:85], v[4:5]
	v_mov_b32_e32 v12, v29
	s_waitcnt lgkmcnt(1)
	v_sub_f32_e32 v6, v8, v6
	v_mul_f32_e32 v6, v29, v6
	s_waitcnt lgkmcnt(0)
	v_mul_f32_e32 v13, v6, v3
	ds_bpermute_b32 v6, v108, v82 offset:104
	ds_bpermute_b32 v3, v108, v83 offset:104
	v_accvgpr_read_b32 v8, a83
	v_pk_add_f32 v[4:5], v[86:87], v[4:5]
	s_waitcnt lgkmcnt(1)
	v_sub_f32_e32 v6, v8, v6
	v_mul_f32_e32 v6, v30, v6
	s_waitcnt lgkmcnt(0)
	v_mul_f32_e32 v15, v6, v3
	ds_bpermute_b32 v6, v108, v82 offset:108
	ds_bpermute_b32 v3, v108, v83 offset:108
	v_accvgpr_read_b32 v8, a84
	v_pk_add_f32 v[4:5], v[88:89], v[4:5]
	;; [unrolled: 9-line block ×4, first 2 shown]
	s_waitcnt lgkmcnt(1)
	v_sub_f32_e32 v6, v8, v6
	v_mul_f32_e32 v6, v33, v6
	s_waitcnt lgkmcnt(0)
	v_mul_f32_e32 v21, v6, v3
	v_mov_b32_e32 v6, v26
	v_pk_add_f32 v[4:5], v[6:7], v[4:5]
	v_mov_b32_e32 v8, v27
	ds_bpermute_b32 v6, v108, v82 offset:120
	v_pk_add_f32 v[4:5], v[8:9], v[4:5]
	ds_bpermute_b32 v3, v108, v83 offset:120
	v_pk_add_f32 v[4:5], v[10:11], v[4:5]
	s_waitcnt lgkmcnt(1)
	v_sub_f32_e32 v6, v116, v6
	v_pk_add_f32 v[4:5], v[12:13], v[4:5]
	v_mul_f32_e32 v6, v34, v6
	v_pk_add_f32 v[4:5], v[14:15], v[4:5]
	s_waitcnt lgkmcnt(0)
	v_mul_f32_e32 v7, v6, v3
	v_pk_add_f32 v[4:5], v[16:17], v[4:5]
	v_mov_b32_e32 v6, v34
	v_pk_add_f32 v[4:5], v[18:19], v[4:5]
	ds_bpermute_b32 v3, v108, v83 offset:124
	v_pk_add_f32 v[4:5], v[20:21], v[4:5]
	s_nop 0
	v_pk_add_f32 v[6:7], v[6:7], v[4:5]
	ds_bpermute_b32 v4, v108, v82 offset:124
	s_waitcnt lgkmcnt(0)
	v_sub_f32_e32 v4, v117, v4
	v_mul_f32_e32 v4, v35, v4
	v_mul_f32_e32 v5, v4, v3
	v_mov_b32_e32 v4, v35
.LBB61_219:                             ;   in Loop: Header=BB61_149 Depth=1
	s_and_b64 vcc, exec, s[18:19]
	s_cbranch_vccz .LBB61_225
; %bb.220:                              ;   in Loop: Header=BB61_149 Depth=1
	s_load_dword s3, s[6:7], 0x0
	v_accvgpr_read_b32 v4, a0
	v_accvgpr_read_b32 v5, a1
	v_mov_b32_e32 v109, 0
	s_waitcnt lgkmcnt(0)
	s_cmp_lt_u32 s2, s3
	s_cselect_b32 s3, 12, 18
	s_add_u32 s18, s6, s3
	s_addc_u32 s19, s7, 0
	global_load_ushort v3, v2, s[18:19]
	s_waitcnt vmcnt(0)
	v_mad_u32_u24 v3, v5, v3, v4
	v_and_b32_e32 v4, 63, v3
	v_cmp_gt_u32_e32 vcc, 32, v4
	v_mov_b32_e32 v3, 0
	s_and_saveexec_b64 s[18:19], vcc
	s_cbranch_execz .LBB61_224
; %bb.221:                              ;   in Loop: Header=BB61_149 Depth=1
	v_mov_b32_e32 v5, v2
	v_lshl_add_u64 v[4:5], v[42:43], 0, v[4:5]
	v_cmp_gt_i64_e32 vcc, s[12:13], v[4:5]
	v_mov_b32_e32 v3, 0
	v_mov_b32_e32 v109, 0
	s_and_saveexec_b64 s[28:29], vcc
	s_cbranch_execz .LBB61_223
; %bb.222:                              ;   in Loop: Header=BB61_149 Depth=1
	v_lshlrev_b64 v[4:5], 2, v[4:5]
	v_lshl_add_u64 v[6:7], s[22:23], 0, v[4:5]
	v_lshl_add_u64 v[4:5], s[20:21], 0, v[4:5]
	global_load_dword v3, v[4:5], off
	global_load_dword v109, v[6:7], off
.LBB61_223:                             ;   in Loop: Header=BB61_149 Depth=1
	s_or_b64 exec, exec, s[28:29]
.LBB61_224:                             ;   in Loop: Header=BB61_149 Depth=1
	s_or_b64 exec, exec, s[18:19]
	v_accvgpr_read_b32 v4, a4
	v_accvgpr_read_b32 v5, a5
	v_lshl_add_u64 v[4:5], v[4:5], 0, v[40:41]
	global_load_dword v88, v[4:5], off
	v_accvgpr_read_b32 v4, a6
	v_accvgpr_read_b32 v5, a7
	v_lshl_add_u64 v[4:5], v[4:5], 0, v[40:41]
	global_load_dword v25, v[4:5], off
	;; [unrolled: 4-line block ×13, first 2 shown]
	v_lshl_add_u64 v[4:5], v[118:119], 0, v[40:41]
	global_load_dword v101, v[4:5], off
	v_accvgpr_read_b32 v4, a20
	v_accvgpr_read_b32 v5, a21
	v_lshl_add_u64 v[4:5], v[4:5], 0, v[40:41]
	global_load_dword v102, v[4:5], off
	v_lshl_add_u64 v[4:5], v[120:121], 0, v[40:41]
	global_load_dword v103, v[4:5], off
	v_accvgpr_read_b32 v4, a22
	v_accvgpr_read_b32 v5, a23
	v_lshl_add_u64 v[4:5], v[4:5], 0, v[40:41]
	global_load_dword v104, v[4:5], off
	;; [unrolled: 6-line block ×8, first 2 shown]
	v_lshl_add_u64 v[4:5], v[134:135], 0, v[40:41]
	global_load_dword v116, v[4:5], off
	v_accvgpr_read_b32 v4, a36
	s_waitcnt vmcnt(31)
	ds_bpermute_b32 v91, v108, v3
	v_accvgpr_read_b32 v5, a37
	v_lshl_add_u64 v[4:5], v[4:5], 0, v[40:41]
	s_waitcnt vmcnt(30)
	ds_bpermute_b32 v89, v108, v109
	global_load_dword v32, v[4:5], off
	v_lshl_add_u64 v[4:5], v[136:137], 0, v[40:41]
	global_load_dword v33, v[4:5], off
	v_accvgpr_read_b32 v4, a38
	v_accvgpr_read_b32 v5, a39
	s_waitcnt vmcnt(30) lgkmcnt(1)
	v_sub_f32_e32 v25, v25, v91
	ds_bpermute_b32 v91, v108, v3 offset:4
	v_lshl_add_u64 v[4:5], v[4:5], 0, v[40:41]
	v_mul_f32_e32 v25, v88, v25
	global_load_dword v34, v[4:5], off
	v_lshl_add_u64 v[4:5], v[138:139], 0, v[40:41]
	s_waitcnt lgkmcnt(1)
	v_mul_f32_e32 v89, v25, v89
	ds_bpermute_b32 v25, v108, v109 offset:4
	global_load_dword v35, v[4:5], off
	v_accvgpr_read_b32 v4, a40
	v_accvgpr_read_b32 v5, a41
	v_lshl_add_u64 v[4:5], v[4:5], 0, v[40:41]
	s_waitcnt vmcnt(30) lgkmcnt(1)
	v_sub_f32_e32 v27, v27, v91
	global_load_dword v42, v[4:5], off
	v_lshl_add_u64 v[4:5], v[140:141], 0, v[40:41]
	v_mul_f32_e32 v27, v90, v27
	global_load_dword v43, v[4:5], off
	v_accvgpr_read_b32 v4, a42
	s_waitcnt lgkmcnt(0)
	v_mul_f32_e32 v91, v27, v25
	ds_bpermute_b32 v27, v108, v3 offset:8
	v_accvgpr_read_b32 v5, a43
	v_lshl_add_u64 v[4:5], v[4:5], 0, v[40:41]
	ds_bpermute_b32 v25, v108, v109 offset:8
	global_load_dword v82, v[4:5], off
	v_lshl_add_u64 v[4:5], v[142:143], 0, v[40:41]
	global_load_dword v83, v[4:5], off
	v_accvgpr_read_b32 v4, a44
	v_accvgpr_read_b32 v5, a45
	s_waitcnt vmcnt(32) lgkmcnt(1)
	v_sub_f32_e32 v27, v29, v27
	v_lshl_add_u64 v[4:5], v[4:5], 0, v[40:41]
	v_mul_f32_e32 v27, v92, v27
	global_load_dword v44, v[4:5], off
	v_lshl_add_u64 v[4:5], v[144:145], 0, v[40:41]
	s_waitcnt lgkmcnt(0)
	v_mul_f32_e32 v93, v27, v25
	ds_bpermute_b32 v27, v108, v3 offset:12
	global_load_dword v45, v[4:5], off
	v_accvgpr_read_b32 v4, a46
	v_accvgpr_read_b32 v5, a47
	ds_bpermute_b32 v25, v108, v109 offset:12
	v_lshl_add_u64 v[4:5], v[4:5], 0, v[40:41]
	global_load_dword v84, v[4:5], off
	v_lshl_add_u64 v[4:5], v[146:147], 0, v[40:41]
	global_load_dword v85, v[4:5], off
	v_accvgpr_read_b32 v4, a48
	s_waitcnt vmcnt(34) lgkmcnt(1)
	v_sub_f32_e32 v27, v31, v27
	v_accvgpr_read_b32 v5, a49
	v_mul_f32_e32 v27, v94, v27
	v_lshl_add_u64 v[4:5], v[4:5], 0, v[40:41]
	s_waitcnt lgkmcnt(0)
	v_mul_f32_e32 v95, v27, v25
	ds_bpermute_b32 v27, v108, v3 offset:16
	global_load_dword v86, v[4:5], off
	v_lshl_add_u64 v[4:5], v[148:149], 0, v[40:41]
	global_load_dword v87, v[4:5], off
	v_accvgpr_read_b32 v4, a50
	ds_bpermute_b32 v25, v108, v109 offset:16
	v_accvgpr_read_b32 v5, a51
	v_lshl_add_u64 v[4:5], v[4:5], 0, v[40:41]
	global_load_dword v8, v[4:5], off
	v_lshl_add_u64 v[4:5], v[150:151], 0, v[40:41]
	s_waitcnt vmcnt(35) lgkmcnt(1)
	v_sub_f32_e32 v27, v39, v27
	global_load_dword v9, v[4:5], off
	v_mul_f32_e32 v27, v96, v27
	v_accvgpr_read_b32 v4, a52
	s_waitcnt lgkmcnt(0)
	v_mul_f32_e32 v97, v27, v25
	ds_bpermute_b32 v27, v108, v3 offset:20
	v_accvgpr_read_b32 v5, a53
	v_lshl_add_u64 v[4:5], v[4:5], 0, v[40:41]
	ds_bpermute_b32 v25, v108, v109 offset:20
	global_load_dword v10, v[4:5], off
	v_lshl_add_u64 v[4:5], v[152:153], 0, v[40:41]
	global_load_dword v11, v[4:5], off
	v_accvgpr_read_b32 v4, a54
	s_waitcnt vmcnt(36) lgkmcnt(1)
	v_sub_f32_e32 v27, v99, v27
	v_accvgpr_read_b32 v5, a55
	v_mul_f32_e32 v27, v98, v27
	v_lshl_add_u64 v[4:5], v[4:5], 0, v[40:41]
	s_waitcnt lgkmcnt(0)
	v_mul_f32_e32 v99, v27, v25
	ds_bpermute_b32 v27, v108, v3 offset:24
	global_load_dword v12, v[4:5], off
	v_lshl_add_u64 v[4:5], v[154:155], 0, v[40:41]
	global_load_dword v13, v[4:5], off
	ds_bpermute_b32 v25, v108, v109 offset:24
	v_accvgpr_read_b32 v4, a56
	v_accvgpr_read_b32 v5, a57
	v_lshl_add_u64 v[4:5], v[4:5], 0, v[40:41]
	s_waitcnt vmcnt(36) lgkmcnt(1)
	v_sub_f32_e32 v27, v101, v27
	global_load_dword v14, v[4:5], off
	v_lshl_add_u64 v[4:5], v[156:157], 0, v[40:41]
	v_mul_f32_e32 v27, v100, v27
	global_load_dword v15, v[4:5], off
	s_waitcnt lgkmcnt(0)
	v_mul_f32_e32 v101, v27, v25
	ds_bpermute_b32 v27, v108, v3 offset:28
	v_accvgpr_read_b32 v4, a58
	v_accvgpr_read_b32 v5, a59
	ds_bpermute_b32 v25, v108, v109 offset:28
	v_lshl_add_u64 v[4:5], v[4:5], 0, v[40:41]
	global_load_dword v16, v[4:5], off
	v_lshl_add_u64 v[4:5], v[158:159], 0, v[40:41]
	global_load_dword v17, v[4:5], off
	v_accvgpr_read_b32 v4, a60
	s_waitcnt vmcnt(38) lgkmcnt(1)
	v_sub_f32_e32 v27, v103, v27
	v_accvgpr_read_b32 v5, a61
	v_mul_f32_e32 v27, v102, v27
	v_lshl_add_u64 v[4:5], v[4:5], 0, v[40:41]
	s_waitcnt lgkmcnt(0)
	v_mul_f32_e32 v103, v27, v25
	ds_bpermute_b32 v27, v108, v3 offset:32
	global_load_dword v18, v[4:5], off
	v_lshl_add_u64 v[4:5], v[160:161], 0, v[40:41]
	global_load_dword v19, v[4:5], off
	v_accvgpr_read_b32 v4, a62
	ds_bpermute_b32 v25, v108, v109 offset:32
	v_accvgpr_read_b32 v5, a63
	v_lshl_add_u64 v[4:5], v[4:5], 0, v[40:41]
	global_load_dword v20, v[4:5], off
	v_lshl_add_u64 v[4:5], v[162:163], 0, v[40:41]
	s_waitcnt vmcnt(39) lgkmcnt(1)
	v_sub_f32_e32 v27, v105, v27
	global_load_dword v21, v[4:5], off
	v_accvgpr_read_b32 v4, a64
	v_mul_f32_e32 v27, v104, v27
	v_accvgpr_read_b32 v5, a65
	s_waitcnt lgkmcnt(0)
	v_mul_f32_e32 v105, v27, v25
	ds_bpermute_b32 v27, v108, v3 offset:36
	v_lshl_add_u64 v[4:5], v[4:5], 0, v[40:41]
	global_load_dword v22, v[4:5], off
	v_lshl_add_u64 v[4:5], v[164:165], 0, v[40:41]
	ds_bpermute_b32 v25, v108, v109 offset:36
	global_load_dword v23, v[4:5], off
	v_accvgpr_read_b32 v4, a66
	v_accvgpr_read_b32 v5, a67
	v_lshl_add_u64 v[4:5], v[4:5], 0, v[40:41]
	s_waitcnt vmcnt(40) lgkmcnt(1)
	v_sub_f32_e32 v27, v107, v27
	global_load_dword v6, v[4:5], off
	v_lshl_add_u64 v[4:5], v[166:167], 0, v[40:41]
	v_mul_f32_e32 v27, v106, v27
	global_load_dword v7, v[4:5], off
	s_waitcnt lgkmcnt(0)
	v_mul_f32_e32 v107, v27, v25
	ds_bpermute_b32 v27, v108, v3 offset:40
	ds_bpermute_b32 v25, v108, v109 offset:40
	v_accvgpr_read_b32 v4, a68
	v_accvgpr_read_b32 v5, a69
	v_lshl_add_u64 v[4:5], v[4:5], 0, v[40:41]
	v_lshl_add_u64 v[110:111], v[168:169], 0, v[40:41]
	s_waitcnt vmcnt(40) lgkmcnt(1)
	v_sub_f32_e32 v27, v112, v27
	global_load_dword v4, v[4:5], off
	v_mul_f32_e32 v27, v38, v27
	global_load_dword v5, v[110:111], off
	s_waitcnt lgkmcnt(0)
	v_mul_f32_e32 v39, v27, v25
	ds_bpermute_b32 v27, v108, v3 offset:44
	ds_bpermute_b32 v25, v108, v109 offset:44
	v_pk_add_f32 v[36:37], v[36:37], v[88:89]
	ds_bpermute_b32 v29, v108, v3 offset:48
	v_pk_add_f32 v[36:37], v[36:37], v[90:91]
	s_waitcnt vmcnt(40) lgkmcnt(2)
	v_sub_f32_e32 v27, v113, v27
	v_mul_f32_e32 v27, v24, v27
	v_pk_add_f32 v[36:37], v[36:37], v[92:93]
	s_waitcnt lgkmcnt(1)
	v_mul_f32_e32 v25, v27, v25
	ds_bpermute_b32 v27, v108, v109 offset:48
	v_pk_add_f32 v[36:37], v[36:37], v[94:95]
	s_waitcnt vmcnt(38) lgkmcnt(1)
	v_sub_f32_e32 v29, v114, v29
	v_pk_add_f32 v[36:37], v[36:37], v[96:97]
	ds_bpermute_b32 v31, v108, v3 offset:52
	v_pk_add_f32 v[36:37], v[36:37], v[98:99]
	v_mul_f32_e32 v29, v26, v29
	v_pk_add_f32 v[36:37], v[36:37], v[100:101]
	s_waitcnt lgkmcnt(1)
	v_mul_f32_e32 v27, v29, v27
	v_pk_add_f32 v[36:37], v[36:37], v[102:103]
	ds_bpermute_b32 v29, v108, v109 offset:52
	v_pk_add_f32 v[36:37], v[36:37], v[104:105]
	s_waitcnt vmcnt(36) lgkmcnt(1)
	v_sub_f32_e32 v31, v115, v31
	v_pk_add_f32 v[36:37], v[36:37], v[106:107]
	v_mul_f32_e32 v31, v28, v31
	v_pk_add_f32 v[36:37], v[36:37], v[38:39]
	ds_bpermute_b32 v38, v108, v3 offset:56
	s_waitcnt lgkmcnt(1)
	v_mul_f32_e32 v29, v31, v29
	ds_bpermute_b32 v31, v108, v109 offset:56
	ds_bpermute_b32 v39, v108, v3 offset:60
	v_pk_add_f32 v[24:25], v[36:37], v[24:25]
	s_waitcnt vmcnt(34) lgkmcnt(2)
	v_sub_f32_e32 v38, v116, v38
	v_mul_f32_e32 v38, v30, v38
	s_waitcnt lgkmcnt(1)
	v_mul_f32_e32 v31, v38, v31
	ds_bpermute_b32 v38, v108, v109 offset:60
	s_waitcnt vmcnt(32) lgkmcnt(1)
	v_sub_f32_e32 v33, v33, v39
	ds_bpermute_b32 v39, v108, v3 offset:64
	v_mul_f32_e32 v33, v32, v33
	v_pk_add_f32 v[24:25], v[24:25], v[26:27]
	s_waitcnt lgkmcnt(1)
	v_mul_f32_e32 v33, v33, v38
	ds_bpermute_b32 v38, v108, v109 offset:64
	s_waitcnt vmcnt(30) lgkmcnt(1)
	v_sub_f32_e32 v35, v35, v39
	ds_bpermute_b32 v39, v108, v3 offset:68
	v_mul_f32_e32 v35, v34, v35
	ds_bpermute_b32 v27, v108, v3 offset:88
	s_waitcnt lgkmcnt(2)
	v_mul_f32_e32 v35, v35, v38
	ds_bpermute_b32 v38, v108, v109 offset:68
	ds_bpermute_b32 v26, v108, v109 offset:88
	s_waitcnt vmcnt(28) lgkmcnt(3)
	v_sub_f32_e32 v39, v43, v39
	v_mul_f32_e32 v39, v42, v39
	s_waitcnt vmcnt(18) lgkmcnt(2)
	v_sub_f32_e32 v9, v9, v27
	s_waitcnt lgkmcnt(1)
	v_mul_f32_e32 v43, v39, v38
	ds_bpermute_b32 v39, v108, v3 offset:72
	ds_bpermute_b32 v27, v108, v3 offset:92
	v_mul_f32_e32 v9, v8, v9
	ds_bpermute_b32 v38, v108, v109 offset:72
	s_waitcnt lgkmcnt(3)
	v_mul_f32_e32 v9, v9, v26
	ds_bpermute_b32 v26, v108, v109 offset:92
	s_waitcnt lgkmcnt(3)
	v_sub_f32_e32 v39, v83, v39
	s_waitcnt vmcnt(16) lgkmcnt(2)
	v_sub_f32_e32 v11, v11, v27
	ds_bpermute_b32 v27, v108, v3 offset:96
	v_mul_f32_e32 v39, v82, v39
	v_mul_f32_e32 v11, v10, v11
	s_waitcnt lgkmcnt(2)
	v_mul_f32_e32 v83, v39, v38
	ds_bpermute_b32 v39, v108, v3 offset:76
	s_waitcnt lgkmcnt(2)
	v_mul_f32_e32 v11, v11, v26
	ds_bpermute_b32 v26, v108, v109 offset:96
	ds_bpermute_b32 v38, v108, v109 offset:76
	s_waitcnt vmcnt(14) lgkmcnt(3)
	v_sub_f32_e32 v13, v13, v27
	ds_bpermute_b32 v27, v108, v3 offset:100
	v_mul_f32_e32 v13, v12, v13
	s_waitcnt lgkmcnt(3)
	v_sub_f32_e32 v39, v45, v39
	s_waitcnt lgkmcnt(2)
	v_mul_f32_e32 v13, v13, v26
	ds_bpermute_b32 v26, v108, v109 offset:100
	v_mul_f32_e32 v39, v44, v39
	s_waitcnt lgkmcnt(2)
	v_mul_f32_e32 v45, v39, v38
	ds_bpermute_b32 v39, v108, v3 offset:80
	s_waitcnt vmcnt(12) lgkmcnt(2)
	v_sub_f32_e32 v15, v15, v27
	ds_bpermute_b32 v27, v108, v3 offset:104
	ds_bpermute_b32 v38, v108, v109 offset:80
	v_mul_f32_e32 v15, v14, v15
	s_waitcnt lgkmcnt(3)
	v_mul_f32_e32 v15, v15, v26
	ds_bpermute_b32 v26, v108, v109 offset:104
	s_waitcnt lgkmcnt(3)
	v_sub_f32_e32 v39, v85, v39
	v_mul_f32_e32 v39, v84, v39
	s_waitcnt vmcnt(10) lgkmcnt(2)
	v_sub_f32_e32 v17, v17, v27
	ds_bpermute_b32 v27, v108, v3 offset:108
	s_waitcnt lgkmcnt(2)
	v_mul_f32_e32 v85, v39, v38
	ds_bpermute_b32 v39, v108, v3 offset:84
	v_pk_add_f32 v[24:25], v[24:25], v[28:29]
	v_mul_f32_e32 v17, v16, v17
	v_pk_add_f32 v[24:25], v[24:25], v[30:31]
	s_waitcnt lgkmcnt(2)
	v_mul_f32_e32 v17, v17, v26
	ds_bpermute_b32 v26, v108, v109 offset:108
	ds_bpermute_b32 v38, v108, v109 offset:84
	v_pk_add_f32 v[24:25], v[24:25], v[32:33]
	s_waitcnt vmcnt(8) lgkmcnt(3)
	v_sub_f32_e32 v19, v19, v27
	v_pk_add_f32 v[24:25], v[24:25], v[34:35]
	ds_bpermute_b32 v27, v108, v3 offset:112
	v_pk_add_f32 v[24:25], v[24:25], v[42:43]
	s_waitcnt lgkmcnt(3)
	v_sub_f32_e32 v39, v87, v39
	v_pk_add_f32 v[24:25], v[24:25], v[82:83]
	v_mul_f32_e32 v19, v18, v19
	v_mul_f32_e32 v39, v86, v39
	v_pk_add_f32 v[24:25], v[24:25], v[44:45]
	s_waitcnt lgkmcnt(2)
	v_mul_f32_e32 v19, v19, v26
	ds_bpermute_b32 v26, v108, v109 offset:112
	s_waitcnt lgkmcnt(2)
	v_mul_f32_e32 v87, v39, v38
	v_pk_add_f32 v[24:25], v[24:25], v[84:85]
	s_waitcnt vmcnt(6) lgkmcnt(1)
	v_sub_f32_e32 v21, v21, v27
	v_pk_add_f32 v[24:25], v[24:25], v[86:87]
	ds_bpermute_b32 v27, v108, v3 offset:116
	v_pk_add_f32 v[8:9], v[24:25], v[8:9]
	v_mul_f32_e32 v21, v20, v21
	v_pk_add_f32 v[8:9], v[8:9], v[10:11]
	ds_bpermute_b32 v11, v108, v3 offset:120
	s_waitcnt lgkmcnt(2)
	v_mul_f32_e32 v21, v21, v26
	ds_bpermute_b32 v26, v108, v109 offset:116
	v_pk_add_f32 v[8:9], v[8:9], v[12:13]
	ds_bpermute_b32 v10, v108, v109 offset:120
	v_pk_add_f32 v[8:9], v[8:9], v[14:15]
	s_waitcnt vmcnt(4) lgkmcnt(3)
	v_sub_f32_e32 v23, v23, v27
	v_pk_add_f32 v[8:9], v[8:9], v[16:17]
	v_mul_f32_e32 v23, v22, v23
	v_pk_add_f32 v[8:9], v[8:9], v[18:19]
	s_waitcnt vmcnt(2) lgkmcnt(2)
	v_sub_f32_e32 v7, v7, v11
	s_waitcnt lgkmcnt(1)
	v_mul_f32_e32 v23, v23, v26
	v_pk_add_f32 v[8:9], v[8:9], v[20:21]
	v_mul_f32_e32 v7, v6, v7
	ds_bpermute_b32 v3, v108, v3 offset:124
	v_pk_add_f32 v[8:9], v[8:9], v[22:23]
	s_waitcnt lgkmcnt(1)
	v_mul_f32_e32 v7, v7, v10
	v_pk_add_f32 v[6:7], v[8:9], v[6:7]
	ds_bpermute_b32 v8, v108, v109 offset:124
	s_waitcnt vmcnt(0) lgkmcnt(1)
	v_sub_f32_e32 v3, v5, v3
	v_mul_f32_e32 v3, v4, v3
	s_waitcnt lgkmcnt(0)
	v_mul_f32_e32 v5, v3, v8
.LBB61_225:                             ;   in Loop: Header=BB61_149 Depth=1
	s_add_u32 s16, s16, s4
	v_pk_add_f32 v[36:37], v[6:7], v[4:5]
	s_addc_u32 s17, s17, 0
	v_mov_b64_e32 v[4:5], s[12:13]
	v_cmp_ge_i64_e32 vcc, s[16:17], v[4:5]
	v_accvgpr_read_b32 v4, a4
	v_accvgpr_read_b32 v5, a5
	v_lshl_add_u64 v[4:5], v[4:5], 0, s[24:25]
	v_accvgpr_write_b32 a4, v4
	v_accvgpr_write_b32 a5, v5
	v_accvgpr_read_b32 v4, a6
	v_accvgpr_read_b32 v5, a7
	v_lshl_add_u64 v[4:5], v[4:5], 0, s[24:25]
	v_accvgpr_write_b32 a7, v5
	v_accvgpr_write_b32 a6, v4
	v_accvgpr_read_b32 v4, a8
	v_accvgpr_read_b32 v5, a9
	v_lshl_add_u64 v[4:5], v[4:5], 0, s[24:25]
	v_accvgpr_write_b32 a9, v5
	v_accvgpr_write_b32 a8, v4
	v_accvgpr_read_b32 v4, a10
	v_accvgpr_read_b32 v5, a11
	v_lshl_add_u64 v[4:5], v[4:5], 0, s[24:25]
	v_accvgpr_write_b32 a11, v5
	v_accvgpr_write_b32 a10, v4
	v_accvgpr_read_b32 v4, a12
	v_accvgpr_read_b32 v5, a13
	v_lshl_add_u64 v[4:5], v[4:5], 0, s[24:25]
	v_accvgpr_write_b32 a13, v5
	v_accvgpr_write_b32 a12, v4
	v_accvgpr_read_b32 v4, a14
	v_accvgpr_read_b32 v5, a15
	v_lshl_add_u64 v[4:5], v[4:5], 0, s[24:25]
	v_accvgpr_write_b32 a15, v5
	v_accvgpr_write_b32 a14, v4
	v_accvgpr_read_b32 v4, a16
	v_accvgpr_read_b32 v5, a17
	v_lshl_add_u64 v[4:5], v[4:5], 0, s[24:25]
	v_accvgpr_write_b32 a17, v5
	v_accvgpr_write_b32 a16, v4
	v_accvgpr_read_b32 v4, a18
	v_accvgpr_read_b32 v5, a19
	v_lshl_add_u64 v[4:5], v[4:5], 0, s[24:25]
	v_accvgpr_write_b32 a19, v5
	v_accvgpr_write_b32 a18, v4
	v_accvgpr_read_b32 v4, a20
	v_accvgpr_read_b32 v5, a21
	v_lshl_add_u64 v[4:5], v[4:5], 0, s[24:25]
	v_accvgpr_write_b32 a21, v5
	v_accvgpr_write_b32 a20, v4
	v_accvgpr_read_b32 v4, a22
	v_accvgpr_read_b32 v5, a23
	v_lshl_add_u64 v[4:5], v[4:5], 0, s[24:25]
	v_accvgpr_write_b32 a23, v5
	v_accvgpr_write_b32 a22, v4
	v_accvgpr_read_b32 v4, a24
	v_accvgpr_read_b32 v5, a25
	v_lshl_add_u64 v[4:5], v[4:5], 0, s[24:25]
	v_accvgpr_write_b32 a25, v5
	v_accvgpr_write_b32 a24, v4
	v_accvgpr_read_b32 v4, a26
	v_accvgpr_read_b32 v5, a27
	v_lshl_add_u64 v[4:5], v[4:5], 0, s[24:25]
	v_accvgpr_write_b32 a27, v5
	v_accvgpr_write_b32 a26, v4
	v_accvgpr_read_b32 v4, a28
	v_accvgpr_read_b32 v5, a29
	v_lshl_add_u64 v[4:5], v[4:5], 0, s[24:25]
	v_accvgpr_write_b32 a29, v5
	v_accvgpr_write_b32 a28, v4
	v_accvgpr_read_b32 v4, a30
	v_accvgpr_read_b32 v5, a31
	v_lshl_add_u64 v[4:5], v[4:5], 0, s[24:25]
	v_accvgpr_write_b32 a31, v5
	v_accvgpr_write_b32 a30, v4
	v_accvgpr_read_b32 v4, a32
	v_accvgpr_read_b32 v5, a33
	v_lshl_add_u64 v[4:5], v[4:5], 0, s[24:25]
	v_accvgpr_write_b32 a33, v5
	v_accvgpr_write_b32 a32, v4
	v_accvgpr_read_b32 v4, a34
	v_accvgpr_read_b32 v5, a35
	v_lshl_add_u64 v[4:5], v[4:5], 0, s[24:25]
	v_accvgpr_write_b32 a35, v5
	v_accvgpr_write_b32 a34, v4
	v_accvgpr_read_b32 v4, a36
	v_accvgpr_read_b32 v5, a37
	v_lshl_add_u64 v[4:5], v[4:5], 0, s[24:25]
	v_accvgpr_write_b32 a37, v5
	v_accvgpr_write_b32 a36, v4
	v_accvgpr_read_b32 v4, a38
	v_accvgpr_read_b32 v5, a39
	v_lshl_add_u64 v[4:5], v[4:5], 0, s[24:25]
	v_accvgpr_write_b32 a39, v5
	v_accvgpr_write_b32 a38, v4
	v_accvgpr_read_b32 v4, a40
	v_accvgpr_read_b32 v5, a41
	v_lshl_add_u64 v[4:5], v[4:5], 0, s[24:25]
	v_accvgpr_write_b32 a41, v5
	v_accvgpr_write_b32 a40, v4
	v_accvgpr_read_b32 v4, a42
	v_accvgpr_read_b32 v5, a43
	v_lshl_add_u64 v[4:5], v[4:5], 0, s[24:25]
	v_accvgpr_write_b32 a43, v5
	v_accvgpr_write_b32 a42, v4
	v_accvgpr_read_b32 v4, a44
	v_accvgpr_read_b32 v5, a45
	v_lshl_add_u64 v[4:5], v[4:5], 0, s[24:25]
	v_accvgpr_write_b32 a45, v5
	v_accvgpr_write_b32 a44, v4
	v_accvgpr_read_b32 v4, a46
	v_accvgpr_read_b32 v5, a47
	v_lshl_add_u64 v[4:5], v[4:5], 0, s[24:25]
	v_accvgpr_write_b32 a47, v5
	v_accvgpr_write_b32 a46, v4
	v_accvgpr_read_b32 v4, a48
	v_accvgpr_read_b32 v5, a49
	v_lshl_add_u64 v[4:5], v[4:5], 0, s[24:25]
	v_accvgpr_write_b32 a49, v5
	v_accvgpr_write_b32 a48, v4
	v_accvgpr_read_b32 v4, a50
	v_accvgpr_read_b32 v5, a51
	v_lshl_add_u64 v[4:5], v[4:5], 0, s[24:25]
	v_accvgpr_write_b32 a51, v5
	v_accvgpr_write_b32 a50, v4
	v_accvgpr_read_b32 v4, a52
	v_accvgpr_read_b32 v5, a53
	v_lshl_add_u64 v[4:5], v[4:5], 0, s[24:25]
	v_accvgpr_write_b32 a53, v5
	v_accvgpr_write_b32 a52, v4
	v_accvgpr_read_b32 v4, a54
	v_accvgpr_read_b32 v5, a55
	v_lshl_add_u64 v[4:5], v[4:5], 0, s[24:25]
	v_accvgpr_write_b32 a55, v5
	v_accvgpr_write_b32 a54, v4
	v_accvgpr_read_b32 v4, a56
	v_accvgpr_read_b32 v5, a57
	v_lshl_add_u64 v[4:5], v[4:5], 0, s[24:25]
	v_accvgpr_write_b32 a57, v5
	v_accvgpr_write_b32 a56, v4
	v_accvgpr_read_b32 v4, a58
	v_accvgpr_read_b32 v5, a59
	v_lshl_add_u64 v[4:5], v[4:5], 0, s[24:25]
	v_accvgpr_write_b32 a59, v5
	v_accvgpr_write_b32 a58, v4
	v_accvgpr_read_b32 v4, a60
	v_accvgpr_read_b32 v5, a61
	v_lshl_add_u64 v[4:5], v[4:5], 0, s[24:25]
	v_accvgpr_write_b32 a61, v5
	v_accvgpr_write_b32 a60, v4
	v_accvgpr_read_b32 v4, a62
	v_accvgpr_read_b32 v5, a63
	v_lshl_add_u64 v[4:5], v[4:5], 0, s[24:25]
	v_accvgpr_write_b32 a63, v5
	v_accvgpr_write_b32 a62, v4
	v_accvgpr_read_b32 v4, a64
	v_accvgpr_read_b32 v5, a65
	v_lshl_add_u64 v[4:5], v[4:5], 0, s[24:25]
	v_accvgpr_write_b32 a65, v5
	v_accvgpr_write_b32 a64, v4
	v_accvgpr_read_b32 v4, a66
	v_accvgpr_read_b32 v5, a67
	v_lshl_add_u64 v[4:5], v[4:5], 0, s[24:25]
	v_accvgpr_write_b32 a67, v5
	v_accvgpr_write_b32 a66, v4
	v_accvgpr_read_b32 v4, a68
	v_accvgpr_read_b32 v5, a69
	v_lshl_add_u64 v[4:5], v[4:5], 0, s[24:25]
	v_accvgpr_write_b32 a69, v5
	v_accvgpr_write_b32 a68, v4
	v_accvgpr_read_b32 v4, a70
	v_accvgpr_read_b32 v5, a71
	v_lshl_add_u64 v[4:5], v[4:5], 0, s[24:25]
	v_accvgpr_write_b32 a71, v5
	v_accvgpr_write_b32 a70, v4
	v_accvgpr_read_b32 v4, a72
	v_accvgpr_read_b32 v5, a73
	v_lshl_add_u64 v[4:5], v[4:5], 0, s[24:25]
	v_accvgpr_write_b32 a73, v5
	v_accvgpr_write_b32 a72, v4
	v_accvgpr_read_b32 v4, a74
	v_accvgpr_read_b32 v5, a75
	v_lshl_add_u64 v[4:5], v[4:5], 0, s[24:25]
	v_accvgpr_write_b32 a75, v5
	v_accvgpr_write_b32 a74, v4
	v_accvgpr_read_b32 v4, a76
	v_accvgpr_read_b32 v5, a77
	v_lshl_add_u64 v[4:5], v[4:5], 0, s[24:25]
	v_accvgpr_write_b32 a77, v5
	v_accvgpr_read_b32 v103, a3
	v_accvgpr_write_b32 a76, v4
	v_accvgpr_read_b32 v4, a78
	v_accvgpr_read_b32 v102, a2
	v_accvgpr_read_b32 v5, a79
	s_add_u32 s26, s26, s4
	v_lshl_add_u64 v[102:103], v[102:103], 0, s[4:5]
	v_lshl_add_u64 v[4:5], v[4:5], 0, s[24:25]
	;; [unrolled: 1-line block ×90, first 2 shown]
	s_addc_u32 s27, 0, s27
	s_cbranch_vccnz .LBB61_227
; %bb.226:                              ;   in Loop: Header=BB61_149 Depth=1
	v_accvgpr_write_b32 a79, v5
	v_accvgpr_write_b32 a78, v4
	s_branch .LBB61_149
.LBB61_227:
	v_accvgpr_read_b32 v0, a80
.LBB61_228:
	s_mov_b32 s3, 0
	s_lshl_b64 s[2:3], s[2:3], 5
	v_and_b32_e32 v1, 0x3ff, v0
	v_or_b32_e32 v8, s2, v1
	v_mov_b32_e32 v9, s3
	v_cmp_gt_i64_e32 vcc, s[14:15], v[8:9]
	s_and_saveexec_b64 s[2:3], vcc
	s_cbranch_execz .LBB61_233
; %bb.229:
	s_load_dword s2, s[0:1], 0x4c
	s_load_dwordx4 s[4:7], s[0:1], 0x30
	v_bfe_u32 v2, v0, 10, 10
	v_mov_b32_e32 v3, 0
	v_mov_b32_e32 v4, s8
	s_waitcnt lgkmcnt(0)
	s_lshr_b32 s0, s2, 16
	v_mad_u64_u32 v[2:3], s[0:1], s0, v4, v[2:3]
	s_cmp_eq_u64 s[4:5], 0
	v_mul_lo_u32 v3, v3, s14
	v_mul_lo_u32 v4, v2, s15
	s_cbranch_scc1 .LBB61_231
; %bb.230:
	v_mad_u64_u32 v[6:7], s[0:1], v2, s14, 0
	v_add3_u32 v7, v7, v4, v3
	v_lshl_add_u64 v[6:7], v[6:7], 2, s[4:5]
	v_lshl_add_u64 v[6:7], v[8:9], 2, v[6:7]
	global_store_dword v[6:7], v37, off
.LBB61_231:
	s_cmp_eq_u64 s[6:7], 0
	s_cbranch_scc1 .LBB61_233
; %bb.232:
	v_mad_u64_u32 v[6:7], s[0:1], v2, s14, 0
	v_add3_u32 v7, v7, v4, v3
	v_lshl_add_u64 v[2:3], v[6:7], 2, s[6:7]
	v_lshl_add_u64 v[0:1], v[8:9], 2, v[2:3]
	global_store_dword v[0:1], v36, off
.LBB61_233:
	s_endpgm
	.section	.rodata,"a",@progbits
	.p2align	6, 0x0
	.amdhsa_kernel _ZN2at6native12_GLOBAL__N_135GammaBetaBackwardCUDAKernelTemplateIffLj32ELj1ELj32ELb1ELb0ELb0EEEvllPKT_S5_PKT0_S8_PS3_S9_
		.amdhsa_group_segment_fixed_size 0
		.amdhsa_private_segment_fixed_size 0
		.amdhsa_kernarg_size 320
		.amdhsa_user_sgpr_count 2
		.amdhsa_user_sgpr_dispatch_ptr 0
		.amdhsa_user_sgpr_queue_ptr 0
		.amdhsa_user_sgpr_kernarg_segment_ptr 1
		.amdhsa_user_sgpr_dispatch_id 0
		.amdhsa_user_sgpr_kernarg_preload_length 0
		.amdhsa_user_sgpr_kernarg_preload_offset 0
		.amdhsa_user_sgpr_private_segment_size 0
		.amdhsa_uses_dynamic_stack 0
		.amdhsa_enable_private_segment 0
		.amdhsa_system_sgpr_workgroup_id_x 1
		.amdhsa_system_sgpr_workgroup_id_y 1
		.amdhsa_system_sgpr_workgroup_id_z 0
		.amdhsa_system_sgpr_workgroup_info 0
		.amdhsa_system_vgpr_workitem_id 1
		.amdhsa_next_free_vgpr 344
		.amdhsa_next_free_sgpr 40
		.amdhsa_accum_offset 256
		.amdhsa_reserve_vcc 1
		.amdhsa_float_round_mode_32 0
		.amdhsa_float_round_mode_16_64 0
		.amdhsa_float_denorm_mode_32 3
		.amdhsa_float_denorm_mode_16_64 3
		.amdhsa_dx10_clamp 1
		.amdhsa_ieee_mode 1
		.amdhsa_fp16_overflow 0
		.amdhsa_tg_split 0
		.amdhsa_exception_fp_ieee_invalid_op 0
		.amdhsa_exception_fp_denorm_src 0
		.amdhsa_exception_fp_ieee_div_zero 0
		.amdhsa_exception_fp_ieee_overflow 0
		.amdhsa_exception_fp_ieee_underflow 0
		.amdhsa_exception_fp_ieee_inexact 0
		.amdhsa_exception_int_div_zero 0
	.end_amdhsa_kernel
	.section	.text._ZN2at6native12_GLOBAL__N_135GammaBetaBackwardCUDAKernelTemplateIffLj32ELj1ELj32ELb1ELb0ELb0EEEvllPKT_S5_PKT0_S8_PS3_S9_,"axG",@progbits,_ZN2at6native12_GLOBAL__N_135GammaBetaBackwardCUDAKernelTemplateIffLj32ELj1ELj32ELb1ELb0ELb0EEEvllPKT_S5_PKT0_S8_PS3_S9_,comdat
.Lfunc_end61:
	.size	_ZN2at6native12_GLOBAL__N_135GammaBetaBackwardCUDAKernelTemplateIffLj32ELj1ELj32ELb1ELb0ELb0EEEvllPKT_S5_PKT0_S8_PS3_S9_, .Lfunc_end61-_ZN2at6native12_GLOBAL__N_135GammaBetaBackwardCUDAKernelTemplateIffLj32ELj1ELj32ELb1ELb0ELb0EEEvllPKT_S5_PKT0_S8_PS3_S9_
                                        ; -- End function
	.set _ZN2at6native12_GLOBAL__N_135GammaBetaBackwardCUDAKernelTemplateIffLj32ELj1ELj32ELb1ELb0ELb0EEEvllPKT_S5_PKT0_S8_PS3_S9_.num_vgpr, 256
	.set _ZN2at6native12_GLOBAL__N_135GammaBetaBackwardCUDAKernelTemplateIffLj32ELj1ELj32ELb1ELb0ELb0EEEvllPKT_S5_PKT0_S8_PS3_S9_.num_agpr, 88
	.set _ZN2at6native12_GLOBAL__N_135GammaBetaBackwardCUDAKernelTemplateIffLj32ELj1ELj32ELb1ELb0ELb0EEEvllPKT_S5_PKT0_S8_PS3_S9_.numbered_sgpr, 40
	.set _ZN2at6native12_GLOBAL__N_135GammaBetaBackwardCUDAKernelTemplateIffLj32ELj1ELj32ELb1ELb0ELb0EEEvllPKT_S5_PKT0_S8_PS3_S9_.num_named_barrier, 0
	.set _ZN2at6native12_GLOBAL__N_135GammaBetaBackwardCUDAKernelTemplateIffLj32ELj1ELj32ELb1ELb0ELb0EEEvllPKT_S5_PKT0_S8_PS3_S9_.private_seg_size, 0
	.set _ZN2at6native12_GLOBAL__N_135GammaBetaBackwardCUDAKernelTemplateIffLj32ELj1ELj32ELb1ELb0ELb0EEEvllPKT_S5_PKT0_S8_PS3_S9_.uses_vcc, 1
	.set _ZN2at6native12_GLOBAL__N_135GammaBetaBackwardCUDAKernelTemplateIffLj32ELj1ELj32ELb1ELb0ELb0EEEvllPKT_S5_PKT0_S8_PS3_S9_.uses_flat_scratch, 0
	.set _ZN2at6native12_GLOBAL__N_135GammaBetaBackwardCUDAKernelTemplateIffLj32ELj1ELj32ELb1ELb0ELb0EEEvllPKT_S5_PKT0_S8_PS3_S9_.has_dyn_sized_stack, 0
	.set _ZN2at6native12_GLOBAL__N_135GammaBetaBackwardCUDAKernelTemplateIffLj32ELj1ELj32ELb1ELb0ELb0EEEvllPKT_S5_PKT0_S8_PS3_S9_.has_recursion, 0
	.set _ZN2at6native12_GLOBAL__N_135GammaBetaBackwardCUDAKernelTemplateIffLj32ELj1ELj32ELb1ELb0ELb0EEEvllPKT_S5_PKT0_S8_PS3_S9_.has_indirect_call, 0
	.section	.AMDGPU.csdata,"",@progbits
; Kernel info:
; codeLenInByte = 24940
; TotalNumSgprs: 46
; NumVgprs: 256
; NumAgprs: 88
; TotalNumVgprs: 344
; ScratchSize: 0
; MemoryBound: 0
; FloatMode: 240
; IeeeMode: 1
; LDSByteSize: 0 bytes/workgroup (compile time only)
; SGPRBlocks: 5
; VGPRBlocks: 42
; NumSGPRsForWavesPerEU: 46
; NumVGPRsForWavesPerEU: 344
; AccumOffset: 256
; Occupancy: 1
; WaveLimiterHint : 0
; COMPUTE_PGM_RSRC2:SCRATCH_EN: 0
; COMPUTE_PGM_RSRC2:USER_SGPR: 2
; COMPUTE_PGM_RSRC2:TRAP_HANDLER: 0
; COMPUTE_PGM_RSRC2:TGID_X_EN: 1
; COMPUTE_PGM_RSRC2:TGID_Y_EN: 1
; COMPUTE_PGM_RSRC2:TGID_Z_EN: 0
; COMPUTE_PGM_RSRC2:TIDIG_COMP_CNT: 1
; COMPUTE_PGM_RSRC3_GFX90A:ACCUM_OFFSET: 63
; COMPUTE_PGM_RSRC3_GFX90A:TG_SPLIT: 0
	.section	.text._ZN2at6native12_GLOBAL__N_135GammaBetaBackwardCUDAKernelTemplateIffLj32ELj1ELj8ELb1ELb1ELb0EEEvllPKT_S5_PKT0_S8_PS3_S9_,"axG",@progbits,_ZN2at6native12_GLOBAL__N_135GammaBetaBackwardCUDAKernelTemplateIffLj32ELj1ELj8ELb1ELb1ELb0EEEvllPKT_S5_PKT0_S8_PS3_S9_,comdat
	.globl	_ZN2at6native12_GLOBAL__N_135GammaBetaBackwardCUDAKernelTemplateIffLj32ELj1ELj8ELb1ELb1ELb0EEEvllPKT_S5_PKT0_S8_PS3_S9_ ; -- Begin function _ZN2at6native12_GLOBAL__N_135GammaBetaBackwardCUDAKernelTemplateIffLj32ELj1ELj8ELb1ELb1ELb0EEEvllPKT_S5_PKT0_S8_PS3_S9_
	.p2align	8
	.type	_ZN2at6native12_GLOBAL__N_135GammaBetaBackwardCUDAKernelTemplateIffLj32ELj1ELj8ELb1ELb1ELb0EEEvllPKT_S5_PKT0_S8_PS3_S9_,@function
_ZN2at6native12_GLOBAL__N_135GammaBetaBackwardCUDAKernelTemplateIffLj32ELj1ELj8ELb1ELb1ELb0EEEvllPKT_S5_PKT0_S8_PS3_S9_: ; @_ZN2at6native12_GLOBAL__N_135GammaBetaBackwardCUDAKernelTemplateIffLj32ELj1ELj8ELb1ELb1ELb0EEEvllPKT_S5_PKT0_S8_PS3_S9_
; %bb.0:
	s_load_dwordx4 s[16:19], s[0:1], 0x0
	s_lshl_b32 s6, s3, 3
	s_mov_b32 s7, 0
	v_mov_b64_e32 v[2:3], s[6:7]
	s_mov_b32 s4, s3
	s_waitcnt lgkmcnt(0)
	v_cmp_gt_i64_e32 vcc, s[16:17], v[2:3]
	v_bfe_u32 v1, v0, 10, 10
	s_cbranch_vccnz .LBB62_2
; %bb.1:
	s_add_u32 s24, s0, 64
	s_addc_u32 s25, s1, 0
	s_mov_b64 s[8:9], 0
	v_bfe_u32 v4, v0, 10, 10
	s_branch .LBB62_3
.LBB62_2:
	s_mov_b64 s[8:9], -1
                                        ; implicit-def: $sgpr24_sgpr25
                                        ; implicit-def: $vgpr4
.LBB62_3:
	s_load_dwordx4 s[20:23], s[0:1], 0x30
	v_mov_b32_e32 v3, 0
	v_and_b32_e32 v0, 0x3ff, v0
	s_andn2_b64 vcc, exec, s[8:9]
	v_mov_b32_e32 v2, v3
	s_cbranch_vccnz .LBB62_11
; %bb.4:
	s_load_dword s3, s[0:1], 0x4c
	s_load_dword s5, s[0:1], 0x44
	s_load_dwordx8 s[8:15], s[0:1], 0x10
	s_add_u32 s24, s0, 64
	s_addc_u32 s25, s1, 0
	s_waitcnt lgkmcnt(0)
	s_and_b32 s0, s3, 0xffff
	v_mad_u32_u24 v2, v1, s0, v0
	v_and_b32_e32 v4, 63, v2
	v_lshlrev_b32_e32 v2, 3, v1
	v_mov_b32_e32 v3, 0
	v_mbcnt_lo_u32_b32 v6, -1, 0
	v_mov_b32_e32 v5, v3
	v_mbcnt_hi_u32_b32 v6, -1, v6
	s_lshl_b32 s26, s5, 3
	v_lshl_add_u64 v[10:11], v[2:3], 0, s[6:7]
	v_cmp_gt_u32_e64 s[0:1], 8, v4
	v_lshl_add_u32 v8, s2, 5, v0
	v_mov_b32_e32 v9, v3
	v_lshlrev_b32_e32 v6, 2, v6
	v_lshl_add_u64 v[4:5], v[10:11], 0, v[4:5]
	v_mul_lo_u32 v2, s19, v10
	v_mul_lo_u32 v20, s18, v11
	v_mad_u64_u32 v[10:11], s[30:31], s18, v10, 0
	s_mul_i32 s3, s19, s26
	s_mul_hi_u32 s5, s18, s26
	s_mov_b32 s27, 0
	v_and_b32_e32 v12, 0x100, v6
	v_add3_u32 v11, v11, v20, v2
	v_lshlrev_b64 v[8:9], 2, v[8:9]
	s_add_i32 s31, s5, s3
	s_mul_i32 s30, s18, s26
	v_or_b32_e32 v13, 4, v12
	v_or_b32_e32 v14, 8, v12
	;; [unrolled: 1-line block ×7, first 2 shown]
	v_lshlrev_b64 v[6:7], 2, v[4:5]
	s_lshl_b64 s[28:29], s[26:27], 2
	v_lshl_add_u64 v[8:9], v[10:11], 2, v[8:9]
	s_lshl_b64 s[30:31], s[30:31], 2
	s_lshl_b64 s[34:35], s[18:19], 2
	v_mov_b64_e32 v[10:11], s[16:17]
	v_mov_b32_e32 v2, v3
	s_branch .LBB62_7
.LBB62_5:                               ;   in Loop: Header=BB62_7 Depth=1
	s_or_b64 exec, exec, s[38:39]
.LBB62_6:                               ;   in Loop: Header=BB62_7 Depth=1
	s_or_b64 exec, exec, s[36:37]
	v_lshl_add_u64 v[26:27], s[10:11], 0, v[8:9]
	v_lshl_add_u64 v[22:23], s[8:9], 0, v[8:9]
	global_load_dword v25, v[26:27], off
	v_lshl_add_u64 v[26:27], v[26:27], 0, s[34:35]
	global_load_dword v24, v[22:23], off
	;; [unrolled: 2-line block ×5, first 2 shown]
	global_load_dword v30, v[22:23], off
	v_lshl_add_u64 v[26:27], v[26:27], 0, s[34:35]
	global_load_dword v33, v[26:27], off
	v_lshl_add_u64 v[22:23], v[22:23], 0, s[34:35]
	v_lshl_add_u64 v[26:27], v[26:27], 0, s[34:35]
	global_load_dword v32, v[22:23], off
	global_load_dword v35, v[26:27], off
	v_lshl_add_u64 v[22:23], v[22:23], 0, s[34:35]
	v_lshl_add_u64 v[26:27], v[26:27], 0, s[34:35]
	global_load_dword v34, v[22:23], off
	;; [unrolled: 4-line block ×4, first 2 shown]
	v_lshl_add_u64 v[22:23], v[22:23], 0, s[34:35]
	global_load_dword v26, v[26:27], off
	s_waitcnt vmcnt(16)
	ds_bpermute_b32 v27, v12, v20
	global_load_dword v22, v[22:23], off
	ds_bpermute_b32 v41, v13, v20
	s_waitcnt vmcnt(16)
	ds_bpermute_b32 v23, v12, v21
	ds_bpermute_b32 v43, v14, v20
	ds_bpermute_b32 v40, v13, v21
	ds_bpermute_b32 v45, v15, v20
	ds_bpermute_b32 v42, v14, v21
	ds_bpermute_b32 v47, v16, v20
	ds_bpermute_b32 v44, v15, v21
	ds_bpermute_b32 v49, v17, v20
	ds_bpermute_b32 v46, v16, v21
	ds_bpermute_b32 v51, v18, v20
	ds_bpermute_b32 v48, v17, v21
	ds_bpermute_b32 v20, v19, v20
	ds_bpermute_b32 v50, v18, v21
	ds_bpermute_b32 v21, v19, v21
	s_add_u32 s6, s6, s26
	s_addc_u32 s7, s7, 0
	v_cmp_lt_i64_e32 vcc, s[6:7], v[10:11]
	v_lshl_add_u64 v[6:7], v[6:7], 0, s[28:29]
	v_lshl_add_u64 v[4:5], v[4:5], 0, s[26:27]
	;; [unrolled: 1-line block ×3, first 2 shown]
	s_and_b64 vcc, exec, vcc
	s_waitcnt vmcnt(15) lgkmcnt(14)
	v_sub_f32_e32 v25, v25, v27
	s_waitcnt vmcnt(14)
	v_mul_f32_e32 v25, v24, v25
	s_waitcnt lgkmcnt(13)
	v_mul_f32_e32 v25, v25, v23
	s_waitcnt vmcnt(13)
	v_sub_f32_e32 v27, v29, v41
	v_pk_add_f32 v[2:3], v[2:3], v[24:25]
	s_waitcnt vmcnt(12)
	v_mul_f32_e32 v23, v28, v27
	s_waitcnt vmcnt(11) lgkmcnt(12)
	v_sub_f32_e32 v27, v31, v43
	s_waitcnt lgkmcnt(11)
	v_mul_f32_e32 v29, v23, v40
	s_waitcnt vmcnt(10)
	v_mul_f32_e32 v23, v30, v27
	s_waitcnt vmcnt(9) lgkmcnt(10)
	v_sub_f32_e32 v27, v33, v45
	s_waitcnt lgkmcnt(9)
	v_mul_f32_e32 v31, v23, v42
	v_pk_add_f32 v[2:3], v[2:3], v[28:29]
	s_waitcnt vmcnt(8)
	v_mul_f32_e32 v23, v32, v27
	s_waitcnt vmcnt(7) lgkmcnt(8)
	v_sub_f32_e32 v24, v35, v47
	s_waitcnt lgkmcnt(7)
	v_mul_f32_e32 v33, v23, v44
	v_pk_add_f32 v[2:3], v[2:3], v[30:31]
	s_waitcnt vmcnt(6)
	v_mul_f32_e32 v23, v34, v24
	s_waitcnt vmcnt(5) lgkmcnt(6)
	v_sub_f32_e32 v24, v37, v49
	s_waitcnt lgkmcnt(5)
	v_mul_f32_e32 v35, v23, v46
	v_pk_add_f32 v[2:3], v[2:3], v[32:33]
	s_waitcnt vmcnt(4)
	v_mul_f32_e32 v23, v36, v24
	s_waitcnt vmcnt(3) lgkmcnt(4)
	v_sub_f32_e32 v24, v39, v51
	s_waitcnt lgkmcnt(3)
	v_mul_f32_e32 v37, v23, v48
	v_pk_add_f32 v[2:3], v[2:3], v[34:35]
	s_waitcnt vmcnt(2)
	v_mul_f32_e32 v23, v38, v24
	s_waitcnt lgkmcnt(1)
	v_mul_f32_e32 v39, v23, v50
	s_waitcnt vmcnt(1)
	v_sub_f32_e32 v20, v26, v20
	v_pk_add_f32 v[2:3], v[2:3], v[36:37]
	s_waitcnt vmcnt(0)
	v_mul_f32_e32 v20, v22, v20
	v_pk_add_f32 v[2:3], v[2:3], v[38:39]
	s_waitcnt lgkmcnt(0)
	v_mul_f32_e32 v23, v20, v21
	v_pk_add_f32 v[2:3], v[2:3], v[22:23]
	s_cbranch_vccz .LBB62_10
.LBB62_7:                               ; =>This Inner Loop Header: Depth=1
	v_mov_b32_e32 v21, 0
	v_mov_b32_e32 v20, 0
	s_and_saveexec_b64 s[36:37], s[0:1]
	s_cbranch_execz .LBB62_6
; %bb.8:                                ;   in Loop: Header=BB62_7 Depth=1
	v_cmp_gt_i64_e32 vcc, s[16:17], v[4:5]
	v_mov_b32_e32 v20, 0
	v_mov_b32_e32 v21, 0
	s_and_saveexec_b64 s[38:39], vcc
	s_cbranch_execz .LBB62_5
; %bb.9:                                ;   in Loop: Header=BB62_7 Depth=1
	v_lshl_add_u64 v[24:25], s[12:13], 0, v[6:7]
	v_lshl_add_u64 v[22:23], s[14:15], 0, v[6:7]
	global_load_dword v20, v[24:25], off
	global_load_dword v21, v[22:23], off
	s_branch .LBB62_5
.LBB62_10:
	v_mov_b32_e32 v4, v1
.LBB62_11:
	s_load_dword s5, s[24:25], 0xc
	s_mov_b32 s3, 0
	v_mov_b32_e32 v1, 0
	s_lshl_b64 s[0:1], s[2:3], 5
	v_lshl_add_u64 v[6:7], s[0:1], 0, v[0:1]
	s_waitcnt lgkmcnt(0)
	s_lshr_b32 s0, s5, 16
	v_mov_b32_e32 v5, v1
	v_mov_b32_e32 v0, s4
	v_mad_u64_u32 v[0:1], s[0:1], s0, v0, v[4:5]
	s_cmp_eq_u64 s[20:21], 0
	v_mul_lo_u32 v1, v1, s18
	v_mul_lo_u32 v4, v0, s19
	s_cbranch_scc1 .LBB62_13
; %bb.12:
	v_mad_u64_u32 v[8:9], s[0:1], v0, s18, 0
	v_add3_u32 v9, v9, v4, v1
	v_lshl_add_u64 v[8:9], v[8:9], 2, s[20:21]
	v_lshl_add_u64 v[8:9], v[6:7], 2, v[8:9]
	global_store_dword v[8:9], v3, off
.LBB62_13:
	s_cmp_eq_u64 s[22:23], 0
	s_cbranch_scc1 .LBB62_15
; %bb.14:
	v_mad_u64_u32 v[8:9], s[0:1], v0, s18, 0
	v_add3_u32 v9, v9, v4, v1
	v_lshl_add_u64 v[0:1], v[8:9], 2, s[22:23]
	v_lshl_add_u64 v[0:1], v[6:7], 2, v[0:1]
	global_store_dword v[0:1], v2, off
.LBB62_15:
	s_endpgm
	.section	.rodata,"a",@progbits
	.p2align	6, 0x0
	.amdhsa_kernel _ZN2at6native12_GLOBAL__N_135GammaBetaBackwardCUDAKernelTemplateIffLj32ELj1ELj8ELb1ELb1ELb0EEEvllPKT_S5_PKT0_S8_PS3_S9_
		.amdhsa_group_segment_fixed_size 0
		.amdhsa_private_segment_fixed_size 0
		.amdhsa_kernarg_size 320
		.amdhsa_user_sgpr_count 2
		.amdhsa_user_sgpr_dispatch_ptr 0
		.amdhsa_user_sgpr_queue_ptr 0
		.amdhsa_user_sgpr_kernarg_segment_ptr 1
		.amdhsa_user_sgpr_dispatch_id 0
		.amdhsa_user_sgpr_kernarg_preload_length 0
		.amdhsa_user_sgpr_kernarg_preload_offset 0
		.amdhsa_user_sgpr_private_segment_size 0
		.amdhsa_uses_dynamic_stack 0
		.amdhsa_enable_private_segment 0
		.amdhsa_system_sgpr_workgroup_id_x 1
		.amdhsa_system_sgpr_workgroup_id_y 1
		.amdhsa_system_sgpr_workgroup_id_z 0
		.amdhsa_system_sgpr_workgroup_info 0
		.amdhsa_system_vgpr_workitem_id 1
		.amdhsa_next_free_vgpr 52
		.amdhsa_next_free_sgpr 40
		.amdhsa_accum_offset 52
		.amdhsa_reserve_vcc 1
		.amdhsa_float_round_mode_32 0
		.amdhsa_float_round_mode_16_64 0
		.amdhsa_float_denorm_mode_32 3
		.amdhsa_float_denorm_mode_16_64 3
		.amdhsa_dx10_clamp 1
		.amdhsa_ieee_mode 1
		.amdhsa_fp16_overflow 0
		.amdhsa_tg_split 0
		.amdhsa_exception_fp_ieee_invalid_op 0
		.amdhsa_exception_fp_denorm_src 0
		.amdhsa_exception_fp_ieee_div_zero 0
		.amdhsa_exception_fp_ieee_overflow 0
		.amdhsa_exception_fp_ieee_underflow 0
		.amdhsa_exception_fp_ieee_inexact 0
		.amdhsa_exception_int_div_zero 0
	.end_amdhsa_kernel
	.section	.text._ZN2at6native12_GLOBAL__N_135GammaBetaBackwardCUDAKernelTemplateIffLj32ELj1ELj8ELb1ELb1ELb0EEEvllPKT_S5_PKT0_S8_PS3_S9_,"axG",@progbits,_ZN2at6native12_GLOBAL__N_135GammaBetaBackwardCUDAKernelTemplateIffLj32ELj1ELj8ELb1ELb1ELb0EEEvllPKT_S5_PKT0_S8_PS3_S9_,comdat
.Lfunc_end62:
	.size	_ZN2at6native12_GLOBAL__N_135GammaBetaBackwardCUDAKernelTemplateIffLj32ELj1ELj8ELb1ELb1ELb0EEEvllPKT_S5_PKT0_S8_PS3_S9_, .Lfunc_end62-_ZN2at6native12_GLOBAL__N_135GammaBetaBackwardCUDAKernelTemplateIffLj32ELj1ELj8ELb1ELb1ELb0EEEvllPKT_S5_PKT0_S8_PS3_S9_
                                        ; -- End function
	.set _ZN2at6native12_GLOBAL__N_135GammaBetaBackwardCUDAKernelTemplateIffLj32ELj1ELj8ELb1ELb1ELb0EEEvllPKT_S5_PKT0_S8_PS3_S9_.num_vgpr, 52
	.set _ZN2at6native12_GLOBAL__N_135GammaBetaBackwardCUDAKernelTemplateIffLj32ELj1ELj8ELb1ELb1ELb0EEEvllPKT_S5_PKT0_S8_PS3_S9_.num_agpr, 0
	.set _ZN2at6native12_GLOBAL__N_135GammaBetaBackwardCUDAKernelTemplateIffLj32ELj1ELj8ELb1ELb1ELb0EEEvllPKT_S5_PKT0_S8_PS3_S9_.numbered_sgpr, 40
	.set _ZN2at6native12_GLOBAL__N_135GammaBetaBackwardCUDAKernelTemplateIffLj32ELj1ELj8ELb1ELb1ELb0EEEvllPKT_S5_PKT0_S8_PS3_S9_.num_named_barrier, 0
	.set _ZN2at6native12_GLOBAL__N_135GammaBetaBackwardCUDAKernelTemplateIffLj32ELj1ELj8ELb1ELb1ELb0EEEvllPKT_S5_PKT0_S8_PS3_S9_.private_seg_size, 0
	.set _ZN2at6native12_GLOBAL__N_135GammaBetaBackwardCUDAKernelTemplateIffLj32ELj1ELj8ELb1ELb1ELb0EEEvllPKT_S5_PKT0_S8_PS3_S9_.uses_vcc, 1
	.set _ZN2at6native12_GLOBAL__N_135GammaBetaBackwardCUDAKernelTemplateIffLj32ELj1ELj8ELb1ELb1ELb0EEEvllPKT_S5_PKT0_S8_PS3_S9_.uses_flat_scratch, 0
	.set _ZN2at6native12_GLOBAL__N_135GammaBetaBackwardCUDAKernelTemplateIffLj32ELj1ELj8ELb1ELb1ELb0EEEvllPKT_S5_PKT0_S8_PS3_S9_.has_dyn_sized_stack, 0
	.set _ZN2at6native12_GLOBAL__N_135GammaBetaBackwardCUDAKernelTemplateIffLj32ELj1ELj8ELb1ELb1ELb0EEEvllPKT_S5_PKT0_S8_PS3_S9_.has_recursion, 0
	.set _ZN2at6native12_GLOBAL__N_135GammaBetaBackwardCUDAKernelTemplateIffLj32ELj1ELj8ELb1ELb1ELb0EEEvllPKT_S5_PKT0_S8_PS3_S9_.has_indirect_call, 0
	.section	.AMDGPU.csdata,"",@progbits
; Kernel info:
; codeLenInByte = 1312
; TotalNumSgprs: 46
; NumVgprs: 52
; NumAgprs: 0
; TotalNumVgprs: 52
; ScratchSize: 0
; MemoryBound: 0
; FloatMode: 240
; IeeeMode: 1
; LDSByteSize: 0 bytes/workgroup (compile time only)
; SGPRBlocks: 5
; VGPRBlocks: 6
; NumSGPRsForWavesPerEU: 46
; NumVGPRsForWavesPerEU: 52
; AccumOffset: 52
; Occupancy: 8
; WaveLimiterHint : 0
; COMPUTE_PGM_RSRC2:SCRATCH_EN: 0
; COMPUTE_PGM_RSRC2:USER_SGPR: 2
; COMPUTE_PGM_RSRC2:TRAP_HANDLER: 0
; COMPUTE_PGM_RSRC2:TGID_X_EN: 1
; COMPUTE_PGM_RSRC2:TGID_Y_EN: 1
; COMPUTE_PGM_RSRC2:TGID_Z_EN: 0
; COMPUTE_PGM_RSRC2:TIDIG_COMP_CNT: 1
; COMPUTE_PGM_RSRC3_GFX90A:ACCUM_OFFSET: 12
; COMPUTE_PGM_RSRC3_GFX90A:TG_SPLIT: 0
	.section	.text._ZN2at6native12_GLOBAL__N_135GammaBetaBackwardCUDAKernelTemplateIffLj32ELj1ELj8ELb1ELb0ELb0EEEvllPKT_S5_PKT0_S8_PS3_S9_,"axG",@progbits,_ZN2at6native12_GLOBAL__N_135GammaBetaBackwardCUDAKernelTemplateIffLj32ELj1ELj8ELb1ELb0ELb0EEEvllPKT_S5_PKT0_S8_PS3_S9_,comdat
	.globl	_ZN2at6native12_GLOBAL__N_135GammaBetaBackwardCUDAKernelTemplateIffLj32ELj1ELj8ELb1ELb0ELb0EEEvllPKT_S5_PKT0_S8_PS3_S9_ ; -- Begin function _ZN2at6native12_GLOBAL__N_135GammaBetaBackwardCUDAKernelTemplateIffLj32ELj1ELj8ELb1ELb0ELb0EEEvllPKT_S5_PKT0_S8_PS3_S9_
	.p2align	8
	.type	_ZN2at6native12_GLOBAL__N_135GammaBetaBackwardCUDAKernelTemplateIffLj32ELj1ELj8ELb1ELb0ELb0EEEvllPKT_S5_PKT0_S8_PS3_S9_,@function
_ZN2at6native12_GLOBAL__N_135GammaBetaBackwardCUDAKernelTemplateIffLj32ELj1ELj8ELb1ELb0ELb0EEEvllPKT_S5_PKT0_S8_PS3_S9_: ; @_ZN2at6native12_GLOBAL__N_135GammaBetaBackwardCUDAKernelTemplateIffLj32ELj1ELj8ELb1ELb0ELb0EEEvllPKT_S5_PKT0_S8_PS3_S9_
; %bb.0:
	s_load_dwordx8 s[12:19], s[0:1], 0x0
	s_load_dwordx4 s[20:23], s[0:1], 0x20
	s_mov_b32 s8, s3
	s_lshl_b32 s3, s2, 5
	s_mov_b32 s11, 0
	s_lshl_b32 s10, s8, 3
	s_or_b32 s4, s3, 31
	v_mov_b64_e32 v[2:3], s[10:11]
	v_mov_b32_e32 v20, s4
	v_mov_b32_e32 v21, 0
	s_waitcnt lgkmcnt(0)
	v_cmp_gt_i64_e64 s[4:5], s[12:13], v[2:3]
	v_cmp_le_i64_e32 vcc, s[14:15], v[20:21]
	s_nop 0
	v_cndmask_b32_e64 v1, 0, 1, s[4:5]
	v_cmp_ne_u32_e64 s[4:5], 1, v1
	s_cbranch_vccz .LBB63_48
; %bb.1:
	s_and_b64 vcc, exec, s[4:5]
	v_mov_b32_e32 v20, 0
	s_cbranch_vccnz .LBB63_49
; %bb.2:
	v_and_b32_e32 v1, 0x3ff, v0
	v_mov_b32_e32 v2, 0
	v_bfe_u32 v62, v0, 10, 10
	v_add_u32_e32 v4, s3, v1
	v_mov_b32_e32 v5, v2
	v_lshlrev_b32_e32 v22, 3, v62
	v_mov_b32_e32 v23, v2
	v_cmp_gt_i64_e64 s[6:7], s[14:15], v[4:5]
	v_lshlrev_b64 v[24:25], 2, v[4:5]
	v_lshl_add_u64 v[4:5], v[22:23], 0, s[10:11]
	v_mul_lo_u32 v3, s15, v4
	v_mul_lo_u32 v8, s14, v5
	v_mad_u64_u32 v[6:7], s[28:29], s14, v4, 0
	v_add3_u32 v7, v7, v8, v3
	v_lshlrev_b64 v[6:7], 2, v[6:7]
	v_lshl_add_u64 v[26:27], s[16:17], 0, v[6:7]
	v_lshl_add_u64 v[28:29], s[18:19], 0, v[6:7]
	v_lshl_add_u64 v[6:7], v[4:5], 0, 7
	v_mul_lo_u32 v9, s15, v6
	v_mul_lo_u32 v10, s14, v7
	v_mad_u64_u32 v[6:7], s[34:35], s14, v6, 0
	v_add3_u32 v7, v7, v10, v9
	v_lshlrev_b64 v[6:7], 2, v[6:7]
	v_lshl_add_u64 v[30:31], s[16:17], 0, v[6:7]
	v_lshl_add_u64 v[32:33], s[18:19], 0, v[6:7]
	;; [unrolled: 8-line block ×6, first 2 shown]
	v_lshl_add_u64 v[6:7], v[4:5], 0, 2
	s_load_dword s9, s[0:1], 0x44
	v_mul_lo_u32 v5, s15, v6
	v_mul_lo_u32 v9, s14, v7
	v_mad_u64_u32 v[6:7], s[34:35], s14, v6, 0
	v_add3_u32 v7, v7, v9, v5
	v_lshlrev_b64 v[6:7], 2, v[6:7]
	v_lshl_add_u64 v[50:51], s[16:17], 0, v[6:7]
	v_lshl_add_u64 v[52:53], s[18:19], 0, v[6:7]
	v_mov_b64_e32 v[6:7], s[14:15]
	s_add_u32 s26, s0, 64
	v_mad_u64_u32 v[4:5], s[34:35], s14, v4, v[6:7]
	s_addc_u32 s27, s1, 0
	s_waitcnt lgkmcnt(0)
	s_lshl_b32 s24, s9, 3
	v_add3_u32 v5, v3, v5, v8
	v_mbcnt_lo_u32_b32 v3, -1, 0
	s_mul_i32 s9, s15, s24
	s_mul_hi_u32 s28, s14, s24
	v_mbcnt_hi_u32_b32 v3, -1, v3
	s_add_i32 s29, s28, s9
	s_mul_i32 s28, s14, s24
	v_lshlrev_b64 v[4:5], 2, v[4:5]
	v_lshlrev_b32_e32 v3, 2, v3
	s_mov_b32 s25, 0
	s_lshl_b64 s[28:29], s[28:29], 2
	s_mov_b64 s[30:31], 7
	v_lshl_add_u64 v[54:55], s[16:17], 0, v[4:5]
	v_lshl_add_u64 v[56:57], s[18:19], 0, v[4:5]
	v_and_b32_e32 v63, 0x100, v3
	s_mov_b64 s[34:35], s[10:11]
	v_mov_b32_e32 v20, 0
	v_mov_b32_e32 v21, v2
	s_branch .LBB63_5
.LBB63_3:                               ;   in Loop: Header=BB63_5 Depth=1
	s_or_b64 exec, exec, s[36:37]
	s_waitcnt vmcnt(1)
	ds_bpermute_b32 v3, v63, v61
	ds_bpermute_b32 v58, v63, v61 offset:4
	s_waitcnt vmcnt(0)
	ds_bpermute_b32 v59, v63, v60
	ds_bpermute_b32 v64, v63, v60 offset:4
	v_mov_b32_e32 v66, v8
	s_waitcnt lgkmcnt(3)
	v_sub_f32_e32 v3, v12, v3
	v_mul_f32_e32 v3, v4, v3
	s_waitcnt lgkmcnt(2)
	v_sub_f32_e32 v12, v13, v58
	s_waitcnt lgkmcnt(1)
	v_mul_f32_e32 v13, v3, v59
	ds_bpermute_b32 v3, v63, v61 offset:8
	v_mul_f32_e32 v12, v5, v12
	s_waitcnt lgkmcnt(1)
	v_mul_f32_e32 v59, v12, v64
	ds_bpermute_b32 v12, v63, v60 offset:8
	ds_bpermute_b32 v58, v63, v61 offset:12
	s_waitcnt lgkmcnt(2)
	v_sub_f32_e32 v3, v14, v3
	ds_bpermute_b32 v14, v63, v60 offset:12
	v_mul_f32_e32 v3, v6, v3
	s_waitcnt lgkmcnt(2)
	v_mul_f32_e32 v65, v3, v12
	s_waitcnt lgkmcnt(1)
	v_sub_f32_e32 v3, v15, v58
	ds_bpermute_b32 v12, v63, v61 offset:16
	v_mul_f32_e32 v3, v7, v3
	s_waitcnt lgkmcnt(1)
	v_mul_f32_e32 v15, v3, v14
	ds_bpermute_b32 v3, v63, v60 offset:16
	ds_bpermute_b32 v14, v63, v61 offset:20
	s_waitcnt lgkmcnt(2)
	v_sub_f32_e32 v12, v16, v12
	ds_bpermute_b32 v16, v63, v60 offset:20
	v_mul_f32_e32 v12, v8, v12
	s_waitcnt lgkmcnt(2)
	v_mul_f32_e32 v67, v12, v3
	v_mov_b32_e32 v12, v4
	s_waitcnt lgkmcnt(1)
	v_sub_f32_e32 v3, v17, v14
	v_pk_add_f32 v[12:13], v[20:21], v[12:13]
	v_mov_b32_e32 v58, v5
	v_mul_f32_e32 v3, v9, v3
	v_pk_add_f32 v[4:5], v[58:59], v[12:13]
	v_mov_b32_e32 v64, v6
	s_waitcnt lgkmcnt(0)
	v_mul_f32_e32 v17, v3, v16
	v_pk_add_f32 v[4:5], v[64:65], v[4:5]
	v_mov_b32_e32 v14, v7
	ds_bpermute_b32 v3, v63, v61 offset:24
	v_pk_add_f32 v[4:5], v[14:15], v[4:5]
	v_mov_b32_e32 v16, v9
	v_pk_add_f32 v[4:5], v[66:67], v[4:5]
	s_waitcnt lgkmcnt(0)
	v_sub_f32_e32 v8, v18, v3
	v_pk_add_f32 v[6:7], v[16:17], v[4:5]
	ds_bpermute_b32 v5, v63, v60 offset:24
	ds_bpermute_b32 v3, v63, v60 offset:28
	;; [unrolled: 1-line block ×3, first 2 shown]
	v_mul_f32_e32 v8, v10, v8
	s_waitcnt lgkmcnt(2)
	v_mul_f32_e32 v9, v8, v5
	v_mov_b32_e32 v8, v10
	v_pk_add_f32 v[60:61], v[8:9], v[6:7]
.LBB63_4:                               ;   in Loop: Header=BB63_5 Depth=1
	s_waitcnt lgkmcnt(0)
	v_sub_f32_e32 v4, v19, v4
	v_mul_f32_e32 v4, v11, v4
	v_mul_f32_e32 v5, v4, v3
	v_mov_b32_e32 v4, v11
	s_add_u32 s34, s34, s24
	v_pk_add_f32 v[20:21], v[60:61], v[4:5]
	s_addc_u32 s35, s35, 0
	v_mov_b64_e32 v[4:5], s[12:13]
	s_add_u32 s30, s30, s24
	v_cmp_lt_i64_e32 vcc, s[34:35], v[4:5]
	v_lshl_add_u64 v[26:27], v[26:27], 0, s[28:29]
	v_lshl_add_u64 v[28:29], v[28:29], 0, s[28:29]
	;; [unrolled: 1-line block ×17, first 2 shown]
	s_addc_u32 s31, 0, s31
	s_cbranch_vccz .LBB63_49
.LBB63_5:                               ; =>This Inner Loop Header: Depth=1
	s_add_u32 s36, s10, s30
	s_addc_u32 s37, 0, s31
	v_mov_b64_e32 v[4:5], s[12:13]
	v_cmp_ge_i64_e32 vcc, s[36:37], v[4:5]
	v_lshl_add_u64 v[58:59], s[10:11], 0, v[22:23]
	s_mov_b64 s[36:37], -1
	s_and_b64 vcc, exec, vcc
                                        ; implicit-def: $vgpr4_vgpr5_vgpr6_vgpr7_vgpr8_vgpr9_vgpr10_vgpr11
                                        ; implicit-def: $vgpr60_vgpr61
                                        ; implicit-def: $vgpr3
                                        ; implicit-def: $vgpr12_vgpr13_vgpr14_vgpr15_vgpr16_vgpr17_vgpr18_vgpr19
                                        ; implicit-def: $vgpr4
	s_cbranch_vccz .LBB63_27
; %bb.6:                                ;   in Loop: Header=BB63_5 Depth=1
	s_load_dword s9, s[26:27], 0xc
	v_mov_b32_e32 v60, 0
	v_mov_b32_e32 v61, 0
	s_waitcnt lgkmcnt(0)
	s_and_b32 s9, s9, 0xffff
	v_mad_u32_u24 v3, v62, s9, v1
	v_and_b32_e32 v4, 63, v3
	v_cmp_gt_u32_e32 vcc, 8, v4
	s_and_saveexec_b64 s[36:37], vcc
	s_cbranch_execz .LBB63_10
; %bb.7:                                ;   in Loop: Header=BB63_5 Depth=1
	v_mov_b32_e32 v5, v2
	v_lshl_add_u64 v[4:5], v[58:59], 0, v[4:5]
	v_cmp_gt_i64_e32 vcc, s[12:13], v[4:5]
	v_mov_b32_e32 v61, 0
	v_mov_b32_e32 v60, 0
	s_and_saveexec_b64 s[38:39], vcc
	s_cbranch_execz .LBB63_9
; %bb.8:                                ;   in Loop: Header=BB63_5 Depth=1
	v_lshlrev_b64 v[4:5], 2, v[4:5]
	v_lshl_add_u64 v[6:7], s[22:23], 0, v[4:5]
	v_lshl_add_u64 v[4:5], s[20:21], 0, v[4:5]
	global_load_dword v61, v[4:5], off
	global_load_dword v60, v[6:7], off
.LBB63_9:                               ;   in Loop: Header=BB63_5 Depth=1
	s_or_b64 exec, exec, s[38:39]
.LBB63_10:                              ;   in Loop: Header=BB63_5 Depth=1
	s_or_b64 exec, exec, s[36:37]
	v_mov_b32_e32 v8, v2
	v_mov_b32_e32 v9, v2
	;; [unrolled: 1-line block ×7, first 2 shown]
	v_mov_b64_e32 v[18:19], v[8:9]
	v_cmp_gt_i64_e32 vcc, s[12:13], v[58:59]
	v_mov_b64_e32 v[16:17], v[6:7]
	v_mov_b64_e32 v[14:15], v[4:5]
	;; [unrolled: 1-line block ×4, first 2 shown]
	s_and_b64 s[38:39], s[6:7], vcc
	v_mov_b64_e32 v[8:9], v[6:7]
	v_mov_b64_e32 v[6:7], v[4:5]
	;; [unrolled: 1-line block ×3, first 2 shown]
	s_and_saveexec_b64 s[36:37], s[38:39]
	s_cbranch_execz .LBB63_12
; %bb.11:                               ;   in Loop: Header=BB63_5 Depth=1
	v_lshl_add_u64 v[4:5], v[26:27], 0, v[24:25]
	v_lshl_add_u64 v[6:7], v[28:29], 0, v[24:25]
	global_load_dword v4, v[4:5], off
	v_mov_b32_e32 v5, v2
	global_load_dword v12, v[6:7], off
	v_mov_b32_e32 v6, v2
	v_mov_b32_e32 v7, v2
	;; [unrolled: 1-line block ×13, first 2 shown]
.LBB63_12:                              ;   in Loop: Header=BB63_5 Depth=1
	s_or_b64 exec, exec, s[36:37]
	v_lshl_add_u64 v[64:65], v[58:59], 0, 1
	v_cmp_gt_i64_e32 vcc, s[12:13], v[64:65]
	s_and_b64 s[38:39], s[6:7], vcc
	s_and_saveexec_b64 s[36:37], s[38:39]
	s_cbranch_execz .LBB63_14
; %bb.13:                               ;   in Loop: Header=BB63_5 Depth=1
	v_lshl_add_u64 v[64:65], v[54:55], 0, v[24:25]
	global_load_dword v5, v[64:65], off
	v_lshl_add_u64 v[64:65], v[56:57], 0, v[24:25]
	global_load_dword v13, v[64:65], off
.LBB63_14:                              ;   in Loop: Header=BB63_5 Depth=1
	s_or_b64 exec, exec, s[36:37]
	v_lshl_add_u64 v[64:65], v[58:59], 0, 2
	v_cmp_gt_i64_e32 vcc, s[12:13], v[64:65]
	s_and_b64 s[38:39], s[6:7], vcc
	s_and_saveexec_b64 s[36:37], s[38:39]
	s_cbranch_execz .LBB63_16
; %bb.15:                               ;   in Loop: Header=BB63_5 Depth=1
	v_lshl_add_u64 v[64:65], v[50:51], 0, v[24:25]
	global_load_dword v6, v[64:65], off
	v_lshl_add_u64 v[64:65], v[52:53], 0, v[24:25]
	global_load_dword v14, v[64:65], off
.LBB63_16:                              ;   in Loop: Header=BB63_5 Depth=1
	;; [unrolled: 12-line block ×7, first 2 shown]
	s_or_b64 exec, exec, s[36:37]
	s_waitcnt vmcnt(1)
	ds_bpermute_b32 v3, v63, v61
	ds_bpermute_b32 v64, v63, v61 offset:4
	s_waitcnt vmcnt(0)
	ds_bpermute_b32 v65, v63, v60
	ds_bpermute_b32 v66, v63, v60 offset:4
	v_mov_b32_e32 v68, v8
	s_waitcnt lgkmcnt(3)
	v_sub_f32_e32 v3, v12, v3
	v_mul_f32_e32 v3, v4, v3
	s_waitcnt lgkmcnt(2)
	v_sub_f32_e32 v12, v13, v64
	s_waitcnt lgkmcnt(1)
	v_mul_f32_e32 v13, v3, v65
	ds_bpermute_b32 v3, v63, v61 offset:8
	v_mul_f32_e32 v12, v5, v12
	s_waitcnt lgkmcnt(1)
	v_mul_f32_e32 v65, v12, v66
	ds_bpermute_b32 v12, v63, v60 offset:8
	ds_bpermute_b32 v64, v63, v61 offset:12
	s_waitcnt lgkmcnt(2)
	v_sub_f32_e32 v3, v14, v3
	ds_bpermute_b32 v14, v63, v60 offset:12
	v_mul_f32_e32 v3, v6, v3
	s_waitcnt lgkmcnt(2)
	v_mul_f32_e32 v67, v3, v12
	ds_bpermute_b32 v12, v63, v61 offset:16
	s_waitcnt lgkmcnt(2)
	v_sub_f32_e32 v3, v15, v64
	v_mul_f32_e32 v3, v7, v3
	s_waitcnt lgkmcnt(1)
	v_mul_f32_e32 v15, v3, v14
	ds_bpermute_b32 v3, v63, v60 offset:16
	ds_bpermute_b32 v14, v63, v61 offset:20
	s_waitcnt lgkmcnt(2)
	v_sub_f32_e32 v12, v16, v12
	ds_bpermute_b32 v16, v63, v60 offset:20
	v_mul_f32_e32 v12, v8, v12
	s_waitcnt lgkmcnt(2)
	v_mul_f32_e32 v69, v12, v3
	s_waitcnt lgkmcnt(1)
	v_sub_f32_e32 v3, v17, v14
	v_mov_b32_e32 v12, v4
	v_mul_f32_e32 v3, v9, v3
	v_pk_add_f32 v[12:13], v[20:21], v[12:13]
	v_mov_b32_e32 v64, v5
	s_waitcnt lgkmcnt(0)
	v_mul_f32_e32 v17, v3, v16
	v_pk_add_f32 v[4:5], v[64:65], v[12:13]
	v_mov_b32_e32 v66, v6
	ds_bpermute_b32 v3, v63, v61 offset:24
	v_pk_add_f32 v[4:5], v[66:67], v[4:5]
	v_mov_b32_e32 v14, v7
	v_pk_add_f32 v[4:5], v[14:15], v[4:5]
	v_mov_b32_e32 v16, v9
	v_pk_add_f32 v[4:5], v[68:69], v[4:5]
	s_waitcnt lgkmcnt(0)
	v_sub_f32_e32 v3, v18, v3
	v_pk_add_f32 v[6:7], v[16:17], v[4:5]
	ds_bpermute_b32 v5, v63, v60 offset:24
	v_mul_f32_e32 v8, v10, v3
	ds_bpermute_b32 v3, v63, v60 offset:28
	ds_bpermute_b32 v4, v63, v61 offset:28
	s_mov_b64 s[36:37], 0
	s_waitcnt lgkmcnt(2)
	v_mul_f32_e32 v9, v8, v5
	v_mov_b32_e32 v8, v10
	v_pk_add_f32 v[60:61], v[8:9], v[6:7]
.LBB63_27:                              ;   in Loop: Header=BB63_5 Depth=1
	s_and_b64 vcc, exec, s[36:37]
	s_cbranch_vccz .LBB63_4
; %bb.28:                               ;   in Loop: Header=BB63_5 Depth=1
	s_load_dword s9, s[26:27], 0x0
	v_mov_b32_e32 v60, 0
	v_mov_b32_e32 v61, 0
	s_waitcnt lgkmcnt(0)
	s_cmp_lt_u32 s2, s9
	s_cselect_b32 s9, 12, 18
	s_add_u32 s36, s26, s9
	s_addc_u32 s37, s27, 0
	global_load_ushort v3, v2, s[36:37]
	s_waitcnt vmcnt(0)
	v_mad_u32_u24 v3, v62, v3, v1
	v_and_b32_e32 v4, 63, v3
	v_cmp_gt_u32_e32 vcc, 8, v4
	s_and_saveexec_b64 s[36:37], vcc
	s_cbranch_execz .LBB63_32
; %bb.29:                               ;   in Loop: Header=BB63_5 Depth=1
	v_mov_b32_e32 v5, v2
	v_lshl_add_u64 v[4:5], v[58:59], 0, v[4:5]
	v_cmp_gt_i64_e32 vcc, s[12:13], v[4:5]
	v_mov_b32_e32 v61, 0
	v_mov_b32_e32 v60, 0
	s_and_saveexec_b64 s[38:39], vcc
	s_cbranch_execz .LBB63_31
; %bb.30:                               ;   in Loop: Header=BB63_5 Depth=1
	v_lshlrev_b64 v[4:5], 2, v[4:5]
	v_lshl_add_u64 v[6:7], s[22:23], 0, v[4:5]
	v_lshl_add_u64 v[4:5], s[20:21], 0, v[4:5]
	global_load_dword v61, v[4:5], off
	global_load_dword v60, v[6:7], off
.LBB63_31:                              ;   in Loop: Header=BB63_5 Depth=1
	s_or_b64 exec, exec, s[38:39]
.LBB63_32:                              ;   in Loop: Header=BB63_5 Depth=1
	s_or_b64 exec, exec, s[36:37]
	v_mov_b32_e32 v8, v2
	v_mov_b32_e32 v9, v2
	;; [unrolled: 1-line block ×7, first 2 shown]
	v_mov_b64_e32 v[18:19], v[8:9]
	v_mov_b64_e32 v[16:17], v[6:7]
	;; [unrolled: 1-line block ×8, first 2 shown]
	s_and_saveexec_b64 s[36:37], s[6:7]
	s_cbranch_execnz .LBB63_40
; %bb.33:                               ;   in Loop: Header=BB63_5 Depth=1
	s_or_b64 exec, exec, s[36:37]
	s_and_saveexec_b64 s[36:37], s[6:7]
	s_cbranch_execnz .LBB63_41
.LBB63_34:                              ;   in Loop: Header=BB63_5 Depth=1
	s_or_b64 exec, exec, s[36:37]
	s_and_saveexec_b64 s[36:37], s[6:7]
	s_cbranch_execnz .LBB63_42
.LBB63_35:                              ;   in Loop: Header=BB63_5 Depth=1
	s_or_b64 exec, exec, s[36:37]
	s_and_saveexec_b64 s[36:37], s[6:7]
	s_cbranch_execnz .LBB63_43
.LBB63_36:                              ;   in Loop: Header=BB63_5 Depth=1
	s_or_b64 exec, exec, s[36:37]
	s_and_saveexec_b64 s[36:37], s[6:7]
	s_cbranch_execnz .LBB63_44
.LBB63_37:                              ;   in Loop: Header=BB63_5 Depth=1
	s_or_b64 exec, exec, s[36:37]
	s_and_saveexec_b64 s[36:37], s[6:7]
	s_cbranch_execnz .LBB63_45
.LBB63_38:                              ;   in Loop: Header=BB63_5 Depth=1
	s_or_b64 exec, exec, s[36:37]
	s_and_saveexec_b64 s[36:37], s[6:7]
	s_cbranch_execnz .LBB63_46
.LBB63_39:                              ;   in Loop: Header=BB63_5 Depth=1
	s_or_b64 exec, exec, s[36:37]
	s_and_saveexec_b64 s[36:37], s[6:7]
	s_cbranch_execz .LBB63_3
	s_branch .LBB63_47
.LBB63_40:                              ;   in Loop: Header=BB63_5 Depth=1
	v_lshl_add_u64 v[4:5], v[26:27], 0, v[24:25]
	v_lshl_add_u64 v[6:7], v[28:29], 0, v[24:25]
	global_load_dword v4, v[4:5], off
	v_mov_b32_e32 v5, v2
	global_load_dword v12, v[6:7], off
	v_mov_b32_e32 v6, v2
	v_mov_b32_e32 v7, v2
	;; [unrolled: 1-line block ×13, first 2 shown]
	s_or_b64 exec, exec, s[36:37]
	s_and_saveexec_b64 s[36:37], s[6:7]
	s_cbranch_execz .LBB63_34
.LBB63_41:                              ;   in Loop: Header=BB63_5 Depth=1
	v_lshl_add_u64 v[58:59], v[54:55], 0, v[24:25]
	global_load_dword v5, v[58:59], off
	v_lshl_add_u64 v[58:59], v[56:57], 0, v[24:25]
	global_load_dword v13, v[58:59], off
	s_or_b64 exec, exec, s[36:37]
	s_and_saveexec_b64 s[36:37], s[6:7]
	s_cbranch_execz .LBB63_35
.LBB63_42:                              ;   in Loop: Header=BB63_5 Depth=1
	v_lshl_add_u64 v[58:59], v[50:51], 0, v[24:25]
	global_load_dword v6, v[58:59], off
	v_lshl_add_u64 v[58:59], v[52:53], 0, v[24:25]
	global_load_dword v14, v[58:59], off
	s_or_b64 exec, exec, s[36:37]
	s_and_saveexec_b64 s[36:37], s[6:7]
	s_cbranch_execz .LBB63_36
.LBB63_43:                              ;   in Loop: Header=BB63_5 Depth=1
	v_lshl_add_u64 v[58:59], v[46:47], 0, v[24:25]
	global_load_dword v7, v[58:59], off
	v_lshl_add_u64 v[58:59], v[48:49], 0, v[24:25]
	global_load_dword v15, v[58:59], off
	s_or_b64 exec, exec, s[36:37]
	s_and_saveexec_b64 s[36:37], s[6:7]
	s_cbranch_execz .LBB63_37
.LBB63_44:                              ;   in Loop: Header=BB63_5 Depth=1
	v_lshl_add_u64 v[58:59], v[42:43], 0, v[24:25]
	global_load_dword v8, v[58:59], off
	v_lshl_add_u64 v[58:59], v[44:45], 0, v[24:25]
	global_load_dword v16, v[58:59], off
	s_or_b64 exec, exec, s[36:37]
	s_and_saveexec_b64 s[36:37], s[6:7]
	s_cbranch_execz .LBB63_38
.LBB63_45:                              ;   in Loop: Header=BB63_5 Depth=1
	v_lshl_add_u64 v[58:59], v[38:39], 0, v[24:25]
	global_load_dword v9, v[58:59], off
	v_lshl_add_u64 v[58:59], v[40:41], 0, v[24:25]
	global_load_dword v17, v[58:59], off
	s_or_b64 exec, exec, s[36:37]
	s_and_saveexec_b64 s[36:37], s[6:7]
	s_cbranch_execz .LBB63_39
.LBB63_46:                              ;   in Loop: Header=BB63_5 Depth=1
	v_lshl_add_u64 v[58:59], v[34:35], 0, v[24:25]
	global_load_dword v10, v[58:59], off
	v_lshl_add_u64 v[58:59], v[36:37], 0, v[24:25]
	global_load_dword v18, v[58:59], off
	s_or_b64 exec, exec, s[36:37]
	s_and_saveexec_b64 s[36:37], s[6:7]
	s_cbranch_execz .LBB63_3
.LBB63_47:                              ;   in Loop: Header=BB63_5 Depth=1
	v_lshl_add_u64 v[58:59], v[30:31], 0, v[24:25]
	global_load_dword v11, v[58:59], off
	v_lshl_add_u64 v[58:59], v[32:33], 0, v[24:25]
	global_load_dword v19, v[58:59], off
	s_branch .LBB63_3
.LBB63_48:
                                        ; implicit-def: $vgpr21
	s_branch .LBB63_50
.LBB63_49:
	s_cbranch_execnz .LBB63_81
.LBB63_50:
	v_mov_b32_e32 v21, 0
	s_and_b64 vcc, exec, s[4:5]
	v_mov_b32_e32 v20, v21
	s_cbranch_vccnz .LBB63_81
; %bb.51:
	v_mov_b32_e32 v2, 0
	v_bfe_u32 v88, v0, 10, 10
	v_lshlrev_b32_e32 v6, 5, v88
	v_mov_b32_e32 v7, v2
	v_lshl_add_u64 v[6:7], s[10:11], 2, v[6:7]
	v_lshl_add_u64 v[8:9], v[6:7], 0, 4
	v_mov_b64_e32 v[10:11], s[16:17]
	v_lshl_add_u64 v[12:13], v[6:7], 0, 8
	v_lshl_add_u64 v[14:15], v[6:7], 0, 12
	;; [unrolled: 1-line block ×6, first 2 shown]
	v_mad_u64_u32 v[24:25], s[4:5], s14, v8, v[10:11]
	v_mad_u64_u32 v[26:27], s[4:5], s14, v12, v[10:11]
	;; [unrolled: 1-line block ×7, first 2 shown]
	v_mov_b64_e32 v[10:11], s[18:19]
	v_mul_lo_u32 v9, s14, v9
	v_mul_lo_u32 v40, s15, v8
	v_mad_u64_u32 v[38:39], s[4:5], s14, v8, v[10:11]
	v_add3_u32 v25, v40, v25, v9
	v_mul_lo_u32 v13, s14, v13
	v_mul_lo_u32 v42, s15, v12
	v_add3_u32 v39, v40, v39, v9
	v_mad_u64_u32 v[40:41], s[4:5], s14, v12, v[10:11]
	v_add3_u32 v27, v42, v27, v13
	v_mul_lo_u32 v15, s14, v15
	v_mul_lo_u32 v44, s15, v14
	v_add3_u32 v41, v42, v41, v13
	;; [unrolled: 5-line block ×4, first 2 shown]
	v_mad_u64_u32 v[46:47], s[4:5], s14, v18, v[10:11]
	v_lshlrev_b32_e32 v22, 3, v88
	v_mov_b32_e32 v23, v2
	v_add3_u32 v33, v48, v33, v19
	v_mul_lo_u32 v21, s14, v21
	v_mul_lo_u32 v50, s15, v20
	v_add3_u32 v47, v48, v47, v19
	v_mad_u64_u32 v[48:49], s[4:5], s14, v20, v[10:11]
	v_lshl_add_u64 v[4:5], v[22:23], 0, s[10:11]
	v_add3_u32 v35, v50, v35, v21
	v_mul_lo_u32 v7, s14, v7
	v_mul_lo_u32 v8, s15, v6
	v_add3_u32 v49, v50, v49, v21
	v_mad_u64_u32 v[50:51], s[4:5], s14, v6, v[10:11]
	v_add3_u32 v37, v8, v37, v7
	v_add3_u32 v51, v8, v51, v7
	v_lshl_add_u64 v[6:7], v[4:5], 0, 7
	v_mul_lo_u32 v8, s15, v6
	v_mul_lo_u32 v9, s14, v7
	v_mad_u64_u32 v[6:7], s[4:5], s14, v6, 0
	v_add3_u32 v7, v7, v9, v8
	v_lshl_add_u64 v[8:9], v[4:5], 0, 6
	v_mul_lo_u32 v10, s15, v8
	v_mul_lo_u32 v11, s14, v9
	v_mad_u64_u32 v[8:9], s[4:5], s14, v8, 0
	;; [unrolled: 5-line block ×5, first 2 shown]
	v_add3_u32 v15, v15, v17, v16
	v_lshl_add_u64 v[16:17], v[4:5], 0, 2
	v_mul_lo_u32 v52, s14, v5
	v_mul_lo_u32 v5, s15, v16
	;; [unrolled: 1-line block ×3, first 2 shown]
	v_mad_u64_u32 v[16:17], s[4:5], s14, v16, 0
	v_add3_u32 v17, v17, v18, v5
	v_mov_b64_e32 v[18:19], s[14:15]
	v_mul_lo_u32 v3, s15, v4
	v_mad_u64_u32 v[18:19], s[4:5], s14, v4, v[18:19]
	v_mad_u64_u32 v[4:5], s[4:5], s14, v4, 0
	v_and_b32_e32 v1, 0x3ff, v0
	v_add3_u32 v5, v5, v52, v3
	v_add_u32_e32 v20, s3, v1
	s_load_dword s3, s[0:1], 0x44
	v_lshlrev_b64 v[4:5], 2, v[4:5]
	v_lshl_add_u64 v[54:55], s[16:17], 0, v[4:5]
	v_lshl_add_u64 v[56:57], s[18:19], 0, v[4:5]
	v_lshlrev_b64 v[4:5], 2, v[6:7]
	v_lshl_add_u64 v[58:59], s[16:17], 0, v[4:5]
	v_lshl_add_u64 v[60:61], s[18:19], 0, v[4:5]
	;; [unrolled: 3-line block ×3, first 2 shown]
	v_lshlrev_b64 v[4:5], 2, v[10:11]
	s_add_u32 s6, s0, 64
	v_lshl_add_u64 v[66:67], s[16:17], 0, v[4:5]
	v_lshl_add_u64 v[68:69], s[18:19], 0, v[4:5]
	v_lshlrev_b64 v[4:5], 2, v[12:13]
	v_add3_u32 v19, v3, v19, v52
	s_addc_u32 s7, s1, 0
	s_waitcnt lgkmcnt(0)
	s_lshl_b32 s4, s3, 3
	v_lshl_add_u64 v[70:71], s[16:17], 0, v[4:5]
	v_lshl_add_u64 v[72:73], s[18:19], 0, v[4:5]
	v_lshlrev_b64 v[4:5], 2, v[14:15]
	v_mbcnt_lo_u32_b32 v3, -1, 0
	s_mul_i32 s3, s15, s4
	s_mul_hi_u32 s9, s14, s4
	v_lshl_add_u64 v[74:75], s[16:17], 0, v[4:5]
	v_lshl_add_u64 v[76:77], s[18:19], 0, v[4:5]
	v_lshlrev_b64 v[4:5], 2, v[16:17]
	v_mbcnt_hi_u32_b32 v3, -1, v3
	v_mov_b32_e32 v21, v2
	s_add_i32 s25, s9, s3
	s_mul_i32 s24, s14, s4
	v_lshl_add_u64 v[78:79], s[16:17], 0, v[4:5]
	v_lshl_add_u64 v[80:81], s[18:19], 0, v[4:5]
	v_lshlrev_b64 v[4:5], 2, v[18:19]
	v_lshlrev_b32_e32 v3, 2, v3
	s_mov_b32 s5, 0
	v_lshlrev_b64 v[52:53], 2, v[20:21]
	s_lshl_b64 s[24:25], s[24:25], 2
	s_mov_b64 s[26:27], 7
	v_lshl_add_u64 v[82:83], s[16:17], 0, v[4:5]
	v_lshl_add_u64 v[84:85], s[18:19], 0, v[4:5]
	v_and_b32_e32 v89, 0x100, v3
	s_mov_b64 s[16:17], s[10:11]
	v_mov_b32_e32 v20, 0
	s_branch .LBB63_55
.LBB63_52:                              ;   in Loop: Header=BB63_55 Depth=1
	s_or_b64 exec, exec, s[28:29]
.LBB63_53:                              ;   in Loop: Header=BB63_55 Depth=1
	s_or_b64 exec, exec, s[18:19]
	v_lshl_add_u64 v[4:5], v[54:55], 0, v[52:53]
	global_load_dword v8, v[4:5], off
	v_lshl_add_u64 v[4:5], v[56:57], 0, v[52:53]
	global_load_dword v7, v[4:5], off
	;; [unrolled: 2-line block ×16, first 2 shown]
	s_waitcnt vmcnt(17)
	ds_bpermute_b32 v90, v89, v6
	ds_bpermute_b32 v92, v89, v6 offset:4
	s_waitcnt vmcnt(16)
	ds_bpermute_b32 v5, v89, v3
	ds_bpermute_b32 v94, v89, v6 offset:8
	ds_bpermute_b32 v96, v89, v6 offset:12
	;; [unrolled: 1-line block ×13, first 2 shown]
	s_waitcnt vmcnt(14) lgkmcnt(14)
	v_sub_f32_e32 v7, v7, v90
	v_mul_f32_e32 v7, v8, v7
	s_waitcnt vmcnt(12)
	v_sub_f32_e32 v9, v9, v92
	s_waitcnt vmcnt(10) lgkmcnt(12)
	v_sub_f32_e32 v11, v11, v94
	v_mul_f32_e32 v90, v12, v11
	s_waitcnt vmcnt(8) lgkmcnt(11)
	v_sub_f32_e32 v13, v13, v96
	v_mul_f32_e32 v92, v14, v13
	s_waitcnt vmcnt(7) lgkmcnt(10)
	v_sub_f32_e32 v15, v15, v98
	s_waitcnt lgkmcnt(5)
	v_mul_f32_e32 v13, v90, v93
	s_waitcnt vmcnt(6)
	v_sub_f32_e32 v17, v17, v100
	s_waitcnt vmcnt(5)
	v_sub_f32_e32 v19, v19, v102
	s_waitcnt vmcnt(4)
	v_sub_f32_e32 v6, v87, v6
	v_mul_f32_e32 v87, v10, v9
	v_mul_f32_e32 v9, v7, v5
	;; [unrolled: 1-line block ×3, first 2 shown]
	s_waitcnt vmcnt(3)
	v_mul_f32_e32 v94, v16, v15
	s_waitcnt lgkmcnt(4)
	v_mul_f32_e32 v15, v92, v95
	s_waitcnt vmcnt(2)
	v_mul_f32_e32 v96, v18, v17
	s_waitcnt lgkmcnt(3)
	v_mul_f32_e32 v17, v94, v97
	s_waitcnt vmcnt(0)
	v_mul_f32_e32 v100, v4, v6
	v_pk_add_f32 v[6:7], v[20:21], v[8:9]
	v_mul_f32_e32 v98, v86, v19
	v_pk_add_f32 v[6:7], v[6:7], v[10:11]
	s_waitcnt lgkmcnt(2)
	v_mul_f32_e32 v19, v96, v99
	v_pk_add_f32 v[6:7], v[6:7], v[12:13]
	s_waitcnt lgkmcnt(1)
	;; [unrolled: 3-line block ×3, first 2 shown]
	v_mul_f32_e32 v5, v100, v3
	v_pk_add_f32 v[6:7], v[6:7], v[16:17]
	s_nop 0
	v_pk_add_f32 v[6:7], v[6:7], v[18:19]
	s_nop 0
	v_pk_add_f32 v[6:7], v[6:7], v[86:87]
.LBB63_54:                              ;   in Loop: Header=BB63_55 Depth=1
	s_add_u32 s16, s16, s4
	v_pk_add_f32 v[20:21], v[6:7], v[4:5]
	s_addc_u32 s17, s17, 0
	v_mov_b64_e32 v[4:5], s[12:13]
	s_add_u32 s26, s26, s4
	v_cmp_ge_i64_e32 vcc, s[16:17], v[4:5]
	v_lshl_add_u64 v[54:55], v[54:55], 0, s[24:25]
	v_lshl_add_u64 v[56:57], v[56:57], 0, s[24:25]
	;; [unrolled: 1-line block ×31, first 2 shown]
	s_addc_u32 s27, 0, s27
	s_cbranch_vccnz .LBB63_81
.LBB63_55:                              ; =>This Inner Loop Header: Depth=1
	s_add_u32 s18, s10, s26
	s_addc_u32 s19, 0, s27
	v_mov_b64_e32 v[4:5], s[12:13]
	v_cmp_ge_i64_e32 vcc, s[18:19], v[4:5]
	v_lshl_add_u64 v[86:87], s[10:11], 0, v[22:23]
	s_mov_b64 s[18:19], -1
                                        ; implicit-def: $vgpr6_vgpr7
                                        ; implicit-def: $vgpr4_vgpr5
	s_cbranch_vccz .LBB63_77
; %bb.56:                               ;   in Loop: Header=BB63_55 Depth=1
	s_load_dword s3, s[6:7], 0xc
	v_mov_b32_e32 v90, 0
	v_mov_b32_e32 v91, 0
	s_waitcnt lgkmcnt(0)
	s_and_b32 s3, s3, 0xffff
	v_mad_u32_u24 v3, v88, s3, v1
	v_and_b32_e32 v4, 63, v3
	v_cmp_gt_u32_e32 vcc, 8, v4
	s_and_saveexec_b64 s[18:19], vcc
	s_cbranch_execz .LBB63_60
; %bb.57:                               ;   in Loop: Header=BB63_55 Depth=1
	v_mov_b32_e32 v5, v2
	v_lshl_add_u64 v[4:5], v[86:87], 0, v[4:5]
	v_cmp_gt_i64_e32 vcc, s[12:13], v[4:5]
	v_mov_b32_e32 v91, 0
	v_mov_b32_e32 v90, 0
	s_and_saveexec_b64 s[28:29], vcc
	s_cbranch_execz .LBB63_59
; %bb.58:                               ;   in Loop: Header=BB63_55 Depth=1
	v_lshlrev_b64 v[4:5], 2, v[4:5]
	v_lshl_add_u64 v[6:7], s[22:23], 0, v[4:5]
	v_lshl_add_u64 v[4:5], s[20:21], 0, v[4:5]
	global_load_dword v91, v[4:5], off
	global_load_dword v90, v[6:7], off
.LBB63_59:                              ;   in Loop: Header=BB63_55 Depth=1
	s_or_b64 exec, exec, s[28:29]
.LBB63_60:                              ;   in Loop: Header=BB63_55 Depth=1
	s_or_b64 exec, exec, s[18:19]
	v_mov_b32_e32 v8, v2
	v_mov_b32_e32 v9, v2
	;; [unrolled: 1-line block ×7, first 2 shown]
	v_mov_b64_e32 v[18:19], v[8:9]
	v_mov_b64_e32 v[16:17], v[6:7]
	;; [unrolled: 1-line block ×5, first 2 shown]
	v_cmp_gt_i64_e32 vcc, s[12:13], v[86:87]
	v_mov_b64_e32 v[8:9], v[6:7]
	v_mov_b64_e32 v[6:7], v[4:5]
	;; [unrolled: 1-line block ×3, first 2 shown]
	s_and_saveexec_b64 s[18:19], vcc
	s_cbranch_execz .LBB63_62
; %bb.61:                               ;   in Loop: Header=BB63_55 Depth=1
	v_lshl_add_u64 v[4:5], v[54:55], 0, v[52:53]
	v_lshl_add_u64 v[6:7], v[56:57], 0, v[52:53]
	global_load_dword v4, v[4:5], off
	v_mov_b32_e32 v5, v2
	global_load_dword v12, v[6:7], off
	v_mov_b32_e32 v6, v2
	v_mov_b32_e32 v7, v2
	;; [unrolled: 1-line block ×13, first 2 shown]
.LBB63_62:                              ;   in Loop: Header=BB63_55 Depth=1
	s_or_b64 exec, exec, s[18:19]
	v_lshl_add_u64 v[92:93], v[86:87], 0, 1
	v_cmp_gt_i64_e32 vcc, s[12:13], v[92:93]
	s_and_saveexec_b64 s[18:19], vcc
	s_cbranch_execz .LBB63_64
; %bb.63:                               ;   in Loop: Header=BB63_55 Depth=1
	v_lshl_add_u64 v[92:93], v[82:83], 0, v[52:53]
	global_load_dword v5, v[92:93], off
	v_lshl_add_u64 v[92:93], v[84:85], 0, v[52:53]
	global_load_dword v13, v[92:93], off
.LBB63_64:                              ;   in Loop: Header=BB63_55 Depth=1
	s_or_b64 exec, exec, s[18:19]
	v_lshl_add_u64 v[92:93], v[86:87], 0, 2
	v_cmp_gt_i64_e32 vcc, s[12:13], v[92:93]
	s_and_saveexec_b64 s[18:19], vcc
	s_cbranch_execz .LBB63_66
; %bb.65:                               ;   in Loop: Header=BB63_55 Depth=1
	v_lshl_add_u64 v[92:93], v[78:79], 0, v[52:53]
	global_load_dword v6, v[92:93], off
	v_lshl_add_u64 v[92:93], v[80:81], 0, v[52:53]
	global_load_dword v14, v[92:93], off
.LBB63_66:                              ;   in Loop: Header=BB63_55 Depth=1
	;; [unrolled: 11-line block ×7, first 2 shown]
	s_or_b64 exec, exec, s[18:19]
	s_waitcnt vmcnt(1)
	ds_bpermute_b32 v3, v89, v91
	ds_bpermute_b32 v92, v89, v91 offset:4
	s_waitcnt vmcnt(0)
	ds_bpermute_b32 v93, v89, v90
	ds_bpermute_b32 v94, v89, v90 offset:4
	v_mov_b32_e32 v96, v8
	s_waitcnt lgkmcnt(3)
	v_sub_f32_e32 v3, v12, v3
	v_mul_f32_e32 v3, v4, v3
	s_waitcnt lgkmcnt(2)
	v_sub_f32_e32 v12, v13, v92
	s_waitcnt lgkmcnt(1)
	v_mul_f32_e32 v13, v3, v93
	ds_bpermute_b32 v3, v89, v91 offset:8
	v_mul_f32_e32 v12, v5, v12
	s_waitcnt lgkmcnt(1)
	v_mul_f32_e32 v93, v12, v94
	ds_bpermute_b32 v12, v89, v90 offset:8
	ds_bpermute_b32 v92, v89, v91 offset:12
	s_waitcnt lgkmcnt(2)
	v_sub_f32_e32 v3, v14, v3
	ds_bpermute_b32 v14, v89, v90 offset:12
	v_mul_f32_e32 v3, v6, v3
	s_waitcnt lgkmcnt(2)
	v_mul_f32_e32 v95, v3, v12
	ds_bpermute_b32 v12, v89, v91 offset:16
	s_waitcnt lgkmcnt(2)
	v_sub_f32_e32 v3, v15, v92
	v_mul_f32_e32 v3, v7, v3
	s_waitcnt lgkmcnt(1)
	v_mul_f32_e32 v15, v3, v14
	ds_bpermute_b32 v3, v89, v90 offset:16
	ds_bpermute_b32 v14, v89, v91 offset:20
	s_waitcnt lgkmcnt(2)
	v_sub_f32_e32 v12, v16, v12
	ds_bpermute_b32 v16, v89, v90 offset:20
	v_mul_f32_e32 v12, v8, v12
	s_waitcnt lgkmcnt(2)
	v_mul_f32_e32 v97, v12, v3
	s_waitcnt lgkmcnt(1)
	v_sub_f32_e32 v3, v17, v14
	v_mul_f32_e32 v3, v9, v3
	s_waitcnt lgkmcnt(0)
	v_mul_f32_e32 v17, v3, v16
	ds_bpermute_b32 v3, v89, v91 offset:24
	v_mov_b32_e32 v94, v6
	ds_bpermute_b32 v6, v89, v90 offset:24
	v_mov_b32_e32 v12, v4
	v_pk_add_f32 v[12:13], v[20:21], v[12:13]
	v_mov_b32_e32 v92, v5
	v_pk_add_f32 v[4:5], v[92:93], v[12:13]
	s_waitcnt lgkmcnt(1)
	v_sub_f32_e32 v3, v18, v3
	ds_bpermute_b32 v8, v89, v91 offset:28
	v_pk_add_f32 v[4:5], v[94:95], v[4:5]
	v_mov_b32_e32 v14, v7
	v_mul_f32_e32 v3, v10, v3
	v_pk_add_f32 v[4:5], v[14:15], v[4:5]
	s_waitcnt lgkmcnt(1)
	v_mul_f32_e32 v7, v3, v6
	ds_bpermute_b32 v3, v89, v90 offset:28
	v_pk_add_f32 v[4:5], v[96:97], v[4:5]
	v_mov_b32_e32 v16, v9
	v_pk_add_f32 v[4:5], v[16:17], v[4:5]
	v_mov_b32_e32 v6, v10
	v_pk_add_f32 v[6:7], v[6:7], v[4:5]
	s_waitcnt lgkmcnt(1)
	v_sub_f32_e32 v4, v19, v8
	v_mul_f32_e32 v4, v11, v4
	s_waitcnt lgkmcnt(0)
	v_mul_f32_e32 v5, v4, v3
	v_mov_b32_e32 v4, v11
	s_mov_b64 s[18:19], 0
.LBB63_77:                              ;   in Loop: Header=BB63_55 Depth=1
	s_and_b64 vcc, exec, s[18:19]
	s_cbranch_vccz .LBB63_54
; %bb.78:                               ;   in Loop: Header=BB63_55 Depth=1
	s_load_dword s3, s[6:7], 0x0
	v_mov_b32_e32 v3, 0
	v_mov_b32_e32 v6, 0
	s_waitcnt lgkmcnt(0)
	s_cmp_lt_u32 s2, s3
	s_cselect_b32 s3, 12, 18
	s_add_u32 s18, s6, s3
	s_addc_u32 s19, s7, 0
	global_load_ushort v4, v2, s[18:19]
	s_waitcnt vmcnt(0)
	v_mad_u32_u24 v4, v88, v4, v1
	v_and_b32_e32 v4, 63, v4
	v_cmp_gt_u32_e32 vcc, 8, v4
	s_and_saveexec_b64 s[18:19], vcc
	s_cbranch_execz .LBB63_53
; %bb.79:                               ;   in Loop: Header=BB63_55 Depth=1
	v_mov_b32_e32 v5, v2
	v_lshl_add_u64 v[4:5], v[86:87], 0, v[4:5]
	v_cmp_gt_i64_e32 vcc, s[12:13], v[4:5]
	v_mov_b32_e32 v6, 0
	v_mov_b32_e32 v3, 0
	s_and_saveexec_b64 s[28:29], vcc
	s_cbranch_execz .LBB63_52
; %bb.80:                               ;   in Loop: Header=BB63_55 Depth=1
	v_lshlrev_b64 v[4:5], 2, v[4:5]
	v_lshl_add_u64 v[8:9], s[22:23], 0, v[4:5]
	v_lshl_add_u64 v[4:5], s[20:21], 0, v[4:5]
	global_load_dword v6, v[4:5], off
	global_load_dword v3, v[8:9], off
	s_branch .LBB63_52
.LBB63_81:
	s_mov_b32 s3, 0
	s_lshl_b64 s[2:3], s[2:3], 5
	v_and_b32_e32 v1, 0x3ff, v0
	v_or_b32_e32 v2, s2, v1
	v_mov_b32_e32 v3, s3
	v_cmp_gt_i64_e32 vcc, s[14:15], v[2:3]
	s_and_saveexec_b64 s[2:3], vcc
	s_cbranch_execz .LBB63_86
; %bb.82:
	s_load_dword s2, s[0:1], 0x4c
	s_load_dwordx4 s[4:7], s[0:1], 0x30
	v_bfe_u32 v0, v0, 10, 10
	v_mov_b32_e32 v1, 0
	v_mov_b32_e32 v4, s8
	s_waitcnt lgkmcnt(0)
	s_lshr_b32 s0, s2, 16
	v_mad_u64_u32 v[0:1], s[0:1], s0, v4, v[0:1]
	s_cmp_eq_u64 s[4:5], 0
	v_mul_lo_u32 v1, v1, s14
	v_mul_lo_u32 v4, v0, s15
	s_cbranch_scc1 .LBB63_84
; %bb.83:
	v_mad_u64_u32 v[6:7], s[0:1], v0, s14, 0
	v_add3_u32 v7, v7, v4, v1
	v_lshl_add_u64 v[6:7], v[6:7], 2, s[4:5]
	v_lshl_add_u64 v[6:7], v[2:3], 2, v[6:7]
	global_store_dword v[6:7], v21, off
.LBB63_84:
	s_cmp_eq_u64 s[6:7], 0
	s_cbranch_scc1 .LBB63_86
; %bb.85:
	v_mad_u64_u32 v[6:7], s[0:1], v0, s14, 0
	v_add3_u32 v7, v7, v4, v1
	v_lshl_add_u64 v[0:1], v[6:7], 2, s[6:7]
	v_lshl_add_u64 v[0:1], v[2:3], 2, v[0:1]
	global_store_dword v[0:1], v20, off
.LBB63_86:
	s_endpgm
	.section	.rodata,"a",@progbits
	.p2align	6, 0x0
	.amdhsa_kernel _ZN2at6native12_GLOBAL__N_135GammaBetaBackwardCUDAKernelTemplateIffLj32ELj1ELj8ELb1ELb0ELb0EEEvllPKT_S5_PKT0_S8_PS3_S9_
		.amdhsa_group_segment_fixed_size 0
		.amdhsa_private_segment_fixed_size 0
		.amdhsa_kernarg_size 320
		.amdhsa_user_sgpr_count 2
		.amdhsa_user_sgpr_dispatch_ptr 0
		.amdhsa_user_sgpr_queue_ptr 0
		.amdhsa_user_sgpr_kernarg_segment_ptr 1
		.amdhsa_user_sgpr_dispatch_id 0
		.amdhsa_user_sgpr_kernarg_preload_length 0
		.amdhsa_user_sgpr_kernarg_preload_offset 0
		.amdhsa_user_sgpr_private_segment_size 0
		.amdhsa_uses_dynamic_stack 0
		.amdhsa_enable_private_segment 0
		.amdhsa_system_sgpr_workgroup_id_x 1
		.amdhsa_system_sgpr_workgroup_id_y 1
		.amdhsa_system_sgpr_workgroup_id_z 0
		.amdhsa_system_sgpr_workgroup_info 0
		.amdhsa_system_vgpr_workitem_id 1
		.amdhsa_next_free_vgpr 103
		.amdhsa_next_free_sgpr 40
		.amdhsa_accum_offset 104
		.amdhsa_reserve_vcc 1
		.amdhsa_float_round_mode_32 0
		.amdhsa_float_round_mode_16_64 0
		.amdhsa_float_denorm_mode_32 3
		.amdhsa_float_denorm_mode_16_64 3
		.amdhsa_dx10_clamp 1
		.amdhsa_ieee_mode 1
		.amdhsa_fp16_overflow 0
		.amdhsa_tg_split 0
		.amdhsa_exception_fp_ieee_invalid_op 0
		.amdhsa_exception_fp_denorm_src 0
		.amdhsa_exception_fp_ieee_div_zero 0
		.amdhsa_exception_fp_ieee_overflow 0
		.amdhsa_exception_fp_ieee_underflow 0
		.amdhsa_exception_fp_ieee_inexact 0
		.amdhsa_exception_int_div_zero 0
	.end_amdhsa_kernel
	.section	.text._ZN2at6native12_GLOBAL__N_135GammaBetaBackwardCUDAKernelTemplateIffLj32ELj1ELj8ELb1ELb0ELb0EEEvllPKT_S5_PKT0_S8_PS3_S9_,"axG",@progbits,_ZN2at6native12_GLOBAL__N_135GammaBetaBackwardCUDAKernelTemplateIffLj32ELj1ELj8ELb1ELb0ELb0EEEvllPKT_S5_PKT0_S8_PS3_S9_,comdat
.Lfunc_end63:
	.size	_ZN2at6native12_GLOBAL__N_135GammaBetaBackwardCUDAKernelTemplateIffLj32ELj1ELj8ELb1ELb0ELb0EEEvllPKT_S5_PKT0_S8_PS3_S9_, .Lfunc_end63-_ZN2at6native12_GLOBAL__N_135GammaBetaBackwardCUDAKernelTemplateIffLj32ELj1ELj8ELb1ELb0ELb0EEEvllPKT_S5_PKT0_S8_PS3_S9_
                                        ; -- End function
	.set _ZN2at6native12_GLOBAL__N_135GammaBetaBackwardCUDAKernelTemplateIffLj32ELj1ELj8ELb1ELb0ELb0EEEvllPKT_S5_PKT0_S8_PS3_S9_.num_vgpr, 103
	.set _ZN2at6native12_GLOBAL__N_135GammaBetaBackwardCUDAKernelTemplateIffLj32ELj1ELj8ELb1ELb0ELb0EEEvllPKT_S5_PKT0_S8_PS3_S9_.num_agpr, 0
	.set _ZN2at6native12_GLOBAL__N_135GammaBetaBackwardCUDAKernelTemplateIffLj32ELj1ELj8ELb1ELb0ELb0EEEvllPKT_S5_PKT0_S8_PS3_S9_.numbered_sgpr, 40
	.set _ZN2at6native12_GLOBAL__N_135GammaBetaBackwardCUDAKernelTemplateIffLj32ELj1ELj8ELb1ELb0ELb0EEEvllPKT_S5_PKT0_S8_PS3_S9_.num_named_barrier, 0
	.set _ZN2at6native12_GLOBAL__N_135GammaBetaBackwardCUDAKernelTemplateIffLj32ELj1ELj8ELb1ELb0ELb0EEEvllPKT_S5_PKT0_S8_PS3_S9_.private_seg_size, 0
	.set _ZN2at6native12_GLOBAL__N_135GammaBetaBackwardCUDAKernelTemplateIffLj32ELj1ELj8ELb1ELb0ELb0EEEvllPKT_S5_PKT0_S8_PS3_S9_.uses_vcc, 1
	.set _ZN2at6native12_GLOBAL__N_135GammaBetaBackwardCUDAKernelTemplateIffLj32ELj1ELj8ELb1ELb0ELb0EEEvllPKT_S5_PKT0_S8_PS3_S9_.uses_flat_scratch, 0
	.set _ZN2at6native12_GLOBAL__N_135GammaBetaBackwardCUDAKernelTemplateIffLj32ELj1ELj8ELb1ELb0ELb0EEEvllPKT_S5_PKT0_S8_PS3_S9_.has_dyn_sized_stack, 0
	.set _ZN2at6native12_GLOBAL__N_135GammaBetaBackwardCUDAKernelTemplateIffLj32ELj1ELj8ELb1ELb0ELb0EEEvllPKT_S5_PKT0_S8_PS3_S9_.has_recursion, 0
	.set _ZN2at6native12_GLOBAL__N_135GammaBetaBackwardCUDAKernelTemplateIffLj32ELj1ELj8ELb1ELb0ELb0EEEvllPKT_S5_PKT0_S8_PS3_S9_.has_indirect_call, 0
	.section	.AMDGPU.csdata,"",@progbits
; Kernel info:
; codeLenInByte = 6576
; TotalNumSgprs: 46
; NumVgprs: 103
; NumAgprs: 0
; TotalNumVgprs: 103
; ScratchSize: 0
; MemoryBound: 0
; FloatMode: 240
; IeeeMode: 1
; LDSByteSize: 0 bytes/workgroup (compile time only)
; SGPRBlocks: 5
; VGPRBlocks: 12
; NumSGPRsForWavesPerEU: 46
; NumVGPRsForWavesPerEU: 103
; AccumOffset: 104
; Occupancy: 4
; WaveLimiterHint : 0
; COMPUTE_PGM_RSRC2:SCRATCH_EN: 0
; COMPUTE_PGM_RSRC2:USER_SGPR: 2
; COMPUTE_PGM_RSRC2:TRAP_HANDLER: 0
; COMPUTE_PGM_RSRC2:TGID_X_EN: 1
; COMPUTE_PGM_RSRC2:TGID_Y_EN: 1
; COMPUTE_PGM_RSRC2:TGID_Z_EN: 0
; COMPUTE_PGM_RSRC2:TIDIG_COMP_CNT: 1
; COMPUTE_PGM_RSRC3_GFX90A:ACCUM_OFFSET: 25
; COMPUTE_PGM_RSRC3_GFX90A:TG_SPLIT: 0
	.section	.text._ZN2at6native12_GLOBAL__N_135GammaBetaBackwardCUDAKernelTemplateIffLj32ELj8ELj64ELb0ELb1ELb0EEEvllPKT_S5_PKT0_S8_PS3_S9_,"axG",@progbits,_ZN2at6native12_GLOBAL__N_135GammaBetaBackwardCUDAKernelTemplateIffLj32ELj8ELj64ELb0ELb1ELb0EEEvllPKT_S5_PKT0_S8_PS3_S9_,comdat
	.globl	_ZN2at6native12_GLOBAL__N_135GammaBetaBackwardCUDAKernelTemplateIffLj32ELj8ELj64ELb0ELb1ELb0EEEvllPKT_S5_PKT0_S8_PS3_S9_ ; -- Begin function _ZN2at6native12_GLOBAL__N_135GammaBetaBackwardCUDAKernelTemplateIffLj32ELj8ELj64ELb0ELb1ELb0EEEvllPKT_S5_PKT0_S8_PS3_S9_
	.p2align	8
	.type	_ZN2at6native12_GLOBAL__N_135GammaBetaBackwardCUDAKernelTemplateIffLj32ELj8ELj64ELb0ELb1ELb0EEEvllPKT_S5_PKT0_S8_PS3_S9_,@function
_ZN2at6native12_GLOBAL__N_135GammaBetaBackwardCUDAKernelTemplateIffLj32ELj8ELj64ELb0ELb1ELb0EEEvllPKT_S5_PKT0_S8_PS3_S9_: ; @_ZN2at6native12_GLOBAL__N_135GammaBetaBackwardCUDAKernelTemplateIffLj32ELj8ELj64ELb0ELb1ELb0EEEvllPKT_S5_PKT0_S8_PS3_S9_
; %bb.0:
	s_load_dwordx4 s[16:19], s[0:1], 0x0
	s_lshl_b32 s20, s3, 6
	s_mov_b32 s21, 0
	v_mov_b64_e32 v[2:3], s[20:21]
	v_bfe_u32 v12, v0, 10, 10
	s_waitcnt lgkmcnt(0)
	v_cmp_gt_i64_e32 vcc, s[16:17], v[2:3]
	s_cbranch_vccnz .LBB64_2
; %bb.1:
	s_mov_b64 s[4:5], 0
	v_bfe_u32 v2, v0, 10, 10
	s_branch .LBB64_3
.LBB64_2:
	s_mov_b64 s[4:5], -1
                                        ; implicit-def: $vgpr2
.LBB64_3:
	s_load_dwordx4 s[12:15], s[0:1], 0x30
	v_mov_b32_e32 v1, 0
	v_and_b32_e32 v10, 0x3ff, v0
	s_andn2_b64 vcc, exec, s[4:5]
	v_mbcnt_lo_u32_b32 v11, -1, 0
	v_mov_b32_e32 v0, v1
	s_cbranch_vccnz .LBB64_11
; %bb.4:
	s_load_dword s3, s[0:1], 0x4c
	s_load_dword s22, s[0:1], 0x44
	s_load_dwordx8 s[4:11], s[0:1], 0x10
	v_lshlrev_b32_e32 v0, 3, v12
	v_mbcnt_hi_u32_b32 v4, -1, v11
	s_waitcnt lgkmcnt(0)
	s_and_b32 s0, s3, 0xffff
	v_mad_u32_u24 v1, v12, s0, v10
	v_and_b32_e32 v2, 63, v1
	v_mov_b32_e32 v1, 0
	v_mov_b32_e32 v3, v1
	v_lshl_add_u64 v[8:9], v[0:1], 0, s[20:21]
	v_cmp_gt_u32_e64 s[0:1], 8, v2
	s_lshl_b32 s22, s22, 6
	v_lshl_add_u64 v[2:3], v[8:9], 0, v[2:3]
	v_mul_lo_u32 v0, s19, v8
	v_mul_lo_u32 v21, s18, v9
	v_mad_u64_u32 v[8:9], s[26:27], s18, v8, 0
	v_lshl_add_u32 v6, s2, 5, v10
	v_mov_b32_e32 v7, v1
	v_lshlrev_b32_e32 v4, 2, v4
	s_mul_i32 s3, s19, s22
	s_mul_hi_u32 s26, s18, s22
	s_mov_b32 s23, 0
	v_and_b32_e32 v13, 0x100, v4
	v_add3_u32 v9, v9, v21, v0
	v_lshlrev_b64 v[6:7], 2, v[6:7]
	s_add_i32 s27, s26, s3
	s_mul_i32 s26, s18, s22
	v_or_b32_e32 v14, 4, v13
	v_or_b32_e32 v15, 8, v13
	v_or_b32_e32 v16, 12, v13
	v_or_b32_e32 v17, 16, v13
	v_or_b32_e32 v18, 20, v13
	v_or_b32_e32 v19, 24, v13
	v_or_b32_e32 v20, 28, v13
	v_lshlrev_b64 v[4:5], 2, v[2:3]
	s_lshl_b64 s[24:25], s[22:23], 2
	v_lshl_add_u64 v[6:7], v[8:9], 2, v[6:7]
	s_lshl_b64 s[26:27], s[26:27], 2
	s_lshl_b64 s[18:19], s[18:19], 2
	v_mov_b64_e32 v[8:9], s[16:17]
	v_mov_b32_e32 v0, v1
	s_branch .LBB64_7
.LBB64_5:                               ;   in Loop: Header=BB64_7 Depth=1
	s_or_b64 exec, exec, s[30:31]
.LBB64_6:                               ;   in Loop: Header=BB64_7 Depth=1
	s_or_b64 exec, exec, s[28:29]
	v_lshl_add_u64 v[26:27], s[6:7], 0, v[6:7]
	v_lshl_add_u64 v[24:25], s[4:5], 0, v[6:7]
	global_load_dword v28, v[26:27], off
	v_lshl_add_u64 v[26:27], v[26:27], 0, s[18:19]
	global_load_dword v23, v[24:25], off
	;; [unrolled: 2-line block ×5, first 2 shown]
	global_load_dword v31, v[24:25], off
	v_lshl_add_u64 v[26:27], v[26:27], 0, s[18:19]
	global_load_dword v34, v[26:27], off
	v_lshl_add_u64 v[24:25], v[24:25], 0, s[18:19]
	v_lshl_add_u64 v[26:27], v[26:27], 0, s[18:19]
	global_load_dword v33, v[24:25], off
	global_load_dword v36, v[26:27], off
	v_lshl_add_u64 v[24:25], v[24:25], 0, s[18:19]
	v_lshl_add_u64 v[26:27], v[26:27], 0, s[18:19]
	global_load_dword v35, v[24:25], off
	;; [unrolled: 4-line block ×4, first 2 shown]
	v_lshl_add_u64 v[24:25], v[24:25], 0, s[18:19]
	global_load_dword v26, v[26:27], off
	s_waitcnt vmcnt(16)
	ds_bpermute_b32 v27, v13, v21
	global_load_dword v25, v[24:25], off
	ds_bpermute_b32 v42, v14, v21
	s_waitcnt vmcnt(16)
	ds_bpermute_b32 v24, v13, v22
	ds_bpermute_b32 v44, v15, v21
	;; [unrolled: 1-line block ×14, first 2 shown]
	s_add_u32 s20, s20, s22
	s_addc_u32 s21, s21, 0
	v_cmp_lt_i64_e32 vcc, s[20:21], v[8:9]
	v_lshl_add_u64 v[4:5], v[4:5], 0, s[24:25]
	v_lshl_add_u64 v[2:3], v[2:3], 0, s[22:23]
	;; [unrolled: 1-line block ×3, first 2 shown]
	s_and_b64 vcc, exec, vcc
	s_waitcnt vmcnt(15) lgkmcnt(14)
	v_sub_f32_e32 v22, v28, v27
	s_waitcnt vmcnt(14)
	v_mul_f32_e32 v22, v23, v22
	s_waitcnt lgkmcnt(13)
	v_mul_f32_e32 v22, v22, v24
	s_waitcnt vmcnt(13)
	v_sub_f32_e32 v27, v30, v42
	v_pk_add_f32 v[0:1], v[0:1], v[22:23]
	s_waitcnt vmcnt(12)
	v_mul_f32_e32 v24, v29, v27
	s_waitcnt vmcnt(11) lgkmcnt(12)
	v_sub_f32_e32 v27, v32, v44
	s_waitcnt lgkmcnt(11)
	v_mul_f32_e32 v28, v24, v41
	s_waitcnt vmcnt(10)
	v_mul_f32_e32 v24, v31, v27
	s_waitcnt vmcnt(9) lgkmcnt(10)
	v_sub_f32_e32 v27, v34, v46
	s_waitcnt lgkmcnt(9)
	v_mul_f32_e32 v30, v24, v43
	v_pk_add_f32 v[0:1], v[0:1], v[28:29]
	s_waitcnt vmcnt(8)
	v_mul_f32_e32 v22, v33, v27
	s_waitcnt vmcnt(7) lgkmcnt(8)
	v_sub_f32_e32 v23, v36, v48
	s_waitcnt lgkmcnt(7)
	v_mul_f32_e32 v32, v22, v45
	v_pk_add_f32 v[0:1], v[0:1], v[30:31]
	s_waitcnt vmcnt(6)
	v_mul_f32_e32 v22, v35, v23
	s_waitcnt vmcnt(5) lgkmcnt(4)
	v_sub_f32_e32 v23, v38, v50
	v_mul_f32_e32 v34, v22, v47
	v_pk_add_f32 v[0:1], v[0:1], v[32:33]
	s_waitcnt vmcnt(4)
	v_mul_f32_e32 v22, v37, v23
	s_waitcnt vmcnt(3) lgkmcnt(1)
	v_sub_f32_e32 v23, v40, v52
	v_mul_f32_e32 v36, v22, v49
	v_pk_add_f32 v[0:1], v[0:1], v[34:35]
	s_waitcnt vmcnt(2)
	v_mul_f32_e32 v22, v39, v23
	v_mul_f32_e32 v38, v22, v51
	s_waitcnt vmcnt(1) lgkmcnt(0)
	v_sub_f32_e32 v21, v26, v21
	v_pk_add_f32 v[0:1], v[0:1], v[36:37]
	s_waitcnt vmcnt(0)
	v_mul_f32_e32 v21, v25, v21
	v_pk_add_f32 v[0:1], v[0:1], v[38:39]
	v_mul_f32_e32 v24, v21, v53
	v_pk_add_f32 v[0:1], v[0:1], v[24:25]
	s_cbranch_vccz .LBB64_10
.LBB64_7:                               ; =>This Inner Loop Header: Depth=1
	v_mov_b32_e32 v22, 0
	v_mov_b32_e32 v21, 0
	s_and_saveexec_b64 s[28:29], s[0:1]
	s_cbranch_execz .LBB64_6
; %bb.8:                                ;   in Loop: Header=BB64_7 Depth=1
	v_cmp_gt_i64_e32 vcc, s[16:17], v[2:3]
	v_mov_b32_e32 v21, 0
	v_mov_b32_e32 v22, 0
	s_and_saveexec_b64 s[30:31], vcc
	s_cbranch_execz .LBB64_5
; %bb.9:                                ;   in Loop: Header=BB64_7 Depth=1
	v_lshl_add_u64 v[26:27], s[8:9], 0, v[4:5]
	v_lshl_add_u64 v[24:25], s[10:11], 0, v[4:5]
	global_load_dword v21, v[26:27], off
	global_load_dword v22, v[24:25], off
	s_branch .LBB64_5
.LBB64_10:
	v_mov_b32_e32 v2, v12
.LBB64_11:
	v_mad_u32_u24 v3, v2, 33, v10
	v_sub_u32_e32 v7, v3, v2
	s_movk_i32 s0, 0x800
	v_lshl_add_u32 v4, v3, 2, 0
	v_cmp_gt_u32_e32 vcc, s0, v7
	ds_write_b32 v4, v0
	ds_write_b32 v4, v1 offset:1056
	s_waitcnt lgkmcnt(0)
	s_barrier
	s_and_saveexec_b64 s[0:1], vcc
	s_cbranch_execz .LBB64_75
; %bb.12:
	v_and_b32_e32 v1, 63, v7
	v_lshrrev_b32_e32 v0, 6, v7
	v_cmp_lt_u32_e64 s[4:5], 7, v1
	v_cmp_gt_u32_e64 s[6:7], 8, v1
	v_mul_u32_u24_e32 v6, 33, v1
                                        ; implicit-def: $vgpr2
	s_and_saveexec_b64 s[0:1], s[6:7]
	s_cbranch_execz .LBB64_14
; %bb.13:
	v_add_u32_e32 v1, v0, v6
	v_lshl_add_u32 v1, v1, 2, 0
	ds_read_b32 v3, v1
	ds_read_b32 v2, v1 offset:1056
.LBB64_14:
	s_or_b64 exec, exec, s[0:1]
	v_mbcnt_hi_u32_b32 v1, -1, v11
	v_and_b32_e32 v4, 64, v1
	v_add_u32_e32 v11, 64, v4
	v_xor_b32_e32 v4, 4, v1
	v_cmp_lt_i32_e32 vcc, v4, v11
	v_xor_b32_e32 v9, 2, v1
	v_cmp_eq_u32_e64 s[0:1], 0, v10
	v_cndmask_b32_e32 v4, v1, v4, vcc
	v_lshlrev_b32_e32 v8, 2, v4
	s_waitcnt lgkmcnt(1)
	ds_bpermute_b32 v5, v8, v3
	s_waitcnt lgkmcnt(1)
	ds_bpermute_b32 v4, v8, v2
	v_cmp_lt_i32_e32 vcc, v9, v11
	v_xor_b32_e32 v10, 1, v1
	s_mov_b32 s3, 0
	v_cndmask_b32_e32 v9, v1, v9, vcc
	v_lshlrev_b32_e32 v9, 2, v9
	s_waitcnt lgkmcnt(0)
	v_pk_add_f32 v[2:3], v[2:3], v[4:5]
	ds_bpermute_b32 v5, v9, v3
	ds_bpermute_b32 v4, v9, v2
	v_cmp_lt_i32_e32 vcc, v10, v11
	s_lshl_b64 s[2:3], s[2:3], 5
	s_cmp_lg_u64 s[12:13], 0
	v_cndmask_b32_e32 v1, v1, v10, vcc
	v_lshlrev_b32_e32 v10, 2, v1
	s_waitcnt lgkmcnt(0)
	v_pk_add_f32 v[2:3], v[2:3], v[4:5]
	ds_bpermute_b32 v5, v10, v3
	ds_bpermute_b32 v4, v10, v2
	s_cselect_b64 s[10:11], -1, 0
	s_cmp_lg_u64 s[14:15], 0
	s_cselect_b64 s[8:9], -1, 0
	v_mov_b32_e32 v1, 0
	s_waitcnt lgkmcnt(0)
	v_pk_add_f32 v[2:3], v[2:3], v[4:5]
	s_and_saveexec_b64 s[16:17], s[0:1]
	s_cbranch_execz .LBB64_19
; %bb.15:
	v_mov_b32_e32 v5, s3
	s_andn2_b64 vcc, exec, s[10:11]
	v_or_b32_e32 v4, s2, v0
	s_cbranch_vccnz .LBB64_17
; %bb.16:
	v_lshl_add_u64 v[12:13], v[4:5], 2, s[12:13]
	global_store_dword v[12:13], v3, off
.LBB64_17:
	s_andn2_b64 vcc, exec, s[8:9]
	s_cbranch_vccnz .LBB64_19
; %bb.18:
	v_lshl_add_u64 v[4:5], v[4:5], 2, s[14:15]
	global_store_dword v[4:5], v2, off
.LBB64_19:
	s_or_b64 exec, exec, s[16:17]
	s_movk_i32 s16, 0x700
	v_cmp_gt_u32_e32 vcc, s16, v7
	s_and_b64 exec, exec, vcc
	s_cbranch_execz .LBB64_75
; %bb.20:
	s_and_saveexec_b64 s[16:17], s[4:5]
	s_xor_b64 s[16:17], exec, s[16:17]
	s_andn2_saveexec_b64 s[16:17], s[16:17]
	s_cbranch_execz .LBB64_22
; %bb.21:
	v_add_u32_e32 v2, v0, v6
	v_lshl_add_u32 v2, v2, 2, 0
	ds_read_b32 v3, v2 offset:16
	ds_read_b32 v2, v2 offset:1072
.LBB64_22:
	s_or_b64 exec, exec, s[16:17]
	s_waitcnt lgkmcnt(1)
	ds_bpermute_b32 v5, v8, v3
	s_waitcnt lgkmcnt(1)
	ds_bpermute_b32 v4, v8, v2
	s_waitcnt lgkmcnt(0)
	v_pk_add_f32 v[2:3], v[2:3], v[4:5]
	ds_bpermute_b32 v5, v9, v3
	ds_bpermute_b32 v4, v9, v2
	s_waitcnt lgkmcnt(0)
	v_pk_add_f32 v[2:3], v[2:3], v[4:5]
	ds_bpermute_b32 v5, v10, v3
	ds_bpermute_b32 v4, v10, v2
	s_waitcnt lgkmcnt(0)
	v_pk_add_f32 v[2:3], v[2:3], v[4:5]
	s_and_saveexec_b64 s[16:17], s[0:1]
	s_cbranch_execz .LBB64_27
; %bb.23:
	s_andn2_b64 vcc, exec, s[10:11]
	s_cbranch_vccnz .LBB64_25
; %bb.24:
	v_lshl_add_u64 v[4:5], s[2:3], 0, v[0:1]
	v_lshl_add_u64 v[4:5], v[4:5], 2, s[12:13]
	global_store_dword v[4:5], v3, off offset:16
.LBB64_25:
	s_andn2_b64 vcc, exec, s[8:9]
	s_cbranch_vccnz .LBB64_27
; %bb.26:
	v_lshl_add_u64 v[4:5], s[2:3], 0, v[0:1]
	v_lshl_add_u64 v[4:5], v[4:5], 2, s[14:15]
	global_store_dword v[4:5], v2, off offset:16
.LBB64_27:
	s_or_b64 exec, exec, s[16:17]
	s_movk_i32 s16, 0x600
	v_cmp_gt_u32_e32 vcc, s16, v7
	s_and_b64 exec, exec, vcc
	s_cbranch_execz .LBB64_75
; %bb.28:
	s_and_saveexec_b64 s[16:17], s[4:5]
	s_xor_b64 s[16:17], exec, s[16:17]
	s_andn2_saveexec_b64 s[16:17], s[16:17]
	s_cbranch_execz .LBB64_30
; %bb.29:
	v_add_u32_e32 v2, v0, v6
	v_lshl_add_u32 v2, v2, 2, 0
	ds_read_b32 v3, v2 offset:32
	ds_read_b32 v2, v2 offset:1088
.LBB64_30:
	s_or_b64 exec, exec, s[16:17]
	s_waitcnt lgkmcnt(1)
	ds_bpermute_b32 v5, v8, v3
	s_waitcnt lgkmcnt(1)
	ds_bpermute_b32 v4, v8, v2
	s_waitcnt lgkmcnt(0)
	v_pk_add_f32 v[2:3], v[2:3], v[4:5]
	ds_bpermute_b32 v5, v9, v3
	ds_bpermute_b32 v4, v9, v2
	s_waitcnt lgkmcnt(0)
	v_pk_add_f32 v[2:3], v[2:3], v[4:5]
	ds_bpermute_b32 v5, v10, v3
	ds_bpermute_b32 v4, v10, v2
	s_waitcnt lgkmcnt(0)
	v_pk_add_f32 v[2:3], v[2:3], v[4:5]
	s_and_saveexec_b64 s[16:17], s[0:1]
	s_cbranch_execz .LBB64_35
; %bb.31:
	s_andn2_b64 vcc, exec, s[10:11]
	s_cbranch_vccnz .LBB64_33
; %bb.32:
	v_lshl_add_u64 v[4:5], s[2:3], 0, v[0:1]
	v_lshl_add_u64 v[4:5], v[4:5], 2, s[12:13]
	global_store_dword v[4:5], v3, off offset:32
.LBB64_33:
	s_andn2_b64 vcc, exec, s[8:9]
	s_cbranch_vccnz .LBB64_35
; %bb.34:
	v_lshl_add_u64 v[4:5], s[2:3], 0, v[0:1]
	v_lshl_add_u64 v[4:5], v[4:5], 2, s[14:15]
	global_store_dword v[4:5], v2, off offset:32
.LBB64_35:
	;; [unrolled: 48-line block ×6, first 2 shown]
	s_or_b64 exec, exec, s[4:5]
	s_movk_i32 s4, 0x100
	v_cmp_gt_u32_e32 vcc, s4, v7
	s_and_b64 exec, exec, vcc
	s_cbranch_execz .LBB64_75
; %bb.68:
	s_and_saveexec_b64 s[4:5], s[6:7]
	s_cbranch_execz .LBB64_70
; %bb.69:
	v_add_u32_e32 v2, v0, v6
	v_lshl_add_u32 v2, v2, 2, 0
	ds_read_b32 v3, v2 offset:112
	ds_read_b32 v2, v2 offset:1168
.LBB64_70:
	s_or_b64 exec, exec, s[4:5]
	s_waitcnt lgkmcnt(1)
	ds_bpermute_b32 v4, v8, v3
	s_waitcnt lgkmcnt(1)
	ds_bpermute_b32 v5, v8, v2
	s_waitcnt lgkmcnt(1)
	v_add_f32_e32 v3, v3, v4
	s_waitcnt lgkmcnt(0)
	v_add_f32_e32 v2, v2, v5
	ds_bpermute_b32 v4, v9, v3
	ds_bpermute_b32 v5, v9, v2
	s_waitcnt lgkmcnt(1)
	v_add_f32_e32 v4, v3, v4
	s_waitcnt lgkmcnt(0)
	v_add_f32_e32 v2, v2, v5
	ds_bpermute_b32 v5, v10, v4
	ds_bpermute_b32 v3, v10, v2
	s_and_b64 exec, exec, s[0:1]
	s_cbranch_execz .LBB64_75
; %bb.71:
	s_andn2_b64 vcc, exec, s[10:11]
	v_lshl_add_u64 v[0:1], s[2:3], 0, v[0:1]
	s_cbranch_vccnz .LBB64_73
; %bb.72:
	s_waitcnt lgkmcnt(1)
	v_add_f32_e32 v6, v4, v5
	v_lshl_add_u64 v[4:5], v[0:1], 2, s[12:13]
	global_store_dword v[4:5], v6, off offset:112
.LBB64_73:
	s_andn2_b64 vcc, exec, s[8:9]
	s_cbranch_vccnz .LBB64_75
; %bb.74:
	s_waitcnt lgkmcnt(0)
	v_add_f32_e32 v2, v2, v3
	v_lshl_add_u64 v[0:1], v[0:1], 2, s[14:15]
	global_store_dword v[0:1], v2, off offset:112
.LBB64_75:
	s_endpgm
	.section	.rodata,"a",@progbits
	.p2align	6, 0x0
	.amdhsa_kernel _ZN2at6native12_GLOBAL__N_135GammaBetaBackwardCUDAKernelTemplateIffLj32ELj8ELj64ELb0ELb1ELb0EEEvllPKT_S5_PKT0_S8_PS3_S9_
		.amdhsa_group_segment_fixed_size 0
		.amdhsa_private_segment_fixed_size 0
		.amdhsa_kernarg_size 320
		.amdhsa_user_sgpr_count 2
		.amdhsa_user_sgpr_dispatch_ptr 0
		.amdhsa_user_sgpr_queue_ptr 0
		.amdhsa_user_sgpr_kernarg_segment_ptr 1
		.amdhsa_user_sgpr_dispatch_id 0
		.amdhsa_user_sgpr_kernarg_preload_length 0
		.amdhsa_user_sgpr_kernarg_preload_offset 0
		.amdhsa_user_sgpr_private_segment_size 0
		.amdhsa_uses_dynamic_stack 0
		.amdhsa_enable_private_segment 0
		.amdhsa_system_sgpr_workgroup_id_x 1
		.amdhsa_system_sgpr_workgroup_id_y 1
		.amdhsa_system_sgpr_workgroup_id_z 0
		.amdhsa_system_sgpr_workgroup_info 0
		.amdhsa_system_vgpr_workitem_id 1
		.amdhsa_next_free_vgpr 54
		.amdhsa_next_free_sgpr 32
		.amdhsa_accum_offset 56
		.amdhsa_reserve_vcc 1
		.amdhsa_float_round_mode_32 0
		.amdhsa_float_round_mode_16_64 0
		.amdhsa_float_denorm_mode_32 3
		.amdhsa_float_denorm_mode_16_64 3
		.amdhsa_dx10_clamp 1
		.amdhsa_ieee_mode 1
		.amdhsa_fp16_overflow 0
		.amdhsa_tg_split 0
		.amdhsa_exception_fp_ieee_invalid_op 0
		.amdhsa_exception_fp_denorm_src 0
		.amdhsa_exception_fp_ieee_div_zero 0
		.amdhsa_exception_fp_ieee_overflow 0
		.amdhsa_exception_fp_ieee_underflow 0
		.amdhsa_exception_fp_ieee_inexact 0
		.amdhsa_exception_int_div_zero 0
	.end_amdhsa_kernel
	.section	.text._ZN2at6native12_GLOBAL__N_135GammaBetaBackwardCUDAKernelTemplateIffLj32ELj8ELj64ELb0ELb1ELb0EEEvllPKT_S5_PKT0_S8_PS3_S9_,"axG",@progbits,_ZN2at6native12_GLOBAL__N_135GammaBetaBackwardCUDAKernelTemplateIffLj32ELj8ELj64ELb0ELb1ELb0EEEvllPKT_S5_PKT0_S8_PS3_S9_,comdat
.Lfunc_end64:
	.size	_ZN2at6native12_GLOBAL__N_135GammaBetaBackwardCUDAKernelTemplateIffLj32ELj8ELj64ELb0ELb1ELb0EEEvllPKT_S5_PKT0_S8_PS3_S9_, .Lfunc_end64-_ZN2at6native12_GLOBAL__N_135GammaBetaBackwardCUDAKernelTemplateIffLj32ELj8ELj64ELb0ELb1ELb0EEEvllPKT_S5_PKT0_S8_PS3_S9_
                                        ; -- End function
	.set _ZN2at6native12_GLOBAL__N_135GammaBetaBackwardCUDAKernelTemplateIffLj32ELj8ELj64ELb0ELb1ELb0EEEvllPKT_S5_PKT0_S8_PS3_S9_.num_vgpr, 54
	.set _ZN2at6native12_GLOBAL__N_135GammaBetaBackwardCUDAKernelTemplateIffLj32ELj8ELj64ELb0ELb1ELb0EEEvllPKT_S5_PKT0_S8_PS3_S9_.num_agpr, 0
	.set _ZN2at6native12_GLOBAL__N_135GammaBetaBackwardCUDAKernelTemplateIffLj32ELj8ELj64ELb0ELb1ELb0EEEvllPKT_S5_PKT0_S8_PS3_S9_.numbered_sgpr, 32
	.set _ZN2at6native12_GLOBAL__N_135GammaBetaBackwardCUDAKernelTemplateIffLj32ELj8ELj64ELb0ELb1ELb0EEEvllPKT_S5_PKT0_S8_PS3_S9_.num_named_barrier, 0
	.set _ZN2at6native12_GLOBAL__N_135GammaBetaBackwardCUDAKernelTemplateIffLj32ELj8ELj64ELb0ELb1ELb0EEEvllPKT_S5_PKT0_S8_PS3_S9_.private_seg_size, 0
	.set _ZN2at6native12_GLOBAL__N_135GammaBetaBackwardCUDAKernelTemplateIffLj32ELj8ELj64ELb0ELb1ELb0EEEvllPKT_S5_PKT0_S8_PS3_S9_.uses_vcc, 1
	.set _ZN2at6native12_GLOBAL__N_135GammaBetaBackwardCUDAKernelTemplateIffLj32ELj8ELj64ELb0ELb1ELb0EEEvllPKT_S5_PKT0_S8_PS3_S9_.uses_flat_scratch, 0
	.set _ZN2at6native12_GLOBAL__N_135GammaBetaBackwardCUDAKernelTemplateIffLj32ELj8ELj64ELb0ELb1ELb0EEEvllPKT_S5_PKT0_S8_PS3_S9_.has_dyn_sized_stack, 0
	.set _ZN2at6native12_GLOBAL__N_135GammaBetaBackwardCUDAKernelTemplateIffLj32ELj8ELj64ELb0ELb1ELb0EEEvllPKT_S5_PKT0_S8_PS3_S9_.has_recursion, 0
	.set _ZN2at6native12_GLOBAL__N_135GammaBetaBackwardCUDAKernelTemplateIffLj32ELj8ELj64ELb0ELb1ELb0EEEvllPKT_S5_PKT0_S8_PS3_S9_.has_indirect_call, 0
	.section	.AMDGPU.csdata,"",@progbits
; Kernel info:
; codeLenInByte = 3116
; TotalNumSgprs: 38
; NumVgprs: 54
; NumAgprs: 0
; TotalNumVgprs: 54
; ScratchSize: 0
; MemoryBound: 0
; FloatMode: 240
; IeeeMode: 1
; LDSByteSize: 0 bytes/workgroup (compile time only)
; SGPRBlocks: 4
; VGPRBlocks: 6
; NumSGPRsForWavesPerEU: 38
; NumVGPRsForWavesPerEU: 54
; AccumOffset: 56
; Occupancy: 8
; WaveLimiterHint : 0
; COMPUTE_PGM_RSRC2:SCRATCH_EN: 0
; COMPUTE_PGM_RSRC2:USER_SGPR: 2
; COMPUTE_PGM_RSRC2:TRAP_HANDLER: 0
; COMPUTE_PGM_RSRC2:TGID_X_EN: 1
; COMPUTE_PGM_RSRC2:TGID_Y_EN: 1
; COMPUTE_PGM_RSRC2:TGID_Z_EN: 0
; COMPUTE_PGM_RSRC2:TIDIG_COMP_CNT: 1
; COMPUTE_PGM_RSRC3_GFX90A:ACCUM_OFFSET: 13
; COMPUTE_PGM_RSRC3_GFX90A:TG_SPLIT: 0
	.section	.text._ZN2at6native12_GLOBAL__N_135GammaBetaBackwardCUDAKernelTemplateIffLj32ELj8ELj64ELb0ELb0ELb0EEEvllPKT_S5_PKT0_S8_PS3_S9_,"axG",@progbits,_ZN2at6native12_GLOBAL__N_135GammaBetaBackwardCUDAKernelTemplateIffLj32ELj8ELj64ELb0ELb0ELb0EEEvllPKT_S5_PKT0_S8_PS3_S9_,comdat
	.globl	_ZN2at6native12_GLOBAL__N_135GammaBetaBackwardCUDAKernelTemplateIffLj32ELj8ELj64ELb0ELb0ELb0EEEvllPKT_S5_PKT0_S8_PS3_S9_ ; -- Begin function _ZN2at6native12_GLOBAL__N_135GammaBetaBackwardCUDAKernelTemplateIffLj32ELj8ELj64ELb0ELb0ELb0EEEvllPKT_S5_PKT0_S8_PS3_S9_
	.p2align	8
	.type	_ZN2at6native12_GLOBAL__N_135GammaBetaBackwardCUDAKernelTemplateIffLj32ELj8ELj64ELb0ELb0ELb0EEEvllPKT_S5_PKT0_S8_PS3_S9_,@function
_ZN2at6native12_GLOBAL__N_135GammaBetaBackwardCUDAKernelTemplateIffLj32ELj8ELj64ELb0ELb0ELb0EEEvllPKT_S5_PKT0_S8_PS3_S9_: ; @_ZN2at6native12_GLOBAL__N_135GammaBetaBackwardCUDAKernelTemplateIffLj32ELj8ELj64ELb0ELb0ELb0EEEvllPKT_S5_PKT0_S8_PS3_S9_
; %bb.0:
	s_load_dwordx8 s[8:15], s[0:1], 0x0
	s_load_dwordx4 s[16:19], s[0:1], 0x20
	s_lshl_b32 s33, s2, 5
	s_mov_b32 s21, 0
	s_lshl_b32 s20, s3, 6
	s_or_b32 s4, s33, 31
	v_mov_b64_e32 v[2:3], s[20:21]
	v_mov_b32_e32 v20, s4
	v_mov_b32_e32 v21, 0
	s_waitcnt lgkmcnt(0)
	v_cmp_gt_i64_e64 s[4:5], s[8:9], v[2:3]
	v_cmp_le_i64_e32 vcc, s[10:11], v[20:21]
	s_nop 0
	v_cndmask_b32_e64 v1, 0, 1, s[4:5]
	v_cmp_ne_u32_e64 s[4:5], 1, v1
	s_cbranch_vccz .LBB65_48
; %bb.1:
	s_and_b64 vcc, exec, s[4:5]
	v_mov_b32_e32 v20, 0
	s_cbranch_vccnz .LBB65_49
; %bb.2:
	v_and_b32_e32 v1, 0x3ff, v0
	v_mov_b32_e32 v2, 0
	v_bfe_u32 v62, v0, 10, 10
	v_add_u32_e32 v4, s33, v1
	v_mov_b32_e32 v5, v2
	v_lshlrev_b32_e32 v22, 3, v62
	v_mov_b32_e32 v23, v2
	v_cmp_gt_i64_e64 s[6:7], s[10:11], v[4:5]
	v_lshlrev_b64 v[24:25], 2, v[4:5]
	v_lshl_add_u64 v[4:5], v[22:23], 0, s[20:21]
	v_mul_lo_u32 v3, s11, v4
	v_mul_lo_u32 v8, s10, v5
	v_mad_u64_u32 v[6:7], s[24:25], s10, v4, 0
	v_add3_u32 v7, v7, v8, v3
	v_lshlrev_b64 v[6:7], 2, v[6:7]
	v_lshl_add_u64 v[26:27], s[12:13], 0, v[6:7]
	v_lshl_add_u64 v[28:29], s[14:15], 0, v[6:7]
	v_lshl_add_u64 v[6:7], v[4:5], 0, 7
	v_mul_lo_u32 v9, s11, v6
	v_mul_lo_u32 v10, s10, v7
	v_mad_u64_u32 v[6:7], s[26:27], s10, v6, 0
	v_add3_u32 v7, v7, v10, v9
	v_lshlrev_b64 v[6:7], 2, v[6:7]
	v_lshl_add_u64 v[30:31], s[12:13], 0, v[6:7]
	v_lshl_add_u64 v[32:33], s[14:15], 0, v[6:7]
	;; [unrolled: 8-line block ×5, first 2 shown]
	v_lshl_add_u64 v[6:7], v[4:5], 0, 3
	v_mul_lo_u32 v9, s11, v6
	v_mul_lo_u32 v10, s10, v7
	v_mad_u64_u32 v[6:7], s[26:27], s10, v6, 0
	v_add3_u32 v7, v7, v10, v9
	s_load_dword s3, s[0:1], 0x44
	v_lshlrev_b64 v[6:7], 2, v[6:7]
	v_lshl_add_u64 v[46:47], s[12:13], 0, v[6:7]
	v_lshl_add_u64 v[48:49], s[14:15], 0, v[6:7]
	;; [unrolled: 1-line block ×3, first 2 shown]
	v_mul_lo_u32 v5, s11, v6
	v_mul_lo_u32 v9, s10, v7
	v_mad_u64_u32 v[6:7], s[26:27], s10, v6, 0
	v_add3_u32 v7, v7, v9, v5
	s_add_u32 s22, s0, 64
	v_lshlrev_b64 v[6:7], 2, v[6:7]
	s_addc_u32 s23, s1, 0
	s_waitcnt lgkmcnt(0)
	s_lshl_b32 s3, s3, 6
	v_lshl_add_u64 v[50:51], s[12:13], 0, v[6:7]
	v_lshl_add_u64 v[52:53], s[14:15], 0, v[6:7]
	v_mov_b64_e32 v[6:7], s[10:11]
	s_mul_i32 s24, s11, s3
	s_mul_hi_u32 s25, s10, s3
	v_mad_u64_u32 v[4:5], s[26:27], s10, v4, v[6:7]
	s_add_i32 s25, s25, s24
	s_mul_i32 s24, s10, s3
	v_add3_u32 v5, v3, v5, v8
	v_mbcnt_lo_u32_b32 v3, -1, 0
	s_lshl_b64 s[24:25], s[24:25], 2
	v_mbcnt_hi_u32_b32 v3, -1, v3
	v_lshlrev_b64 v[4:5], 2, v[4:5]
	s_add_u32 s26, s20, 63
	s_movk_i32 s28, 0xffc1
	s_movk_i32 s30, 0xffc2
	;; [unrolled: 1-line block ×8, first 2 shown]
	v_lshlrev_b32_e32 v3, 2, v3
	v_lshl_add_u64 v[54:55], s[12:13], 0, v[4:5]
	v_lshl_add_u64 v[56:57], s[14:15], 0, v[4:5]
	s_addc_u32 s27, 0, 0
	s_mov_b32 s29, -1
	s_mov_b32 s31, -1
	;; [unrolled: 1-line block ×8, first 2 shown]
	v_and_b32_e32 v63, 0x100, v3
	s_mov_b64 s[46:47], s[20:21]
	v_mov_b32_e32 v20, 0
	v_mov_b32_e32 v21, v2
	s_branch .LBB65_5
.LBB65_3:                               ;   in Loop: Header=BB65_5 Depth=1
	s_or_b64 exec, exec, s[48:49]
	s_waitcnt vmcnt(1)
	ds_bpermute_b32 v3, v63, v61
	ds_bpermute_b32 v58, v63, v61 offset:4
	s_waitcnt vmcnt(0)
	ds_bpermute_b32 v59, v63, v60
	ds_bpermute_b32 v64, v63, v60 offset:4
	v_mov_b32_e32 v65, v7
	s_waitcnt lgkmcnt(3)
	v_sub_f32_e32 v3, v12, v3
	v_mul_f32_e32 v3, v4, v3
	s_waitcnt lgkmcnt(2)
	v_sub_f32_e32 v13, v13, v58
	s_waitcnt lgkmcnt(1)
	v_mul_f32_e32 v12, v3, v59
	ds_bpermute_b32 v3, v63, v61 offset:8
	v_mul_f32_e32 v13, v5, v13
	s_waitcnt lgkmcnt(1)
	v_mul_f32_e32 v58, v13, v64
	ds_bpermute_b32 v13, v63, v60 offset:8
	ds_bpermute_b32 v59, v63, v61 offset:12
	;; [unrolled: 1-line block ×3, first 2 shown]
	s_waitcnt lgkmcnt(3)
	v_sub_f32_e32 v3, v14, v3
	v_mul_f32_e32 v3, v6, v3
	s_waitcnt lgkmcnt(2)
	v_mul_f32_e32 v14, v3, v13
	s_waitcnt lgkmcnt(1)
	v_sub_f32_e32 v3, v15, v59
	ds_bpermute_b32 v13, v63, v61 offset:16
	v_mul_f32_e32 v3, v7, v3
	s_waitcnt lgkmcnt(1)
	v_mul_f32_e32 v64, v3, v64
	ds_bpermute_b32 v3, v63, v60 offset:16
	ds_bpermute_b32 v15, v63, v61 offset:20
	;; [unrolled: 1-line block ×3, first 2 shown]
	s_waitcnt lgkmcnt(3)
	v_sub_f32_e32 v13, v16, v13
	v_mul_f32_e32 v13, v8, v13
	s_waitcnt lgkmcnt(2)
	v_mul_f32_e32 v16, v13, v3
	s_waitcnt lgkmcnt(1)
	v_sub_f32_e32 v3, v17, v15
	v_mul_f32_e32 v3, v9, v3
	v_mov_b32_e32 v13, v4
	s_waitcnt lgkmcnt(0)
	v_mul_f32_e32 v66, v3, v59
	v_pk_add_f32 v[12:13], v[20:21], v[12:13]
	v_mov_b32_e32 v59, v5
	v_pk_add_f32 v[4:5], v[58:59], v[12:13]
	v_mov_b32_e32 v15, v6
	v_pk_add_f32 v[4:5], v[14:15], v[4:5]
	ds_bpermute_b32 v3, v63, v61 offset:24
	v_pk_add_f32 v[4:5], v[64:65], v[4:5]
	v_mov_b32_e32 v17, v8
	v_pk_add_f32 v[4:5], v[16:17], v[4:5]
	v_mov_b32_e32 v67, v9
	v_pk_add_f32 v[6:7], v[66:67], v[4:5]
	ds_bpermute_b32 v5, v63, v60 offset:24
	s_waitcnt lgkmcnt(1)
	v_sub_f32_e32 v8, v18, v3
	ds_bpermute_b32 v3, v63, v60 offset:28
	ds_bpermute_b32 v4, v63, v61 offset:28
	v_mul_f32_e32 v8, v10, v8
	s_waitcnt lgkmcnt(2)
	v_mul_f32_e32 v8, v8, v5
	v_mov_b32_e32 v9, v10
	v_pk_add_f32 v[60:61], v[8:9], v[6:7]
.LBB65_4:                               ;   in Loop: Header=BB65_5 Depth=1
	s_waitcnt lgkmcnt(0)
	v_sub_f32_e32 v4, v19, v4
	v_mul_f32_e32 v4, v11, v4
	s_add_u32 s46, s46, s3
	v_mul_f32_e32 v10, v4, v3
	s_addc_u32 s47, s47, 0
	v_mov_b64_e32 v[4:5], s[8:9]
	s_add_u32 s26, s26, s3
	v_cmp_lt_i64_e32 vcc, s[46:47], v[4:5]
	v_pk_add_f32 v[20:21], v[60:61], v[10:11]
	v_lshl_add_u64 v[26:27], v[26:27], 0, s[24:25]
	v_lshl_add_u64 v[28:29], v[28:29], 0, s[24:25]
	v_lshl_add_u64 v[30:31], v[30:31], 0, s[24:25]
	v_lshl_add_u64 v[32:33], v[32:33], 0, s[24:25]
	v_lshl_add_u64 v[34:35], v[34:35], 0, s[24:25]
	v_lshl_add_u64 v[36:37], v[36:37], 0, s[24:25]
	v_lshl_add_u64 v[38:39], v[38:39], 0, s[24:25]
	v_lshl_add_u64 v[40:41], v[40:41], 0, s[24:25]
	v_lshl_add_u64 v[42:43], v[42:43], 0, s[24:25]
	v_lshl_add_u64 v[44:45], v[44:45], 0, s[24:25]
	v_lshl_add_u64 v[46:47], v[46:47], 0, s[24:25]
	v_lshl_add_u64 v[48:49], v[48:49], 0, s[24:25]
	v_lshl_add_u64 v[50:51], v[50:51], 0, s[24:25]
	v_lshl_add_u64 v[52:53], v[52:53], 0, s[24:25]
	v_lshl_add_u64 v[54:55], v[54:55], 0, s[24:25]
	v_lshl_add_u64 v[56:57], v[56:57], 0, s[24:25]
	s_addc_u32 s27, s27, 0
	s_cbranch_vccz .LBB65_49
.LBB65_5:                               ; =>This Inner Loop Header: Depth=1
	v_mov_b64_e32 v[4:5], s[8:9]
	v_cmp_ge_i64_e32 vcc, s[26:27], v[4:5]
	v_lshl_add_u64 v[58:59], v[22:23], 0, s[26:27]
	s_mov_b64 s[48:49], -1
	s_and_b64 vcc, exec, vcc
                                        ; implicit-def: $vgpr4_vgpr5_vgpr6_vgpr7_vgpr8_vgpr9_vgpr10_vgpr11
                                        ; implicit-def: $vgpr60_vgpr61
                                        ; implicit-def: $vgpr3
                                        ; implicit-def: $vgpr12_vgpr13_vgpr14_vgpr15_vgpr16_vgpr17_vgpr18_vgpr19
                                        ; implicit-def: $vgpr4
	s_cbranch_vccz .LBB65_27
; %bb.6:                                ;   in Loop: Header=BB65_5 Depth=1
	s_load_dword s48, s[22:23], 0xc
	v_mov_b32_e32 v60, 0
	v_mov_b32_e32 v61, 0
	s_waitcnt lgkmcnt(0)
	s_and_b32 s48, s48, 0xffff
	v_mad_u32_u24 v3, v62, s48, v1
	v_and_b32_e32 v4, 63, v3
	v_cmp_gt_u32_e32 vcc, 8, v4
	s_and_saveexec_b64 s[48:49], vcc
	s_cbranch_execz .LBB65_10
; %bb.7:                                ;   in Loop: Header=BB65_5 Depth=1
	v_mov_b32_e32 v5, v2
	v_lshl_add_u64 v[4:5], v[58:59], 0, v[4:5]
	v_lshl_add_u64 v[4:5], v[4:5], 0, s[28:29]
	v_cmp_gt_i64_e32 vcc, s[8:9], v[4:5]
	v_mov_b32_e32 v61, 0
	v_mov_b32_e32 v60, 0
	s_and_saveexec_b64 s[50:51], vcc
	s_cbranch_execz .LBB65_9
; %bb.8:                                ;   in Loop: Header=BB65_5 Depth=1
	v_lshlrev_b64 v[4:5], 2, v[4:5]
	v_lshl_add_u64 v[6:7], s[18:19], 0, v[4:5]
	v_lshl_add_u64 v[4:5], s[16:17], 0, v[4:5]
	global_load_dword v61, v[4:5], off
	global_load_dword v60, v[6:7], off
.LBB65_9:                               ;   in Loop: Header=BB65_5 Depth=1
	s_or_b64 exec, exec, s[50:51]
.LBB65_10:                              ;   in Loop: Header=BB65_5 Depth=1
	s_or_b64 exec, exec, s[48:49]
	v_lshl_add_u64 v[4:5], v[58:59], 0, s[28:29]
	v_mov_b32_e32 v8, v2
	v_mov_b32_e32 v9, v2
	v_cmp_gt_i64_e32 vcc, s[8:9], v[4:5]
	v_mov_b32_e32 v3, v2
	v_mov_b32_e32 v4, v2
	;; [unrolled: 1-line block ×5, first 2 shown]
	v_mov_b64_e32 v[18:19], v[8:9]
	v_mov_b64_e32 v[16:17], v[6:7]
	;; [unrolled: 1-line block ×5, first 2 shown]
	s_and_b64 s[50:51], s[6:7], vcc
	v_mov_b64_e32 v[8:9], v[6:7]
	v_mov_b64_e32 v[6:7], v[4:5]
	;; [unrolled: 1-line block ×3, first 2 shown]
	s_and_saveexec_b64 s[48:49], s[50:51]
	s_cbranch_execz .LBB65_12
; %bb.11:                               ;   in Loop: Header=BB65_5 Depth=1
	v_lshl_add_u64 v[4:5], v[26:27], 0, v[24:25]
	v_lshl_add_u64 v[6:7], v[28:29], 0, v[24:25]
	global_load_dword v4, v[4:5], off
	v_mov_b32_e32 v5, v2
	global_load_dword v12, v[6:7], off
	v_mov_b32_e32 v6, v2
	v_mov_b32_e32 v7, v2
	;; [unrolled: 1-line block ×13, first 2 shown]
.LBB65_12:                              ;   in Loop: Header=BB65_5 Depth=1
	s_or_b64 exec, exec, s[48:49]
	v_lshl_add_u64 v[64:65], v[58:59], 0, s[30:31]
	v_cmp_gt_i64_e32 vcc, s[8:9], v[64:65]
	s_and_b64 s[50:51], s[6:7], vcc
	s_and_saveexec_b64 s[48:49], s[50:51]
	s_cbranch_execz .LBB65_14
; %bb.13:                               ;   in Loop: Header=BB65_5 Depth=1
	v_lshl_add_u64 v[64:65], v[54:55], 0, v[24:25]
	global_load_dword v5, v[64:65], off
	v_lshl_add_u64 v[64:65], v[56:57], 0, v[24:25]
	global_load_dword v13, v[64:65], off
.LBB65_14:                              ;   in Loop: Header=BB65_5 Depth=1
	s_or_b64 exec, exec, s[48:49]
	v_lshl_add_u64 v[64:65], v[58:59], 0, s[34:35]
	v_cmp_gt_i64_e32 vcc, s[8:9], v[64:65]
	s_and_b64 s[50:51], s[6:7], vcc
	s_and_saveexec_b64 s[48:49], s[50:51]
	s_cbranch_execz .LBB65_16
; %bb.15:                               ;   in Loop: Header=BB65_5 Depth=1
	v_lshl_add_u64 v[64:65], v[50:51], 0, v[24:25]
	global_load_dword v6, v[64:65], off
	v_lshl_add_u64 v[64:65], v[52:53], 0, v[24:25]
	global_load_dword v14, v[64:65], off
.LBB65_16:                              ;   in Loop: Header=BB65_5 Depth=1
	;; [unrolled: 12-line block ×7, first 2 shown]
	s_or_b64 exec, exec, s[48:49]
	s_waitcnt vmcnt(1)
	ds_bpermute_b32 v3, v63, v61
	ds_bpermute_b32 v64, v63, v61 offset:4
	s_waitcnt vmcnt(0)
	ds_bpermute_b32 v65, v63, v60
	ds_bpermute_b32 v66, v63, v60 offset:4
	v_mov_b32_e32 v67, v7
	s_waitcnt lgkmcnt(3)
	v_sub_f32_e32 v3, v12, v3
	v_mul_f32_e32 v3, v4, v3
	s_waitcnt lgkmcnt(2)
	v_sub_f32_e32 v13, v13, v64
	s_waitcnt lgkmcnt(1)
	v_mul_f32_e32 v12, v3, v65
	ds_bpermute_b32 v3, v63, v61 offset:8
	v_mul_f32_e32 v13, v5, v13
	s_waitcnt lgkmcnt(1)
	v_mul_f32_e32 v64, v13, v66
	ds_bpermute_b32 v13, v63, v60 offset:8
	ds_bpermute_b32 v65, v63, v61 offset:12
	;; [unrolled: 1-line block ×3, first 2 shown]
	s_waitcnt lgkmcnt(3)
	v_sub_f32_e32 v3, v14, v3
	v_mul_f32_e32 v3, v6, v3
	s_waitcnt lgkmcnt(2)
	v_mul_f32_e32 v14, v3, v13
	s_waitcnt lgkmcnt(1)
	v_sub_f32_e32 v3, v15, v65
	ds_bpermute_b32 v13, v63, v61 offset:16
	v_mul_f32_e32 v3, v7, v3
	s_waitcnt lgkmcnt(1)
	v_mul_f32_e32 v66, v3, v66
	ds_bpermute_b32 v3, v63, v60 offset:16
	ds_bpermute_b32 v15, v63, v61 offset:20
	;; [unrolled: 1-line block ×3, first 2 shown]
	s_waitcnt lgkmcnt(3)
	v_sub_f32_e32 v13, v16, v13
	v_mul_f32_e32 v13, v8, v13
	s_waitcnt lgkmcnt(2)
	v_mul_f32_e32 v16, v13, v3
	s_waitcnt lgkmcnt(1)
	v_sub_f32_e32 v3, v17, v15
	v_mul_f32_e32 v3, v9, v3
	v_mov_b32_e32 v13, v4
	s_waitcnt lgkmcnt(0)
	v_mul_f32_e32 v68, v3, v65
	v_pk_add_f32 v[12:13], v[20:21], v[12:13]
	v_mov_b32_e32 v65, v5
	v_pk_add_f32 v[4:5], v[64:65], v[12:13]
	v_mov_b32_e32 v15, v6
	ds_bpermute_b32 v3, v63, v61 offset:24
	v_pk_add_f32 v[4:5], v[14:15], v[4:5]
	v_mov_b32_e32 v17, v8
	v_pk_add_f32 v[4:5], v[66:67], v[4:5]
	v_mov_b32_e32 v69, v9
	v_pk_add_f32 v[4:5], v[16:17], v[4:5]
	s_waitcnt lgkmcnt(0)
	v_sub_f32_e32 v3, v18, v3
	v_pk_add_f32 v[6:7], v[68:69], v[4:5]
	ds_bpermute_b32 v5, v63, v60 offset:24
	v_mul_f32_e32 v8, v10, v3
	ds_bpermute_b32 v3, v63, v60 offset:28
	ds_bpermute_b32 v4, v63, v61 offset:28
	v_mov_b32_e32 v9, v10
	s_waitcnt lgkmcnt(2)
	v_mul_f32_e32 v8, v8, v5
	v_pk_add_f32 v[60:61], v[8:9], v[6:7]
	s_mov_b64 s[48:49], 0
.LBB65_27:                              ;   in Loop: Header=BB65_5 Depth=1
	s_and_b64 vcc, exec, s[48:49]
	s_cbranch_vccz .LBB65_4
; %bb.28:                               ;   in Loop: Header=BB65_5 Depth=1
	s_load_dword s48, s[22:23], 0x0
	v_mov_b32_e32 v60, 0
	v_mov_b32_e32 v61, 0
	s_waitcnt lgkmcnt(0)
	s_cmp_lt_u32 s2, s48
	s_cselect_b32 s48, 12, 18
	s_add_u32 s48, s22, s48
	s_addc_u32 s49, s23, 0
	global_load_ushort v3, v2, s[48:49]
	s_waitcnt vmcnt(0)
	v_mad_u32_u24 v3, v62, v3, v1
	v_and_b32_e32 v4, 63, v3
	v_cmp_gt_u32_e32 vcc, 8, v4
	s_and_saveexec_b64 s[48:49], vcc
	s_cbranch_execz .LBB65_32
; %bb.29:                               ;   in Loop: Header=BB65_5 Depth=1
	v_mov_b32_e32 v5, v2
	v_lshl_add_u64 v[4:5], v[58:59], 0, v[4:5]
	v_lshl_add_u64 v[4:5], v[4:5], 0, s[28:29]
	v_cmp_gt_i64_e32 vcc, s[8:9], v[4:5]
	v_mov_b32_e32 v61, 0
	v_mov_b32_e32 v60, 0
	s_and_saveexec_b64 s[50:51], vcc
	s_cbranch_execz .LBB65_31
; %bb.30:                               ;   in Loop: Header=BB65_5 Depth=1
	v_lshlrev_b64 v[4:5], 2, v[4:5]
	v_lshl_add_u64 v[6:7], s[18:19], 0, v[4:5]
	v_lshl_add_u64 v[4:5], s[16:17], 0, v[4:5]
	global_load_dword v61, v[4:5], off
	global_load_dword v60, v[6:7], off
.LBB65_31:                              ;   in Loop: Header=BB65_5 Depth=1
	s_or_b64 exec, exec, s[50:51]
.LBB65_32:                              ;   in Loop: Header=BB65_5 Depth=1
	s_or_b64 exec, exec, s[48:49]
	v_mov_b32_e32 v8, v2
	v_mov_b32_e32 v9, v2
	;; [unrolled: 1-line block ×7, first 2 shown]
	v_mov_b64_e32 v[18:19], v[8:9]
	v_mov_b64_e32 v[16:17], v[6:7]
	;; [unrolled: 1-line block ×8, first 2 shown]
	s_and_saveexec_b64 s[48:49], s[6:7]
	s_cbranch_execnz .LBB65_40
; %bb.33:                               ;   in Loop: Header=BB65_5 Depth=1
	s_or_b64 exec, exec, s[48:49]
	s_and_saveexec_b64 s[48:49], s[6:7]
	s_cbranch_execnz .LBB65_41
.LBB65_34:                              ;   in Loop: Header=BB65_5 Depth=1
	s_or_b64 exec, exec, s[48:49]
	s_and_saveexec_b64 s[48:49], s[6:7]
	s_cbranch_execnz .LBB65_42
.LBB65_35:                              ;   in Loop: Header=BB65_5 Depth=1
	s_or_b64 exec, exec, s[48:49]
	s_and_saveexec_b64 s[48:49], s[6:7]
	s_cbranch_execnz .LBB65_43
.LBB65_36:                              ;   in Loop: Header=BB65_5 Depth=1
	s_or_b64 exec, exec, s[48:49]
	s_and_saveexec_b64 s[48:49], s[6:7]
	s_cbranch_execnz .LBB65_44
.LBB65_37:                              ;   in Loop: Header=BB65_5 Depth=1
	s_or_b64 exec, exec, s[48:49]
	s_and_saveexec_b64 s[48:49], s[6:7]
	s_cbranch_execnz .LBB65_45
.LBB65_38:                              ;   in Loop: Header=BB65_5 Depth=1
	s_or_b64 exec, exec, s[48:49]
	s_and_saveexec_b64 s[48:49], s[6:7]
	s_cbranch_execnz .LBB65_46
.LBB65_39:                              ;   in Loop: Header=BB65_5 Depth=1
	s_or_b64 exec, exec, s[48:49]
	s_and_saveexec_b64 s[48:49], s[6:7]
	s_cbranch_execz .LBB65_3
	s_branch .LBB65_47
.LBB65_40:                              ;   in Loop: Header=BB65_5 Depth=1
	v_lshl_add_u64 v[4:5], v[26:27], 0, v[24:25]
	v_lshl_add_u64 v[6:7], v[28:29], 0, v[24:25]
	global_load_dword v4, v[4:5], off
	v_mov_b32_e32 v5, v2
	global_load_dword v12, v[6:7], off
	v_mov_b32_e32 v6, v2
	v_mov_b32_e32 v7, v2
	;; [unrolled: 1-line block ×13, first 2 shown]
	s_or_b64 exec, exec, s[48:49]
	s_and_saveexec_b64 s[48:49], s[6:7]
	s_cbranch_execz .LBB65_34
.LBB65_41:                              ;   in Loop: Header=BB65_5 Depth=1
	v_lshl_add_u64 v[58:59], v[54:55], 0, v[24:25]
	global_load_dword v5, v[58:59], off
	v_lshl_add_u64 v[58:59], v[56:57], 0, v[24:25]
	global_load_dword v13, v[58:59], off
	s_or_b64 exec, exec, s[48:49]
	s_and_saveexec_b64 s[48:49], s[6:7]
	s_cbranch_execz .LBB65_35
.LBB65_42:                              ;   in Loop: Header=BB65_5 Depth=1
	v_lshl_add_u64 v[58:59], v[50:51], 0, v[24:25]
	global_load_dword v6, v[58:59], off
	v_lshl_add_u64 v[58:59], v[52:53], 0, v[24:25]
	global_load_dword v14, v[58:59], off
	s_or_b64 exec, exec, s[48:49]
	s_and_saveexec_b64 s[48:49], s[6:7]
	s_cbranch_execz .LBB65_36
.LBB65_43:                              ;   in Loop: Header=BB65_5 Depth=1
	v_lshl_add_u64 v[58:59], v[46:47], 0, v[24:25]
	global_load_dword v7, v[58:59], off
	v_lshl_add_u64 v[58:59], v[48:49], 0, v[24:25]
	global_load_dword v15, v[58:59], off
	s_or_b64 exec, exec, s[48:49]
	s_and_saveexec_b64 s[48:49], s[6:7]
	s_cbranch_execz .LBB65_37
.LBB65_44:                              ;   in Loop: Header=BB65_5 Depth=1
	v_lshl_add_u64 v[58:59], v[42:43], 0, v[24:25]
	global_load_dword v8, v[58:59], off
	v_lshl_add_u64 v[58:59], v[44:45], 0, v[24:25]
	global_load_dword v16, v[58:59], off
	s_or_b64 exec, exec, s[48:49]
	s_and_saveexec_b64 s[48:49], s[6:7]
	s_cbranch_execz .LBB65_38
.LBB65_45:                              ;   in Loop: Header=BB65_5 Depth=1
	v_lshl_add_u64 v[58:59], v[38:39], 0, v[24:25]
	global_load_dword v9, v[58:59], off
	v_lshl_add_u64 v[58:59], v[40:41], 0, v[24:25]
	global_load_dword v17, v[58:59], off
	s_or_b64 exec, exec, s[48:49]
	s_and_saveexec_b64 s[48:49], s[6:7]
	s_cbranch_execz .LBB65_39
.LBB65_46:                              ;   in Loop: Header=BB65_5 Depth=1
	v_lshl_add_u64 v[58:59], v[34:35], 0, v[24:25]
	global_load_dword v10, v[58:59], off
	v_lshl_add_u64 v[58:59], v[36:37], 0, v[24:25]
	global_load_dword v18, v[58:59], off
	s_or_b64 exec, exec, s[48:49]
	s_and_saveexec_b64 s[48:49], s[6:7]
	s_cbranch_execz .LBB65_3
.LBB65_47:                              ;   in Loop: Header=BB65_5 Depth=1
	v_lshl_add_u64 v[58:59], v[30:31], 0, v[24:25]
	global_load_dword v11, v[58:59], off
	v_lshl_add_u64 v[58:59], v[32:33], 0, v[24:25]
	global_load_dword v19, v[58:59], off
	s_branch .LBB65_3
.LBB65_48:
                                        ; implicit-def: $vgpr21
	s_branch .LBB65_50
.LBB65_49:
	s_cbranch_execnz .LBB65_81
.LBB65_50:
	v_mov_b32_e32 v21, 0
	s_and_b64 vcc, exec, s[4:5]
	v_mov_b32_e32 v20, v21
	s_cbranch_vccnz .LBB65_81
; %bb.51:
	v_mov_b32_e32 v2, 0
	v_bfe_u32 v88, v0, 10, 10
	v_lshlrev_b32_e32 v6, 5, v88
	v_mov_b32_e32 v7, v2
	v_lshl_add_u64 v[6:7], s[20:21], 2, v[6:7]
	v_lshl_add_u64 v[8:9], v[6:7], 0, 4
	v_mov_b64_e32 v[10:11], s[12:13]
	v_lshl_add_u64 v[12:13], v[6:7], 0, 8
	v_lshl_add_u64 v[14:15], v[6:7], 0, 12
	;; [unrolled: 1-line block ×6, first 2 shown]
	v_mad_u64_u32 v[24:25], s[4:5], s10, v8, v[10:11]
	v_mad_u64_u32 v[26:27], s[4:5], s10, v12, v[10:11]
	;; [unrolled: 1-line block ×7, first 2 shown]
	v_mov_b64_e32 v[10:11], s[14:15]
	v_mul_lo_u32 v9, s10, v9
	v_mul_lo_u32 v40, s11, v8
	v_mad_u64_u32 v[38:39], s[4:5], s10, v8, v[10:11]
	v_add3_u32 v25, v40, v25, v9
	v_mul_lo_u32 v13, s10, v13
	v_mul_lo_u32 v42, s11, v12
	v_add3_u32 v39, v40, v39, v9
	v_mad_u64_u32 v[40:41], s[4:5], s10, v12, v[10:11]
	v_add3_u32 v27, v42, v27, v13
	v_mul_lo_u32 v15, s10, v15
	v_mul_lo_u32 v44, s11, v14
	v_add3_u32 v41, v42, v41, v13
	;; [unrolled: 5-line block ×4, first 2 shown]
	v_mad_u64_u32 v[46:47], s[4:5], s10, v18, v[10:11]
	v_lshlrev_b32_e32 v22, 3, v88
	v_mov_b32_e32 v23, v2
	v_add3_u32 v33, v48, v33, v19
	v_mul_lo_u32 v21, s10, v21
	v_mul_lo_u32 v50, s11, v20
	v_add3_u32 v47, v48, v47, v19
	v_mad_u64_u32 v[48:49], s[4:5], s10, v20, v[10:11]
	v_lshl_add_u64 v[4:5], v[22:23], 0, s[20:21]
	v_add3_u32 v35, v50, v35, v21
	v_mul_lo_u32 v7, s10, v7
	v_mul_lo_u32 v8, s11, v6
	v_add3_u32 v49, v50, v49, v21
	v_mad_u64_u32 v[50:51], s[4:5], s10, v6, v[10:11]
	v_add3_u32 v37, v8, v37, v7
	v_add3_u32 v51, v8, v51, v7
	v_lshl_add_u64 v[6:7], v[4:5], 0, 7
	v_mul_lo_u32 v8, s11, v6
	v_mul_lo_u32 v9, s10, v7
	v_mad_u64_u32 v[6:7], s[4:5], s10, v6, 0
	v_add3_u32 v7, v7, v9, v8
	v_lshl_add_u64 v[8:9], v[4:5], 0, 6
	v_mul_lo_u32 v10, s11, v8
	v_mul_lo_u32 v11, s10, v9
	v_mad_u64_u32 v[8:9], s[4:5], s10, v8, 0
	;; [unrolled: 5-line block ×5, first 2 shown]
	v_add3_u32 v15, v15, v17, v16
	v_lshl_add_u64 v[16:17], v[4:5], 0, 2
	v_mul_lo_u32 v52, s10, v5
	v_mul_lo_u32 v5, s11, v16
	;; [unrolled: 1-line block ×3, first 2 shown]
	v_mad_u64_u32 v[16:17], s[4:5], s10, v16, 0
	v_add3_u32 v17, v17, v18, v5
	v_mov_b64_e32 v[18:19], s[10:11]
	v_mul_lo_u32 v3, s11, v4
	v_mad_u64_u32 v[18:19], s[4:5], s10, v4, v[18:19]
	v_mad_u64_u32 v[4:5], s[4:5], s10, v4, 0
	s_load_dword s3, s[0:1], 0x44
	v_add3_u32 v5, v5, v52, v3
	v_lshlrev_b64 v[4:5], 2, v[4:5]
	v_lshl_add_u64 v[54:55], s[12:13], 0, v[4:5]
	v_lshl_add_u64 v[56:57], s[14:15], 0, v[4:5]
	v_lshlrev_b64 v[4:5], 2, v[6:7]
	v_lshl_add_u64 v[58:59], s[12:13], 0, v[4:5]
	v_lshl_add_u64 v[60:61], s[14:15], 0, v[4:5]
	v_lshlrev_b64 v[4:5], 2, v[8:9]
	s_add_u32 s4, s0, 64
	v_lshl_add_u64 v[62:63], s[12:13], 0, v[4:5]
	v_lshl_add_u64 v[64:65], s[14:15], 0, v[4:5]
	v_lshlrev_b64 v[4:5], 2, v[10:11]
	s_addc_u32 s5, s1, 0
	s_waitcnt lgkmcnt(0)
	s_lshl_b32 s3, s3, 6
	v_lshl_add_u64 v[66:67], s[12:13], 0, v[4:5]
	v_lshl_add_u64 v[68:69], s[14:15], 0, v[4:5]
	v_lshlrev_b64 v[4:5], 2, v[12:13]
	s_mul_i32 s6, s11, s3
	s_mul_hi_u32 s7, s10, s3
	v_lshl_add_u64 v[70:71], s[12:13], 0, v[4:5]
	v_lshl_add_u64 v[72:73], s[14:15], 0, v[4:5]
	v_lshlrev_b64 v[4:5], 2, v[14:15]
	v_add3_u32 v19, v3, v19, v52
	s_add_i32 s7, s7, s6
	s_mul_i32 s6, s10, s3
	v_lshl_add_u64 v[74:75], s[12:13], 0, v[4:5]
	v_lshl_add_u64 v[76:77], s[14:15], 0, v[4:5]
	v_lshlrev_b64 v[4:5], 2, v[16:17]
	v_mbcnt_lo_u32_b32 v3, -1, 0
	v_and_b32_e32 v1, 0x3ff, v0
	s_lshl_b64 s[6:7], s[6:7], 2
	v_lshl_add_u64 v[78:79], s[12:13], 0, v[4:5]
	v_lshl_add_u64 v[80:81], s[14:15], 0, v[4:5]
	v_lshlrev_b64 v[4:5], 2, v[18:19]
	v_mbcnt_hi_u32_b32 v3, -1, v3
	v_add_u32_e32 v20, s33, v1
	v_mov_b32_e32 v21, v2
	s_add_u32 s22, s20, 63
	v_lshl_add_u64 v[82:83], s[12:13], 0, v[4:5]
	v_lshl_add_u64 v[84:85], s[14:15], 0, v[4:5]
	s_movk_i32 s12, 0xffc1
	s_movk_i32 s14, 0xffc2
	;; [unrolled: 1-line block ×8, first 2 shown]
	v_lshlrev_b32_e32 v3, 2, v3
	v_lshlrev_b64 v[52:53], 2, v[20:21]
	s_addc_u32 s23, 0, 0
	s_mov_b32 s13, -1
	s_mov_b32 s15, -1
	;; [unrolled: 1-line block ×8, first 2 shown]
	v_and_b32_e32 v89, 0x100, v3
	v_mov_b32_e32 v20, 0
	s_branch .LBB65_55
.LBB65_52:                              ;   in Loop: Header=BB65_55 Depth=1
	s_or_b64 exec, exec, s[40:41]
.LBB65_53:                              ;   in Loop: Header=BB65_55 Depth=1
	s_or_b64 exec, exec, s[38:39]
	v_lshl_add_u64 v[4:5], v[54:55], 0, v[52:53]
	v_lshl_add_u64 v[8:9], v[56:57], 0, v[52:53]
	global_load_dword v5, v[4:5], off
	v_lshl_add_u64 v[10:11], v[40:41], 0, v[52:53]
	global_load_dword v4, v[8:9], off
	;; [unrolled: 2-line block ×5, first 2 shown]
	s_waitcnt vmcnt(6)
	ds_bpermute_b32 v90, v89, v3
	global_load_dword v8, v[10:11], off
	v_lshl_add_u64 v[10:11], v[28:29], 0, v[52:53]
	global_load_dword v13, v[10:11], off
	v_lshl_add_u64 v[10:11], v[42:43], 0, v[52:53]
	;; [unrolled: 2-line block ×10, first 2 shown]
	global_load_dword v11, v[10:11], off
	ds_bpermute_b32 v92, v89, v3 offset:4
	s_waitcnt vmcnt(16)
	ds_bpermute_b32 v10, v89, v6
	ds_bpermute_b32 v94, v89, v3 offset:8
	ds_bpermute_b32 v91, v89, v6 offset:4
	;; [unrolled: 1-line block ×13, first 2 shown]
	s_waitcnt vmcnt(14) lgkmcnt(14)
	v_sub_f32_e32 v4, v4, v90
	v_mul_f32_e32 v4, v5, v4
	s_waitcnt lgkmcnt(13)
	v_mul_f32_e32 v4, v4, v10
	v_pk_add_f32 v[4:5], v[20:21], v[4:5]
	s_waitcnt vmcnt(12)
	v_sub_f32_e32 v6, v12, v92
	v_mul_f32_e32 v6, v7, v6
	s_waitcnt lgkmcnt(11)
	v_mul_f32_e32 v6, v6, v91
	v_pk_add_f32 v[4:5], v[4:5], v[6:7]
	s_waitcnt vmcnt(10)
	;; [unrolled: 6-line block ×3, first 2 shown]
	v_sub_f32_e32 v12, v14, v96
	v_mul_f32_e32 v12, v13, v12
	s_waitcnt vmcnt(7) lgkmcnt(8)
	v_sub_f32_e32 v14, v16, v98
	s_waitcnt lgkmcnt(7)
	v_mul_f32_e32 v12, v12, v95
	s_waitcnt vmcnt(6) lgkmcnt(6)
	v_sub_f32_e32 v16, v18, v100
	v_pk_add_f32 v[4:5], v[4:5], v[12:13]
	s_waitcnt vmcnt(5) lgkmcnt(2)
	v_sub_f32_e32 v18, v86, v102
	s_waitcnt vmcnt(4) lgkmcnt(0)
	v_sub_f32_e32 v3, v87, v3
	s_waitcnt vmcnt(3)
	v_mul_f32_e32 v14, v15, v14
	v_mul_f32_e32 v14, v14, v97
	s_waitcnt vmcnt(2)
	v_mul_f32_e32 v16, v17, v16
	v_mul_f32_e32 v16, v16, v99
	s_waitcnt vmcnt(1)
	v_mul_f32_e32 v18, v19, v18
	v_pk_add_f32 v[4:5], v[4:5], v[14:15]
	s_waitcnt vmcnt(0)
	v_mul_f32_e32 v3, v11, v3
	v_mul_f32_e32 v18, v18, v101
	v_pk_add_f32 v[4:5], v[4:5], v[16:17]
	v_mul_f32_e32 v10, v3, v103
	v_pk_add_f32 v[4:5], v[4:5], v[18:19]
.LBB65_54:                              ;   in Loop: Header=BB65_55 Depth=1
	s_add_u32 s20, s20, s3
	v_pk_add_f32 v[20:21], v[4:5], v[10:11]
	s_addc_u32 s21, s21, 0
	v_mov_b64_e32 v[4:5], s[8:9]
	s_add_u32 s22, s22, s3
	v_cmp_ge_i64_e32 vcc, s[20:21], v[4:5]
	v_lshl_add_u64 v[54:55], v[54:55], 0, s[6:7]
	v_lshl_add_u64 v[56:57], v[56:57], 0, s[6:7]
	s_addc_u32 s23, s23, 0
	v_lshl_add_u64 v[24:25], v[24:25], 0, s[6:7]
	v_lshl_add_u64 v[26:27], v[26:27], 0, s[6:7]
	;; [unrolled: 1-line block ×28, first 2 shown]
	s_cbranch_vccnz .LBB65_81
.LBB65_55:                              ; =>This Inner Loop Header: Depth=1
	v_mov_b64_e32 v[4:5], s[8:9]
	v_cmp_ge_i64_e32 vcc, s[22:23], v[4:5]
	v_lshl_add_u64 v[86:87], v[22:23], 0, s[22:23]
	s_mov_b64 s[38:39], -1
                                        ; implicit-def: $vgpr4_vgpr5
                                        ; implicit-def: $vgpr10_vgpr11
	s_cbranch_vccz .LBB65_77
; %bb.56:                               ;   in Loop: Header=BB65_55 Depth=1
	s_load_dword s33, s[4:5], 0xc
	v_mov_b32_e32 v90, 0
	v_mov_b32_e32 v91, 0
	s_waitcnt lgkmcnt(0)
	s_and_b32 s33, s33, 0xffff
	v_mad_u32_u24 v3, v88, s33, v1
	v_and_b32_e32 v4, 63, v3
	v_cmp_gt_u32_e32 vcc, 8, v4
	s_and_saveexec_b64 s[38:39], vcc
	s_cbranch_execz .LBB65_60
; %bb.57:                               ;   in Loop: Header=BB65_55 Depth=1
	v_mov_b32_e32 v5, v2
	v_lshl_add_u64 v[4:5], v[86:87], 0, v[4:5]
	v_lshl_add_u64 v[4:5], v[4:5], 0, s[12:13]
	v_cmp_gt_i64_e32 vcc, s[8:9], v[4:5]
	v_mov_b32_e32 v91, 0
	v_mov_b32_e32 v90, 0
	s_and_saveexec_b64 s[40:41], vcc
	s_cbranch_execz .LBB65_59
; %bb.58:                               ;   in Loop: Header=BB65_55 Depth=1
	v_lshlrev_b64 v[4:5], 2, v[4:5]
	v_lshl_add_u64 v[6:7], s[18:19], 0, v[4:5]
	v_lshl_add_u64 v[4:5], s[16:17], 0, v[4:5]
	global_load_dword v91, v[4:5], off
	global_load_dword v90, v[6:7], off
.LBB65_59:                              ;   in Loop: Header=BB65_55 Depth=1
	s_or_b64 exec, exec, s[40:41]
.LBB65_60:                              ;   in Loop: Header=BB65_55 Depth=1
	s_or_b64 exec, exec, s[38:39]
	v_lshl_add_u64 v[4:5], v[86:87], 0, s[12:13]
	v_mov_b32_e32 v8, v2
	v_mov_b32_e32 v9, v2
	v_cmp_gt_i64_e32 vcc, s[8:9], v[4:5]
	v_mov_b32_e32 v3, v2
	v_mov_b32_e32 v4, v2
	;; [unrolled: 1-line block ×5, first 2 shown]
	v_mov_b64_e32 v[18:19], v[8:9]
	v_mov_b64_e32 v[16:17], v[6:7]
	;; [unrolled: 1-line block ×8, first 2 shown]
	s_and_saveexec_b64 s[38:39], vcc
	s_cbranch_execz .LBB65_62
; %bb.61:                               ;   in Loop: Header=BB65_55 Depth=1
	v_lshl_add_u64 v[4:5], v[54:55], 0, v[52:53]
	v_lshl_add_u64 v[6:7], v[56:57], 0, v[52:53]
	global_load_dword v4, v[4:5], off
	v_mov_b32_e32 v5, v2
	global_load_dword v12, v[6:7], off
	v_mov_b32_e32 v6, v2
	v_mov_b32_e32 v7, v2
	;; [unrolled: 1-line block ×13, first 2 shown]
.LBB65_62:                              ;   in Loop: Header=BB65_55 Depth=1
	s_or_b64 exec, exec, s[38:39]
	v_lshl_add_u64 v[92:93], v[86:87], 0, s[14:15]
	v_cmp_gt_i64_e32 vcc, s[8:9], v[92:93]
	s_and_saveexec_b64 s[38:39], vcc
	s_cbranch_execz .LBB65_64
; %bb.63:                               ;   in Loop: Header=BB65_55 Depth=1
	v_lshl_add_u64 v[92:93], v[82:83], 0, v[52:53]
	global_load_dword v5, v[92:93], off
	v_lshl_add_u64 v[92:93], v[84:85], 0, v[52:53]
	global_load_dword v13, v[92:93], off
.LBB65_64:                              ;   in Loop: Header=BB65_55 Depth=1
	s_or_b64 exec, exec, s[38:39]
	v_lshl_add_u64 v[92:93], v[86:87], 0, s[24:25]
	v_cmp_gt_i64_e32 vcc, s[8:9], v[92:93]
	s_and_saveexec_b64 s[38:39], vcc
	s_cbranch_execz .LBB65_66
; %bb.65:                               ;   in Loop: Header=BB65_55 Depth=1
	v_lshl_add_u64 v[92:93], v[78:79], 0, v[52:53]
	global_load_dword v6, v[92:93], off
	v_lshl_add_u64 v[92:93], v[80:81], 0, v[52:53]
	global_load_dword v14, v[92:93], off
.LBB65_66:                              ;   in Loop: Header=BB65_55 Depth=1
	;; [unrolled: 11-line block ×7, first 2 shown]
	s_or_b64 exec, exec, s[38:39]
	s_waitcnt vmcnt(1)
	ds_bpermute_b32 v3, v89, v91
	ds_bpermute_b32 v92, v89, v91 offset:4
	s_waitcnt vmcnt(0)
	ds_bpermute_b32 v93, v89, v90
	ds_bpermute_b32 v94, v89, v90 offset:4
	v_mov_b32_e32 v95, v7
	s_waitcnt lgkmcnt(3)
	v_sub_f32_e32 v3, v12, v3
	v_mul_f32_e32 v3, v4, v3
	s_waitcnt lgkmcnt(2)
	v_sub_f32_e32 v13, v13, v92
	s_waitcnt lgkmcnt(1)
	v_mul_f32_e32 v12, v3, v93
	ds_bpermute_b32 v3, v89, v91 offset:8
	v_mul_f32_e32 v13, v5, v13
	s_waitcnt lgkmcnt(1)
	v_mul_f32_e32 v92, v13, v94
	ds_bpermute_b32 v13, v89, v90 offset:8
	ds_bpermute_b32 v93, v89, v91 offset:12
	;; [unrolled: 1-line block ×3, first 2 shown]
	s_waitcnt lgkmcnt(3)
	v_sub_f32_e32 v3, v14, v3
	v_mul_f32_e32 v3, v6, v3
	s_waitcnt lgkmcnt(2)
	v_mul_f32_e32 v14, v3, v13
	s_waitcnt lgkmcnt(1)
	v_sub_f32_e32 v3, v15, v93
	ds_bpermute_b32 v13, v89, v91 offset:16
	v_mul_f32_e32 v3, v7, v3
	s_waitcnt lgkmcnt(1)
	v_mul_f32_e32 v94, v3, v94
	ds_bpermute_b32 v3, v89, v90 offset:16
	ds_bpermute_b32 v15, v89, v91 offset:20
	;; [unrolled: 1-line block ×3, first 2 shown]
	s_waitcnt lgkmcnt(3)
	v_sub_f32_e32 v13, v16, v13
	v_mul_f32_e32 v13, v8, v13
	s_waitcnt lgkmcnt(2)
	v_mul_f32_e32 v16, v13, v3
	s_waitcnt lgkmcnt(1)
	v_sub_f32_e32 v3, v17, v15
	v_mul_f32_e32 v3, v9, v3
	s_waitcnt lgkmcnt(0)
	v_mul_f32_e32 v96, v3, v93
	ds_bpermute_b32 v3, v89, v91 offset:24
	v_mov_b32_e32 v15, v6
	ds_bpermute_b32 v6, v89, v90 offset:24
	v_mov_b32_e32 v13, v4
	v_pk_add_f32 v[12:13], v[20:21], v[12:13]
	v_mov_b32_e32 v93, v5
	v_pk_add_f32 v[4:5], v[92:93], v[12:13]
	v_mov_b32_e32 v17, v8
	s_waitcnt lgkmcnt(1)
	v_sub_f32_e32 v3, v18, v3
	ds_bpermute_b32 v8, v89, v91 offset:28
	v_pk_add_f32 v[4:5], v[14:15], v[4:5]
	v_mul_f32_e32 v3, v10, v3
	v_pk_add_f32 v[4:5], v[94:95], v[4:5]
	s_waitcnt lgkmcnt(1)
	v_mul_f32_e32 v6, v3, v6
	ds_bpermute_b32 v3, v89, v90 offset:28
	v_pk_add_f32 v[4:5], v[16:17], v[4:5]
	v_mov_b32_e32 v97, v9
	v_pk_add_f32 v[4:5], v[96:97], v[4:5]
	v_mov_b32_e32 v7, v10
	v_pk_add_f32 v[4:5], v[6:7], v[4:5]
	s_waitcnt lgkmcnt(1)
	v_sub_f32_e32 v6, v19, v8
	v_mul_f32_e32 v6, v11, v6
	s_waitcnt lgkmcnt(0)
	v_mul_f32_e32 v10, v6, v3
	s_mov_b64 s[38:39], 0
.LBB65_77:                              ;   in Loop: Header=BB65_55 Depth=1
	s_and_b64 vcc, exec, s[38:39]
	s_cbranch_vccz .LBB65_54
; %bb.78:                               ;   in Loop: Header=BB65_55 Depth=1
	s_load_dword s33, s[4:5], 0x0
	v_mov_b32_e32 v6, 0
	s_waitcnt lgkmcnt(0)
	s_cmp_lt_u32 s2, s33
	s_cselect_b32 s33, 12, 18
	s_add_u32 s38, s4, s33
	s_addc_u32 s39, s5, 0
	global_load_ushort v3, v2, s[38:39]
	s_waitcnt vmcnt(0)
	v_mad_u32_u24 v3, v88, v3, v1
	v_and_b32_e32 v4, 63, v3
	v_cmp_gt_u32_e32 vcc, 8, v4
	v_mov_b32_e32 v3, 0
	s_and_saveexec_b64 s[38:39], vcc
	s_cbranch_execz .LBB65_53
; %bb.79:                               ;   in Loop: Header=BB65_55 Depth=1
	v_mov_b32_e32 v5, v2
	v_lshl_add_u64 v[4:5], v[86:87], 0, v[4:5]
	v_lshl_add_u64 v[4:5], v[4:5], 0, s[12:13]
	v_cmp_gt_i64_e32 vcc, s[8:9], v[4:5]
	v_mov_b32_e32 v3, 0
	v_mov_b32_e32 v6, 0
	s_and_saveexec_b64 s[40:41], vcc
	s_cbranch_execz .LBB65_52
; %bb.80:                               ;   in Loop: Header=BB65_55 Depth=1
	v_lshlrev_b64 v[4:5], 2, v[4:5]
	v_lshl_add_u64 v[8:9], s[18:19], 0, v[4:5]
	v_lshl_add_u64 v[4:5], s[16:17], 0, v[4:5]
	global_load_dword v3, v[4:5], off
	global_load_dword v6, v[8:9], off
	s_branch .LBB65_52
.LBB65_81:
	v_and_b32_e32 v1, 0x3ff, v0
	v_bfe_u32 v0, v0, 10, 10
	v_mad_u32_u24 v2, v0, 33, v1
	v_sub_u32_e32 v7, v2, v0
	s_movk_i32 s3, 0x800
	v_lshl_add_u32 v3, v2, 2, 0
	v_cmp_gt_u32_e32 vcc, s3, v7
	ds_write_b32 v3, v20
	ds_write_b32 v3, v21 offset:1056
	s_waitcnt lgkmcnt(0)
	s_barrier
	s_and_saveexec_b64 s[4:5], vcc
	s_cbranch_execz .LBB65_145
; %bb.82:
	s_load_dwordx4 s[12:15], s[0:1], 0x30
	v_and_b32_e32 v2, 63, v7
	v_lshrrev_b32_e32 v0, 6, v7
	v_cmp_lt_u32_e64 s[6:7], 7, v2
	v_cmp_gt_u32_e64 s[4:5], 8, v2
	v_mul_u32_u24_e32 v6, 33, v2
                                        ; implicit-def: $vgpr2
	s_and_saveexec_b64 s[0:1], s[4:5]
	s_cbranch_execz .LBB65_84
; %bb.83:
	v_add_u32_e32 v2, v0, v6
	v_lshl_add_u32 v2, v2, 2, 0
	ds_read_b32 v3, v2
	ds_read_b32 v2, v2 offset:1056
.LBB65_84:
	s_or_b64 exec, exec, s[0:1]
	v_mbcnt_lo_u32_b32 v4, -1, 0
	v_mbcnt_hi_u32_b32 v10, -1, v4
	v_and_b32_e32 v4, 64, v10
	v_add_u32_e32 v11, 64, v4
	v_cmp_eq_u32_e64 s[0:1], 0, v1
	v_xor_b32_e32 v1, 4, v10
	v_cmp_lt_i32_e32 vcc, v1, v11
	s_mov_b32 s3, 0
	s_lshl_b64 s[2:3], s[2:3], 5
	v_cndmask_b32_e32 v1, v10, v1, vcc
	v_lshlrev_b32_e32 v8, 2, v1
	s_waitcnt lgkmcnt(0)
	ds_bpermute_b32 v5, v8, v3
	ds_bpermute_b32 v4, v8, v2
	v_xor_b32_e32 v1, 2, v10
	v_cmp_lt_i32_e32 vcc, v1, v11
	s_cmp_lg_u64 s[12:13], 0
	s_cselect_b64 s[16:17], -1, 0
	v_cndmask_b32_e32 v1, v10, v1, vcc
	v_lshlrev_b32_e32 v9, 2, v1
	s_waitcnt lgkmcnt(0)
	v_pk_add_f32 v[2:3], v[2:3], v[4:5]
	ds_bpermute_b32 v5, v9, v3
	ds_bpermute_b32 v4, v9, v2
	v_xor_b32_e32 v1, 1, v10
	v_cmp_lt_i32_e32 vcc, v1, v11
	s_cmp_lg_u64 s[14:15], 0
	s_cselect_b64 s[8:9], -1, 0
	v_cndmask_b32_e32 v1, v10, v1, vcc
	v_lshlrev_b32_e32 v10, 2, v1
	s_waitcnt lgkmcnt(0)
	v_pk_add_f32 v[2:3], v[2:3], v[4:5]
	ds_bpermute_b32 v5, v10, v3
	ds_bpermute_b32 v4, v10, v2
	v_mov_b32_e32 v1, 0
	s_waitcnt lgkmcnt(0)
	v_pk_add_f32 v[2:3], v[2:3], v[4:5]
	v_or_b32_e32 v4, s2, v0
	v_mov_b32_e32 v5, s3
	v_cmp_gt_i64_e32 vcc, s[10:11], v[4:5]
	s_and_b64 s[20:21], s[0:1], vcc
	s_and_saveexec_b64 s[18:19], s[20:21]
	s_cbranch_execz .LBB65_89
; %bb.85:
	s_andn2_b64 vcc, exec, s[16:17]
	s_cbranch_vccnz .LBB65_87
; %bb.86:
	v_lshl_add_u64 v[12:13], v[4:5], 2, s[12:13]
	global_store_dword v[12:13], v3, off
.LBB65_87:
	s_andn2_b64 vcc, exec, s[8:9]
	s_cbranch_vccnz .LBB65_89
; %bb.88:
	v_lshl_add_u64 v[4:5], v[4:5], 2, s[14:15]
	global_store_dword v[4:5], v2, off
.LBB65_89:
	s_or_b64 exec, exec, s[18:19]
	s_movk_i32 s18, 0x700
	v_cmp_gt_u32_e32 vcc, s18, v7
	s_and_b64 exec, exec, vcc
	s_cbranch_execz .LBB65_145
; %bb.90:
	s_and_saveexec_b64 s[18:19], s[6:7]
	s_xor_b64 s[18:19], exec, s[18:19]
	s_andn2_saveexec_b64 s[18:19], s[18:19]
	s_cbranch_execz .LBB65_92
; %bb.91:
	v_add_u32_e32 v2, v0, v6
	v_lshl_add_u32 v2, v2, 2, 0
	ds_read_b32 v3, v2 offset:16
	ds_read_b32 v2, v2 offset:1072
.LBB65_92:
	s_or_b64 exec, exec, s[18:19]
	s_waitcnt lgkmcnt(1)
	ds_bpermute_b32 v5, v8, v3
	s_waitcnt lgkmcnt(1)
	ds_bpermute_b32 v4, v8, v2
	v_add_u32_e32 v12, 4, v0
	v_mov_b32_e32 v13, 0
	v_lshl_add_u64 v[12:13], s[2:3], 0, v[12:13]
	v_cmp_gt_i64_e32 vcc, s[10:11], v[12:13]
	s_waitcnt lgkmcnt(0)
	v_pk_add_f32 v[2:3], v[2:3], v[4:5]
	ds_bpermute_b32 v5, v9, v3
	ds_bpermute_b32 v4, v9, v2
	s_and_b64 s[20:21], s[0:1], vcc
	s_waitcnt lgkmcnt(0)
	v_pk_add_f32 v[2:3], v[2:3], v[4:5]
	ds_bpermute_b32 v5, v10, v3
	ds_bpermute_b32 v4, v10, v2
	s_waitcnt lgkmcnt(0)
	v_pk_add_f32 v[2:3], v[2:3], v[4:5]
	s_and_saveexec_b64 s[18:19], s[20:21]
	s_cbranch_execz .LBB65_97
; %bb.93:
	s_andn2_b64 vcc, exec, s[16:17]
	s_cbranch_vccnz .LBB65_95
; %bb.94:
	v_lshl_add_u64 v[4:5], s[2:3], 0, v[0:1]
	v_lshl_add_u64 v[4:5], v[4:5], 2, s[12:13]
	global_store_dword v[4:5], v3, off offset:16
.LBB65_95:
	s_andn2_b64 vcc, exec, s[8:9]
	s_cbranch_vccnz .LBB65_97
; %bb.96:
	v_lshl_add_u64 v[4:5], s[2:3], 0, v[0:1]
	v_lshl_add_u64 v[4:5], v[4:5], 2, s[14:15]
	global_store_dword v[4:5], v2, off offset:16
.LBB65_97:
	s_or_b64 exec, exec, s[18:19]
	s_movk_i32 s18, 0x600
	v_cmp_gt_u32_e32 vcc, s18, v7
	s_and_b64 exec, exec, vcc
	s_cbranch_execz .LBB65_145
; %bb.98:
	s_and_saveexec_b64 s[18:19], s[6:7]
	s_xor_b64 s[18:19], exec, s[18:19]
	s_andn2_saveexec_b64 s[18:19], s[18:19]
	s_cbranch_execz .LBB65_100
; %bb.99:
	v_add_u32_e32 v2, v0, v6
	v_lshl_add_u32 v2, v2, 2, 0
	ds_read_b32 v3, v2 offset:32
	ds_read_b32 v2, v2 offset:1088
.LBB65_100:
	s_or_b64 exec, exec, s[18:19]
	s_waitcnt lgkmcnt(1)
	ds_bpermute_b32 v5, v8, v3
	s_waitcnt lgkmcnt(1)
	ds_bpermute_b32 v4, v8, v2
	v_add_u32_e32 v12, 8, v0
	v_mov_b32_e32 v13, 0
	v_lshl_add_u64 v[12:13], s[2:3], 0, v[12:13]
	v_cmp_gt_i64_e32 vcc, s[10:11], v[12:13]
	s_waitcnt lgkmcnt(0)
	v_pk_add_f32 v[2:3], v[2:3], v[4:5]
	ds_bpermute_b32 v5, v9, v3
	ds_bpermute_b32 v4, v9, v2
	s_and_b64 s[20:21], s[0:1], vcc
	s_waitcnt lgkmcnt(0)
	v_pk_add_f32 v[2:3], v[2:3], v[4:5]
	ds_bpermute_b32 v5, v10, v3
	ds_bpermute_b32 v4, v10, v2
	s_waitcnt lgkmcnt(0)
	v_pk_add_f32 v[2:3], v[2:3], v[4:5]
	s_and_saveexec_b64 s[18:19], s[20:21]
	s_cbranch_execz .LBB65_105
; %bb.101:
	s_andn2_b64 vcc, exec, s[16:17]
	s_cbranch_vccnz .LBB65_103
; %bb.102:
	v_lshl_add_u64 v[4:5], s[2:3], 0, v[0:1]
	v_lshl_add_u64 v[4:5], v[4:5], 2, s[12:13]
	global_store_dword v[4:5], v3, off offset:32
.LBB65_103:
	s_andn2_b64 vcc, exec, s[8:9]
	s_cbranch_vccnz .LBB65_105
; %bb.104:
	v_lshl_add_u64 v[4:5], s[2:3], 0, v[0:1]
	v_lshl_add_u64 v[4:5], v[4:5], 2, s[14:15]
	global_store_dword v[4:5], v2, off offset:32
.LBB65_105:
	;; [unrolled: 53-line block ×3, first 2 shown]
	s_or_b64 exec, exec, s[18:19]
	s_movk_i32 s18, 0x400
	v_cmp_gt_u32_e32 vcc, s18, v7
	s_and_b64 exec, exec, vcc
	s_cbranch_execz .LBB65_145
; %bb.114:
	s_and_saveexec_b64 s[18:19], s[6:7]
	s_xor_b64 s[18:19], exec, s[18:19]
	s_andn2_saveexec_b64 s[18:19], s[18:19]
	s_cbranch_execz .LBB65_116
; %bb.115:
	v_add_u32_e32 v2, v0, v6
	v_lshl_add_u32 v2, v2, 2, 0
	ds_read_b32 v3, v2 offset:64
	ds_read_b32 v2, v2 offset:1120
.LBB65_116:
	s_or_b64 exec, exec, s[18:19]
	s_waitcnt lgkmcnt(1)
	ds_bpermute_b32 v5, v8, v3
	s_waitcnt lgkmcnt(1)
	ds_bpermute_b32 v4, v8, v2
	v_add_u32_e32 v11, 16, v0
	v_mov_b32_e32 v13, s3
	v_or_b32_e32 v12, s2, v11
	v_cmp_gt_i64_e32 vcc, s[10:11], v[12:13]
	s_waitcnt lgkmcnt(0)
	v_pk_add_f32 v[2:3], v[2:3], v[4:5]
	ds_bpermute_b32 v5, v9, v3
	ds_bpermute_b32 v4, v9, v2
	s_and_b64 s[20:21], s[0:1], vcc
	s_waitcnt lgkmcnt(0)
	v_pk_add_f32 v[2:3], v[2:3], v[4:5]
	ds_bpermute_b32 v5, v10, v3
	ds_bpermute_b32 v4, v10, v2
	s_waitcnt lgkmcnt(0)
	v_pk_add_f32 v[2:3], v[2:3], v[4:5]
	s_and_saveexec_b64 s[18:19], s[20:21]
	s_cbranch_execz .LBB65_121
; %bb.117:
	s_andn2_b64 vcc, exec, s[16:17]
	s_cbranch_vccnz .LBB65_119
; %bb.118:
	v_lshl_add_u64 v[4:5], s[2:3], 0, v[0:1]
	v_lshl_add_u64 v[4:5], v[4:5], 2, s[12:13]
	global_store_dword v[4:5], v3, off offset:64
.LBB65_119:
	s_andn2_b64 vcc, exec, s[8:9]
	s_cbranch_vccnz .LBB65_121
; %bb.120:
	v_lshl_add_u64 v[4:5], s[2:3], 0, v[0:1]
	v_lshl_add_u64 v[4:5], v[4:5], 2, s[14:15]
	global_store_dword v[4:5], v2, off offset:64
.LBB65_121:
	s_or_b64 exec, exec, s[18:19]
	s_movk_i32 s18, 0x300
	v_cmp_gt_u32_e32 vcc, s18, v7
	s_and_b64 exec, exec, vcc
	s_cbranch_execz .LBB65_145
; %bb.122:
	s_and_saveexec_b64 s[18:19], s[6:7]
	s_xor_b64 s[18:19], exec, s[18:19]
	s_andn2_saveexec_b64 s[18:19], s[18:19]
	s_cbranch_execz .LBB65_124
; %bb.123:
	v_add_u32_e32 v2, v0, v6
	v_lshl_add_u32 v2, v2, 2, 0
	ds_read_b32 v3, v2 offset:80
	ds_read_b32 v2, v2 offset:1136
.LBB65_124:
	s_or_b64 exec, exec, s[18:19]
	s_waitcnt lgkmcnt(1)
	ds_bpermute_b32 v5, v8, v3
	s_waitcnt lgkmcnt(1)
	ds_bpermute_b32 v4, v8, v2
	v_add_u32_e32 v12, 20, v0
	v_mov_b32_e32 v13, 0
	v_lshl_add_u64 v[12:13], s[2:3], 0, v[12:13]
	v_cmp_gt_i64_e32 vcc, s[10:11], v[12:13]
	s_waitcnt lgkmcnt(0)
	v_pk_add_f32 v[2:3], v[2:3], v[4:5]
	ds_bpermute_b32 v5, v9, v3
	ds_bpermute_b32 v4, v9, v2
	s_and_b64 s[20:21], s[0:1], vcc
	s_waitcnt lgkmcnt(0)
	v_pk_add_f32 v[2:3], v[2:3], v[4:5]
	ds_bpermute_b32 v5, v10, v3
	ds_bpermute_b32 v4, v10, v2
	s_waitcnt lgkmcnt(0)
	v_pk_add_f32 v[2:3], v[2:3], v[4:5]
	s_and_saveexec_b64 s[18:19], s[20:21]
	s_cbranch_execz .LBB65_129
; %bb.125:
	s_andn2_b64 vcc, exec, s[16:17]
	s_cbranch_vccnz .LBB65_127
; %bb.126:
	v_lshl_add_u64 v[4:5], s[2:3], 0, v[0:1]
	v_lshl_add_u64 v[4:5], v[4:5], 2, s[12:13]
	global_store_dword v[4:5], v3, off offset:80
.LBB65_127:
	s_andn2_b64 vcc, exec, s[8:9]
	s_cbranch_vccnz .LBB65_129
; %bb.128:
	v_lshl_add_u64 v[4:5], s[2:3], 0, v[0:1]
	v_lshl_add_u64 v[4:5], v[4:5], 2, s[14:15]
	global_store_dword v[4:5], v2, off offset:80
.LBB65_129:
	s_or_b64 exec, exec, s[18:19]
	s_movk_i32 s18, 0x200
	v_cmp_gt_u32_e32 vcc, s18, v7
	s_and_b64 exec, exec, vcc
	s_cbranch_execz .LBB65_145
; %bb.130:
	s_and_saveexec_b64 s[18:19], s[6:7]
	s_xor_b64 s[6:7], exec, s[18:19]
	s_andn2_saveexec_b64 s[6:7], s[6:7]
	s_cbranch_execz .LBB65_132
; %bb.131:
	v_add_u32_e32 v2, v0, v6
	v_lshl_add_u32 v2, v2, 2, 0
	ds_read_b32 v3, v2 offset:96
	ds_read_b32 v2, v2 offset:1152
.LBB65_132:
	s_or_b64 exec, exec, s[6:7]
	s_waitcnt lgkmcnt(1)
	ds_bpermute_b32 v5, v8, v3
	s_waitcnt lgkmcnt(1)
	ds_bpermute_b32 v4, v8, v2
	v_add_u32_e32 v11, 24, v0
	v_mov_b32_e32 v13, s3
	v_or_b32_e32 v12, s2, v11
	v_cmp_gt_i64_e32 vcc, s[10:11], v[12:13]
	s_waitcnt lgkmcnt(0)
	v_pk_add_f32 v[2:3], v[2:3], v[4:5]
	ds_bpermute_b32 v5, v9, v3
	ds_bpermute_b32 v4, v9, v2
	s_and_b64 s[18:19], s[0:1], vcc
	s_waitcnt lgkmcnt(0)
	v_pk_add_f32 v[2:3], v[2:3], v[4:5]
	ds_bpermute_b32 v5, v10, v3
	ds_bpermute_b32 v4, v10, v2
	s_waitcnt lgkmcnt(0)
	v_pk_add_f32 v[2:3], v[2:3], v[4:5]
	s_and_saveexec_b64 s[6:7], s[18:19]
	s_cbranch_execz .LBB65_137
; %bb.133:
	s_andn2_b64 vcc, exec, s[16:17]
	s_cbranch_vccnz .LBB65_135
; %bb.134:
	v_lshl_add_u64 v[4:5], s[2:3], 0, v[0:1]
	v_lshl_add_u64 v[4:5], v[4:5], 2, s[12:13]
	global_store_dword v[4:5], v3, off offset:96
.LBB65_135:
	s_andn2_b64 vcc, exec, s[8:9]
	s_cbranch_vccnz .LBB65_137
; %bb.136:
	v_lshl_add_u64 v[4:5], s[2:3], 0, v[0:1]
	v_lshl_add_u64 v[4:5], v[4:5], 2, s[14:15]
	global_store_dword v[4:5], v2, off offset:96
.LBB65_137:
	s_or_b64 exec, exec, s[6:7]
	s_movk_i32 s6, 0x100
	v_cmp_gt_u32_e32 vcc, s6, v7
	s_and_b64 exec, exec, vcc
	s_cbranch_execz .LBB65_145
; %bb.138:
	s_and_saveexec_b64 s[6:7], s[4:5]
	s_cbranch_execz .LBB65_140
; %bb.139:
	v_add_u32_e32 v2, v0, v6
	v_lshl_add_u32 v2, v2, 2, 0
	ds_read_b32 v3, v2 offset:112
	ds_read_b32 v2, v2 offset:1168
.LBB65_140:
	s_or_b64 exec, exec, s[6:7]
	s_waitcnt lgkmcnt(1)
	ds_bpermute_b32 v4, v8, v3
	s_waitcnt lgkmcnt(1)
	ds_bpermute_b32 v5, v8, v2
	v_add_u32_e32 v6, 28, v0
	v_or_b32_e32 v6, s2, v6
	v_mov_b32_e32 v7, s3
	s_waitcnt lgkmcnt(1)
	v_add_f32_e32 v3, v3, v4
	s_waitcnt lgkmcnt(0)
	v_add_f32_e32 v2, v2, v5
	ds_bpermute_b32 v4, v9, v3
	ds_bpermute_b32 v5, v9, v2
	v_cmp_gt_i64_e32 vcc, s[10:11], v[6:7]
	s_and_b64 s[0:1], s[0:1], vcc
	s_waitcnt lgkmcnt(1)
	v_add_f32_e32 v4, v3, v4
	s_waitcnt lgkmcnt(0)
	v_add_f32_e32 v2, v2, v5
	ds_bpermute_b32 v5, v10, v4
	ds_bpermute_b32 v3, v10, v2
	s_and_b64 exec, exec, s[0:1]
	s_cbranch_execz .LBB65_145
; %bb.141:
	s_andn2_b64 vcc, exec, s[16:17]
	v_lshl_add_u64 v[0:1], s[2:3], 0, v[0:1]
	s_cbranch_vccnz .LBB65_143
; %bb.142:
	s_waitcnt lgkmcnt(1)
	v_add_f32_e32 v6, v4, v5
	v_lshl_add_u64 v[4:5], v[0:1], 2, s[12:13]
	global_store_dword v[4:5], v6, off offset:112
.LBB65_143:
	s_andn2_b64 vcc, exec, s[8:9]
	s_cbranch_vccnz .LBB65_145
; %bb.144:
	s_waitcnt lgkmcnt(0)
	v_add_f32_e32 v2, v2, v3
	v_lshl_add_u64 v[0:1], v[0:1], 2, s[14:15]
	global_store_dword v[0:1], v2, off offset:112
.LBB65_145:
	s_endpgm
	.section	.rodata,"a",@progbits
	.p2align	6, 0x0
	.amdhsa_kernel _ZN2at6native12_GLOBAL__N_135GammaBetaBackwardCUDAKernelTemplateIffLj32ELj8ELj64ELb0ELb0ELb0EEEvllPKT_S5_PKT0_S8_PS3_S9_
		.amdhsa_group_segment_fixed_size 0
		.amdhsa_private_segment_fixed_size 0
		.amdhsa_kernarg_size 320
		.amdhsa_user_sgpr_count 2
		.amdhsa_user_sgpr_dispatch_ptr 0
		.amdhsa_user_sgpr_queue_ptr 0
		.amdhsa_user_sgpr_kernarg_segment_ptr 1
		.amdhsa_user_sgpr_dispatch_id 0
		.amdhsa_user_sgpr_kernarg_preload_length 0
		.amdhsa_user_sgpr_kernarg_preload_offset 0
		.amdhsa_user_sgpr_private_segment_size 0
		.amdhsa_uses_dynamic_stack 0
		.amdhsa_enable_private_segment 0
		.amdhsa_system_sgpr_workgroup_id_x 1
		.amdhsa_system_sgpr_workgroup_id_y 1
		.amdhsa_system_sgpr_workgroup_id_z 0
		.amdhsa_system_sgpr_workgroup_info 0
		.amdhsa_system_vgpr_workitem_id 1
		.amdhsa_next_free_vgpr 104
		.amdhsa_next_free_sgpr 52
		.amdhsa_accum_offset 104
		.amdhsa_reserve_vcc 1
		.amdhsa_float_round_mode_32 0
		.amdhsa_float_round_mode_16_64 0
		.amdhsa_float_denorm_mode_32 3
		.amdhsa_float_denorm_mode_16_64 3
		.amdhsa_dx10_clamp 1
		.amdhsa_ieee_mode 1
		.amdhsa_fp16_overflow 0
		.amdhsa_tg_split 0
		.amdhsa_exception_fp_ieee_invalid_op 0
		.amdhsa_exception_fp_denorm_src 0
		.amdhsa_exception_fp_ieee_div_zero 0
		.amdhsa_exception_fp_ieee_overflow 0
		.amdhsa_exception_fp_ieee_underflow 0
		.amdhsa_exception_fp_ieee_inexact 0
		.amdhsa_exception_int_div_zero 0
	.end_amdhsa_kernel
	.section	.text._ZN2at6native12_GLOBAL__N_135GammaBetaBackwardCUDAKernelTemplateIffLj32ELj8ELj64ELb0ELb0ELb0EEEvllPKT_S5_PKT0_S8_PS3_S9_,"axG",@progbits,_ZN2at6native12_GLOBAL__N_135GammaBetaBackwardCUDAKernelTemplateIffLj32ELj8ELj64ELb0ELb0ELb0EEEvllPKT_S5_PKT0_S8_PS3_S9_,comdat
.Lfunc_end65:
	.size	_ZN2at6native12_GLOBAL__N_135GammaBetaBackwardCUDAKernelTemplateIffLj32ELj8ELj64ELb0ELb0ELb0EEEvllPKT_S5_PKT0_S8_PS3_S9_, .Lfunc_end65-_ZN2at6native12_GLOBAL__N_135GammaBetaBackwardCUDAKernelTemplateIffLj32ELj8ELj64ELb0ELb0ELb0EEEvllPKT_S5_PKT0_S8_PS3_S9_
                                        ; -- End function
	.set _ZN2at6native12_GLOBAL__N_135GammaBetaBackwardCUDAKernelTemplateIffLj32ELj8ELj64ELb0ELb0ELb0EEEvllPKT_S5_PKT0_S8_PS3_S9_.num_vgpr, 104
	.set _ZN2at6native12_GLOBAL__N_135GammaBetaBackwardCUDAKernelTemplateIffLj32ELj8ELj64ELb0ELb0ELb0EEEvllPKT_S5_PKT0_S8_PS3_S9_.num_agpr, 0
	.set _ZN2at6native12_GLOBAL__N_135GammaBetaBackwardCUDAKernelTemplateIffLj32ELj8ELj64ELb0ELb0ELb0EEEvllPKT_S5_PKT0_S8_PS3_S9_.numbered_sgpr, 52
	.set _ZN2at6native12_GLOBAL__N_135GammaBetaBackwardCUDAKernelTemplateIffLj32ELj8ELj64ELb0ELb0ELb0EEEvllPKT_S5_PKT0_S8_PS3_S9_.num_named_barrier, 0
	.set _ZN2at6native12_GLOBAL__N_135GammaBetaBackwardCUDAKernelTemplateIffLj32ELj8ELj64ELb0ELb0ELb0EEEvllPKT_S5_PKT0_S8_PS3_S9_.private_seg_size, 0
	.set _ZN2at6native12_GLOBAL__N_135GammaBetaBackwardCUDAKernelTemplateIffLj32ELj8ELj64ELb0ELb0ELb0EEEvllPKT_S5_PKT0_S8_PS3_S9_.uses_vcc, 1
	.set _ZN2at6native12_GLOBAL__N_135GammaBetaBackwardCUDAKernelTemplateIffLj32ELj8ELj64ELb0ELb0ELb0EEEvllPKT_S5_PKT0_S8_PS3_S9_.uses_flat_scratch, 0
	.set _ZN2at6native12_GLOBAL__N_135GammaBetaBackwardCUDAKernelTemplateIffLj32ELj8ELj64ELb0ELb0ELb0EEEvllPKT_S5_PKT0_S8_PS3_S9_.has_dyn_sized_stack, 0
	.set _ZN2at6native12_GLOBAL__N_135GammaBetaBackwardCUDAKernelTemplateIffLj32ELj8ELj64ELb0ELb0ELb0EEEvllPKT_S5_PKT0_S8_PS3_S9_.has_recursion, 0
	.set _ZN2at6native12_GLOBAL__N_135GammaBetaBackwardCUDAKernelTemplateIffLj32ELj8ELj64ELb0ELb0ELb0EEEvllPKT_S5_PKT0_S8_PS3_S9_.has_indirect_call, 0
	.section	.AMDGPU.csdata,"",@progbits
; Kernel info:
; codeLenInByte = 8692
; TotalNumSgprs: 58
; NumVgprs: 104
; NumAgprs: 0
; TotalNumVgprs: 104
; ScratchSize: 0
; MemoryBound: 0
; FloatMode: 240
; IeeeMode: 1
; LDSByteSize: 0 bytes/workgroup (compile time only)
; SGPRBlocks: 7
; VGPRBlocks: 12
; NumSGPRsForWavesPerEU: 58
; NumVGPRsForWavesPerEU: 104
; AccumOffset: 104
; Occupancy: 4
; WaveLimiterHint : 0
; COMPUTE_PGM_RSRC2:SCRATCH_EN: 0
; COMPUTE_PGM_RSRC2:USER_SGPR: 2
; COMPUTE_PGM_RSRC2:TRAP_HANDLER: 0
; COMPUTE_PGM_RSRC2:TGID_X_EN: 1
; COMPUTE_PGM_RSRC2:TGID_Y_EN: 1
; COMPUTE_PGM_RSRC2:TGID_Z_EN: 0
; COMPUTE_PGM_RSRC2:TIDIG_COMP_CNT: 1
; COMPUTE_PGM_RSRC3_GFX90A:ACCUM_OFFSET: 25
; COMPUTE_PGM_RSRC3_GFX90A:TG_SPLIT: 0
	.section	.text._ZN2at6native12_GLOBAL__N_135GammaBetaBackwardCUDAKernelTemplateIffLj32ELj16ELj128ELb0ELb1ELb0EEEvllPKT_S5_PKT0_S8_PS3_S9_,"axG",@progbits,_ZN2at6native12_GLOBAL__N_135GammaBetaBackwardCUDAKernelTemplateIffLj32ELj16ELj128ELb0ELb1ELb0EEEvllPKT_S5_PKT0_S8_PS3_S9_,comdat
	.globl	_ZN2at6native12_GLOBAL__N_135GammaBetaBackwardCUDAKernelTemplateIffLj32ELj16ELj128ELb0ELb1ELb0EEEvllPKT_S5_PKT0_S8_PS3_S9_ ; -- Begin function _ZN2at6native12_GLOBAL__N_135GammaBetaBackwardCUDAKernelTemplateIffLj32ELj16ELj128ELb0ELb1ELb0EEEvllPKT_S5_PKT0_S8_PS3_S9_
	.p2align	8
	.type	_ZN2at6native12_GLOBAL__N_135GammaBetaBackwardCUDAKernelTemplateIffLj32ELj16ELj128ELb0ELb1ELb0EEEvllPKT_S5_PKT0_S8_PS3_S9_,@function
_ZN2at6native12_GLOBAL__N_135GammaBetaBackwardCUDAKernelTemplateIffLj32ELj16ELj128ELb0ELb1ELb0EEEvllPKT_S5_PKT0_S8_PS3_S9_: ; @_ZN2at6native12_GLOBAL__N_135GammaBetaBackwardCUDAKernelTemplateIffLj32ELj16ELj128ELb0ELb1ELb0EEEvllPKT_S5_PKT0_S8_PS3_S9_
; %bb.0:
	s_load_dwordx4 s[16:19], s[0:1], 0x0
	s_lshl_b32 s20, s3, 7
	s_mov_b32 s21, 0
	v_mov_b64_e32 v[2:3], s[20:21]
	v_bfe_u32 v12, v0, 10, 10
	s_waitcnt lgkmcnt(0)
	v_cmp_gt_i64_e32 vcc, s[16:17], v[2:3]
	s_cbranch_vccnz .LBB66_2
; %bb.1:
	s_mov_b64 s[4:5], 0
	v_bfe_u32 v2, v0, 10, 10
	s_branch .LBB66_3
.LBB66_2:
	s_mov_b64 s[4:5], -1
                                        ; implicit-def: $vgpr2
.LBB66_3:
	s_load_dwordx4 s[12:15], s[0:1], 0x30
	v_mov_b32_e32 v1, 0
	v_and_b32_e32 v10, 0x3ff, v0
	s_andn2_b64 vcc, exec, s[4:5]
	v_mbcnt_lo_u32_b32 v11, -1, 0
	v_mov_b32_e32 v0, v1
	s_cbranch_vccnz .LBB66_11
; %bb.4:
	s_load_dword s3, s[0:1], 0x4c
	s_load_dword s22, s[0:1], 0x44
	s_load_dwordx8 s[4:11], s[0:1], 0x10
	v_lshlrev_b32_e32 v0, 3, v12
	v_mbcnt_hi_u32_b32 v4, -1, v11
	s_waitcnt lgkmcnt(0)
	s_and_b32 s0, s3, 0xffff
	v_mad_u32_u24 v1, v12, s0, v10
	v_and_b32_e32 v2, 63, v1
	v_mov_b32_e32 v1, 0
	v_mov_b32_e32 v3, v1
	v_lshl_add_u64 v[8:9], v[0:1], 0, s[20:21]
	v_cmp_gt_u32_e64 s[0:1], 8, v2
	s_lshl_b32 s22, s22, 7
	v_lshl_add_u64 v[2:3], v[8:9], 0, v[2:3]
	v_mul_lo_u32 v0, s19, v8
	v_mul_lo_u32 v21, s18, v9
	v_mad_u64_u32 v[8:9], s[26:27], s18, v8, 0
	v_lshl_add_u32 v6, s2, 5, v10
	v_mov_b32_e32 v7, v1
	v_lshlrev_b32_e32 v4, 2, v4
	s_mul_i32 s3, s19, s22
	s_mul_hi_u32 s26, s18, s22
	s_mov_b32 s23, 0
	v_and_b32_e32 v13, 0x100, v4
	v_add3_u32 v9, v9, v21, v0
	v_lshlrev_b64 v[6:7], 2, v[6:7]
	s_add_i32 s27, s26, s3
	s_mul_i32 s26, s18, s22
	v_or_b32_e32 v14, 4, v13
	v_or_b32_e32 v15, 8, v13
	;; [unrolled: 1-line block ×7, first 2 shown]
	v_lshlrev_b64 v[4:5], 2, v[2:3]
	s_lshl_b64 s[24:25], s[22:23], 2
	v_lshl_add_u64 v[6:7], v[8:9], 2, v[6:7]
	s_lshl_b64 s[26:27], s[26:27], 2
	s_lshl_b64 s[18:19], s[18:19], 2
	v_mov_b64_e32 v[8:9], s[16:17]
	v_mov_b32_e32 v0, v1
	s_branch .LBB66_7
.LBB66_5:                               ;   in Loop: Header=BB66_7 Depth=1
	s_or_b64 exec, exec, s[30:31]
.LBB66_6:                               ;   in Loop: Header=BB66_7 Depth=1
	s_or_b64 exec, exec, s[28:29]
	v_lshl_add_u64 v[26:27], s[6:7], 0, v[6:7]
	v_lshl_add_u64 v[24:25], s[4:5], 0, v[6:7]
	global_load_dword v28, v[26:27], off
	v_lshl_add_u64 v[26:27], v[26:27], 0, s[18:19]
	global_load_dword v23, v[24:25], off
	v_lshl_add_u64 v[24:25], v[24:25], 0, s[18:19]
	global_load_dword v30, v[26:27], off
	v_lshl_add_u64 v[26:27], v[26:27], 0, s[18:19]
	global_load_dword v29, v[24:25], off
	v_lshl_add_u64 v[24:25], v[24:25], 0, s[18:19]
	global_load_dword v32, v[26:27], off
	global_load_dword v31, v[24:25], off
	v_lshl_add_u64 v[26:27], v[26:27], 0, s[18:19]
	global_load_dword v34, v[26:27], off
	v_lshl_add_u64 v[24:25], v[24:25], 0, s[18:19]
	v_lshl_add_u64 v[26:27], v[26:27], 0, s[18:19]
	global_load_dword v33, v[24:25], off
	global_load_dword v36, v[26:27], off
	v_lshl_add_u64 v[24:25], v[24:25], 0, s[18:19]
	v_lshl_add_u64 v[26:27], v[26:27], 0, s[18:19]
	global_load_dword v35, v[24:25], off
	;; [unrolled: 4-line block ×4, first 2 shown]
	v_lshl_add_u64 v[24:25], v[24:25], 0, s[18:19]
	global_load_dword v26, v[26:27], off
	s_waitcnt vmcnt(16)
	ds_bpermute_b32 v27, v13, v21
	global_load_dword v25, v[24:25], off
	ds_bpermute_b32 v42, v14, v21
	s_waitcnt vmcnt(16)
	ds_bpermute_b32 v24, v13, v22
	ds_bpermute_b32 v44, v15, v21
	;; [unrolled: 1-line block ×14, first 2 shown]
	s_add_u32 s20, s20, s22
	s_addc_u32 s21, s21, 0
	v_cmp_lt_i64_e32 vcc, s[20:21], v[8:9]
	v_lshl_add_u64 v[4:5], v[4:5], 0, s[24:25]
	v_lshl_add_u64 v[2:3], v[2:3], 0, s[22:23]
	;; [unrolled: 1-line block ×3, first 2 shown]
	s_and_b64 vcc, exec, vcc
	s_waitcnt vmcnt(15) lgkmcnt(14)
	v_sub_f32_e32 v22, v28, v27
	s_waitcnt vmcnt(14)
	v_mul_f32_e32 v22, v23, v22
	s_waitcnt lgkmcnt(13)
	v_mul_f32_e32 v22, v22, v24
	s_waitcnt vmcnt(13)
	v_sub_f32_e32 v27, v30, v42
	v_pk_add_f32 v[0:1], v[0:1], v[22:23]
	s_waitcnt vmcnt(12)
	v_mul_f32_e32 v24, v29, v27
	s_waitcnt vmcnt(11) lgkmcnt(12)
	v_sub_f32_e32 v27, v32, v44
	s_waitcnt lgkmcnt(11)
	v_mul_f32_e32 v28, v24, v41
	s_waitcnt vmcnt(10)
	v_mul_f32_e32 v24, v31, v27
	s_waitcnt vmcnt(9) lgkmcnt(10)
	v_sub_f32_e32 v27, v34, v46
	s_waitcnt lgkmcnt(9)
	v_mul_f32_e32 v30, v24, v43
	v_pk_add_f32 v[0:1], v[0:1], v[28:29]
	s_waitcnt vmcnt(8)
	v_mul_f32_e32 v22, v33, v27
	s_waitcnt vmcnt(7) lgkmcnt(8)
	v_sub_f32_e32 v23, v36, v48
	s_waitcnt lgkmcnt(7)
	v_mul_f32_e32 v32, v22, v45
	v_pk_add_f32 v[0:1], v[0:1], v[30:31]
	s_waitcnt vmcnt(6)
	v_mul_f32_e32 v22, v35, v23
	s_waitcnt vmcnt(5) lgkmcnt(4)
	v_sub_f32_e32 v23, v38, v50
	v_mul_f32_e32 v34, v22, v47
	v_pk_add_f32 v[0:1], v[0:1], v[32:33]
	s_waitcnt vmcnt(4)
	v_mul_f32_e32 v22, v37, v23
	s_waitcnt vmcnt(3) lgkmcnt(1)
	v_sub_f32_e32 v23, v40, v52
	v_mul_f32_e32 v36, v22, v49
	v_pk_add_f32 v[0:1], v[0:1], v[34:35]
	s_waitcnt vmcnt(2)
	v_mul_f32_e32 v22, v39, v23
	v_mul_f32_e32 v38, v22, v51
	s_waitcnt vmcnt(1) lgkmcnt(0)
	v_sub_f32_e32 v21, v26, v21
	v_pk_add_f32 v[0:1], v[0:1], v[36:37]
	s_waitcnt vmcnt(0)
	v_mul_f32_e32 v21, v25, v21
	v_pk_add_f32 v[0:1], v[0:1], v[38:39]
	v_mul_f32_e32 v24, v21, v53
	v_pk_add_f32 v[0:1], v[0:1], v[24:25]
	s_cbranch_vccz .LBB66_10
.LBB66_7:                               ; =>This Inner Loop Header: Depth=1
	v_mov_b32_e32 v22, 0
	v_mov_b32_e32 v21, 0
	s_and_saveexec_b64 s[28:29], s[0:1]
	s_cbranch_execz .LBB66_6
; %bb.8:                                ;   in Loop: Header=BB66_7 Depth=1
	v_cmp_gt_i64_e32 vcc, s[16:17], v[2:3]
	v_mov_b32_e32 v21, 0
	v_mov_b32_e32 v22, 0
	s_and_saveexec_b64 s[30:31], vcc
	s_cbranch_execz .LBB66_5
; %bb.9:                                ;   in Loop: Header=BB66_7 Depth=1
	v_lshl_add_u64 v[26:27], s[8:9], 0, v[4:5]
	v_lshl_add_u64 v[24:25], s[10:11], 0, v[4:5]
	global_load_dword v21, v[26:27], off
	global_load_dword v22, v[24:25], off
	s_branch .LBB66_5
.LBB66_10:
	v_mov_b32_e32 v2, v12
.LBB66_11:
	v_mad_u32_u24 v3, v2, 33, v10
	v_sub_u32_e32 v7, v3, v2
	s_movk_i32 s0, 0x800
	v_lshl_add_u32 v4, v3, 2, 0
	v_cmp_gt_u32_e32 vcc, s0, v7
	ds_write_b32 v4, v0
	ds_write_b32 v4, v1 offset:2112
	s_waitcnt lgkmcnt(0)
	s_barrier
	s_and_saveexec_b64 s[0:1], vcc
	s_cbranch_execz .LBB66_43
; %bb.12:
	v_and_b32_e32 v1, 63, v7
	v_lshrrev_b32_e32 v0, 6, v7
	v_cmp_lt_u32_e64 s[4:5], 15, v1
	v_cmp_gt_u32_e64 s[0:1], 16, v1
	v_mul_u32_u24_e32 v6, 33, v1
                                        ; implicit-def: $vgpr2
	s_and_saveexec_b64 s[6:7], s[0:1]
	s_cbranch_execz .LBB66_14
; %bb.13:
	v_add_u32_e32 v1, v0, v6
	v_lshl_add_u32 v1, v1, 2, 0
	ds_read_b32 v3, v1
	ds_read_b32 v2, v1 offset:2112
.LBB66_14:
	s_or_b64 exec, exec, s[6:7]
	v_mbcnt_hi_u32_b32 v1, -1, v11
	v_and_b32_e32 v4, 64, v1
	v_add_u32_e32 v12, 64, v4
	v_xor_b32_e32 v4, 8, v1
	v_cmp_lt_i32_e32 vcc, v4, v12
	v_xor_b32_e32 v9, 4, v1
	v_xor_b32_e32 v11, 2, v1
	v_cndmask_b32_e32 v4, v1, v4, vcc
	v_lshlrev_b32_e32 v8, 2, v4
	s_waitcnt lgkmcnt(1)
	ds_bpermute_b32 v5, v8, v3
	s_waitcnt lgkmcnt(1)
	ds_bpermute_b32 v4, v8, v2
	v_cmp_lt_i32_e32 vcc, v9, v12
	s_mov_b32 s3, 0
	s_lshl_b64 s[6:7], s[2:3], 5
	v_cndmask_b32_e32 v9, v1, v9, vcc
	v_lshlrev_b32_e32 v9, 2, v9
	s_waitcnt lgkmcnt(0)
	v_pk_add_f32 v[2:3], v[2:3], v[4:5]
	ds_bpermute_b32 v5, v9, v3
	ds_bpermute_b32 v4, v9, v2
	v_cmp_lt_i32_e32 vcc, v11, v12
	v_cmp_eq_u32_e64 s[2:3], 0, v10
	s_cmp_lg_u64 s[12:13], 0
	v_cndmask_b32_e32 v11, v1, v11, vcc
	v_lshlrev_b32_e32 v11, 2, v11
	s_waitcnt lgkmcnt(0)
	v_pk_add_f32 v[2:3], v[2:3], v[4:5]
	ds_bpermute_b32 v5, v11, v3
	ds_bpermute_b32 v4, v11, v2
	s_cselect_b64 s[10:11], -1, 0
	s_cmp_lg_u64 s[14:15], 0
	s_cselect_b64 s[8:9], -1, 0
	s_waitcnt lgkmcnt(0)
	v_pk_add_f32 v[2:3], v[2:3], v[4:5]
	v_xor_b32_e32 v4, 1, v1
	v_cmp_lt_i32_e32 vcc, v4, v12
	s_nop 1
	v_cndmask_b32_e32 v1, v1, v4, vcc
	v_lshlrev_b32_e32 v10, 2, v1
	ds_bpermute_b32 v5, v10, v3
	ds_bpermute_b32 v4, v10, v2
	v_mov_b32_e32 v1, 0
	s_waitcnt lgkmcnt(0)
	v_pk_add_f32 v[2:3], v[2:3], v[4:5]
	s_and_saveexec_b64 s[16:17], s[2:3]
	s_cbranch_execz .LBB66_19
; %bb.15:
	v_mov_b32_e32 v5, s7
	s_andn2_b64 vcc, exec, s[10:11]
	v_or_b32_e32 v4, s6, v0
	s_cbranch_vccnz .LBB66_17
; %bb.16:
	v_lshl_add_u64 v[12:13], v[4:5], 2, s[12:13]
	global_store_dword v[12:13], v3, off
.LBB66_17:
	s_andn2_b64 vcc, exec, s[8:9]
	s_cbranch_vccnz .LBB66_19
; %bb.18:
	v_lshl_add_u64 v[4:5], v[4:5], 2, s[14:15]
	global_store_dword v[4:5], v2, off
.LBB66_19:
	s_or_b64 exec, exec, s[16:17]
	s_movk_i32 s16, 0x600
	v_cmp_gt_u32_e32 vcc, s16, v7
	s_and_b64 exec, exec, vcc
	s_cbranch_execz .LBB66_43
; %bb.20:
	s_and_saveexec_b64 s[16:17], s[4:5]
	s_xor_b64 s[16:17], exec, s[16:17]
	s_andn2_saveexec_b64 s[16:17], s[16:17]
	s_cbranch_execz .LBB66_22
; %bb.21:
	v_add_u32_e32 v2, v0, v6
	v_lshl_add_u32 v2, v2, 2, 0
	ds_read_b32 v3, v2 offset:32
	ds_read_b32 v2, v2 offset:2144
.LBB66_22:
	s_or_b64 exec, exec, s[16:17]
	s_waitcnt lgkmcnt(1)
	ds_bpermute_b32 v5, v8, v3
	s_waitcnt lgkmcnt(1)
	ds_bpermute_b32 v4, v8, v2
	s_waitcnt lgkmcnt(0)
	v_pk_add_f32 v[2:3], v[2:3], v[4:5]
	ds_bpermute_b32 v5, v9, v3
	ds_bpermute_b32 v4, v9, v2
	s_waitcnt lgkmcnt(0)
	v_pk_add_f32 v[2:3], v[2:3], v[4:5]
	ds_bpermute_b32 v5, v11, v3
	;; [unrolled: 4-line block ×3, first 2 shown]
	ds_bpermute_b32 v4, v10, v2
	s_waitcnt lgkmcnt(0)
	v_pk_add_f32 v[2:3], v[2:3], v[4:5]
	s_and_saveexec_b64 s[16:17], s[2:3]
	s_cbranch_execz .LBB66_27
; %bb.23:
	s_andn2_b64 vcc, exec, s[10:11]
	s_cbranch_vccnz .LBB66_25
; %bb.24:
	v_lshl_add_u64 v[4:5], s[6:7], 0, v[0:1]
	v_lshl_add_u64 v[4:5], v[4:5], 2, s[12:13]
	global_store_dword v[4:5], v3, off offset:32
.LBB66_25:
	s_andn2_b64 vcc, exec, s[8:9]
	s_cbranch_vccnz .LBB66_27
; %bb.26:
	v_lshl_add_u64 v[4:5], s[6:7], 0, v[0:1]
	v_lshl_add_u64 v[4:5], v[4:5], 2, s[14:15]
	global_store_dword v[4:5], v2, off offset:32
.LBB66_27:
	s_or_b64 exec, exec, s[16:17]
	s_movk_i32 s16, 0x400
	v_cmp_gt_u32_e32 vcc, s16, v7
	s_and_b64 exec, exec, vcc
	s_cbranch_execz .LBB66_43
; %bb.28:
	s_and_saveexec_b64 s[16:17], s[4:5]
	s_xor_b64 s[4:5], exec, s[16:17]
	s_andn2_saveexec_b64 s[4:5], s[4:5]
	s_cbranch_execz .LBB66_30
; %bb.29:
	v_add_u32_e32 v2, v0, v6
	v_lshl_add_u32 v2, v2, 2, 0
	ds_read_b32 v3, v2 offset:64
	ds_read_b32 v2, v2 offset:2176
.LBB66_30:
	s_or_b64 exec, exec, s[4:5]
	s_waitcnt lgkmcnt(1)
	ds_bpermute_b32 v5, v8, v3
	s_waitcnt lgkmcnt(1)
	ds_bpermute_b32 v4, v8, v2
	s_waitcnt lgkmcnt(0)
	v_pk_add_f32 v[2:3], v[2:3], v[4:5]
	ds_bpermute_b32 v5, v9, v3
	ds_bpermute_b32 v4, v9, v2
	s_waitcnt lgkmcnt(0)
	v_pk_add_f32 v[2:3], v[2:3], v[4:5]
	ds_bpermute_b32 v5, v11, v3
	;; [unrolled: 4-line block ×3, first 2 shown]
	ds_bpermute_b32 v4, v10, v2
	s_waitcnt lgkmcnt(0)
	v_pk_add_f32 v[2:3], v[2:3], v[4:5]
	s_and_saveexec_b64 s[4:5], s[2:3]
	s_cbranch_execz .LBB66_35
; %bb.31:
	s_andn2_b64 vcc, exec, s[10:11]
	s_cbranch_vccnz .LBB66_33
; %bb.32:
	v_lshl_add_u64 v[4:5], s[6:7], 0, v[0:1]
	v_lshl_add_u64 v[4:5], v[4:5], 2, s[12:13]
	global_store_dword v[4:5], v3, off offset:64
.LBB66_33:
	s_andn2_b64 vcc, exec, s[8:9]
	s_cbranch_vccnz .LBB66_35
; %bb.34:
	v_lshl_add_u64 v[4:5], s[6:7], 0, v[0:1]
	v_lshl_add_u64 v[4:5], v[4:5], 2, s[14:15]
	global_store_dword v[4:5], v2, off offset:64
.LBB66_35:
	s_or_b64 exec, exec, s[4:5]
	s_movk_i32 s4, 0x200
	v_cmp_gt_u32_e32 vcc, s4, v7
	s_and_b64 exec, exec, vcc
	s_cbranch_execz .LBB66_43
; %bb.36:
	s_and_saveexec_b64 s[4:5], s[0:1]
	s_cbranch_execz .LBB66_38
; %bb.37:
	v_add_u32_e32 v2, v0, v6
	v_lshl_add_u32 v2, v2, 2, 0
	ds_read_b32 v3, v2 offset:96
	ds_read_b32 v2, v2 offset:2208
.LBB66_38:
	s_or_b64 exec, exec, s[4:5]
	s_waitcnt lgkmcnt(1)
	ds_bpermute_b32 v4, v8, v3
	s_waitcnt lgkmcnt(1)
	ds_bpermute_b32 v5, v8, v2
	s_waitcnt lgkmcnt(1)
	v_add_f32_e32 v3, v3, v4
	s_waitcnt lgkmcnt(0)
	v_add_f32_e32 v2, v2, v5
	ds_bpermute_b32 v4, v9, v3
	ds_bpermute_b32 v5, v9, v2
	s_waitcnt lgkmcnt(1)
	v_add_f32_e32 v3, v3, v4
	s_waitcnt lgkmcnt(0)
	v_add_f32_e32 v2, v2, v5
	ds_bpermute_b32 v4, v11, v3
	;; [unrolled: 6-line block ×3, first 2 shown]
	ds_bpermute_b32 v3, v10, v2
	s_and_b64 exec, exec, s[2:3]
	s_cbranch_execz .LBB66_43
; %bb.39:
	s_andn2_b64 vcc, exec, s[10:11]
	v_lshl_add_u64 v[0:1], s[6:7], 0, v[0:1]
	s_cbranch_vccnz .LBB66_41
; %bb.40:
	s_waitcnt lgkmcnt(1)
	v_add_f32_e32 v6, v4, v5
	v_lshl_add_u64 v[4:5], v[0:1], 2, s[12:13]
	global_store_dword v[4:5], v6, off offset:96
.LBB66_41:
	s_andn2_b64 vcc, exec, s[8:9]
	s_cbranch_vccnz .LBB66_43
; %bb.42:
	s_waitcnt lgkmcnt(0)
	v_add_f32_e32 v2, v2, v3
	v_lshl_add_u64 v[0:1], v[0:1], 2, s[14:15]
	global_store_dword v[0:1], v2, off offset:96
.LBB66_43:
	s_endpgm
	.section	.rodata,"a",@progbits
	.p2align	6, 0x0
	.amdhsa_kernel _ZN2at6native12_GLOBAL__N_135GammaBetaBackwardCUDAKernelTemplateIffLj32ELj16ELj128ELb0ELb1ELb0EEEvllPKT_S5_PKT0_S8_PS3_S9_
		.amdhsa_group_segment_fixed_size 0
		.amdhsa_private_segment_fixed_size 0
		.amdhsa_kernarg_size 320
		.amdhsa_user_sgpr_count 2
		.amdhsa_user_sgpr_dispatch_ptr 0
		.amdhsa_user_sgpr_queue_ptr 0
		.amdhsa_user_sgpr_kernarg_segment_ptr 1
		.amdhsa_user_sgpr_dispatch_id 0
		.amdhsa_user_sgpr_kernarg_preload_length 0
		.amdhsa_user_sgpr_kernarg_preload_offset 0
		.amdhsa_user_sgpr_private_segment_size 0
		.amdhsa_uses_dynamic_stack 0
		.amdhsa_enable_private_segment 0
		.amdhsa_system_sgpr_workgroup_id_x 1
		.amdhsa_system_sgpr_workgroup_id_y 1
		.amdhsa_system_sgpr_workgroup_id_z 0
		.amdhsa_system_sgpr_workgroup_info 0
		.amdhsa_system_vgpr_workitem_id 1
		.amdhsa_next_free_vgpr 54
		.amdhsa_next_free_sgpr 32
		.amdhsa_accum_offset 56
		.amdhsa_reserve_vcc 1
		.amdhsa_float_round_mode_32 0
		.amdhsa_float_round_mode_16_64 0
		.amdhsa_float_denorm_mode_32 3
		.amdhsa_float_denorm_mode_16_64 3
		.amdhsa_dx10_clamp 1
		.amdhsa_ieee_mode 1
		.amdhsa_fp16_overflow 0
		.amdhsa_tg_split 0
		.amdhsa_exception_fp_ieee_invalid_op 0
		.amdhsa_exception_fp_denorm_src 0
		.amdhsa_exception_fp_ieee_div_zero 0
		.amdhsa_exception_fp_ieee_overflow 0
		.amdhsa_exception_fp_ieee_underflow 0
		.amdhsa_exception_fp_ieee_inexact 0
		.amdhsa_exception_int_div_zero 0
	.end_amdhsa_kernel
	.section	.text._ZN2at6native12_GLOBAL__N_135GammaBetaBackwardCUDAKernelTemplateIffLj32ELj16ELj128ELb0ELb1ELb0EEEvllPKT_S5_PKT0_S8_PS3_S9_,"axG",@progbits,_ZN2at6native12_GLOBAL__N_135GammaBetaBackwardCUDAKernelTemplateIffLj32ELj16ELj128ELb0ELb1ELb0EEEvllPKT_S5_PKT0_S8_PS3_S9_,comdat
.Lfunc_end66:
	.size	_ZN2at6native12_GLOBAL__N_135GammaBetaBackwardCUDAKernelTemplateIffLj32ELj16ELj128ELb0ELb1ELb0EEEvllPKT_S5_PKT0_S8_PS3_S9_, .Lfunc_end66-_ZN2at6native12_GLOBAL__N_135GammaBetaBackwardCUDAKernelTemplateIffLj32ELj16ELj128ELb0ELb1ELb0EEEvllPKT_S5_PKT0_S8_PS3_S9_
                                        ; -- End function
	.set _ZN2at6native12_GLOBAL__N_135GammaBetaBackwardCUDAKernelTemplateIffLj32ELj16ELj128ELb0ELb1ELb0EEEvllPKT_S5_PKT0_S8_PS3_S9_.num_vgpr, 54
	.set _ZN2at6native12_GLOBAL__N_135GammaBetaBackwardCUDAKernelTemplateIffLj32ELj16ELj128ELb0ELb1ELb0EEEvllPKT_S5_PKT0_S8_PS3_S9_.num_agpr, 0
	.set _ZN2at6native12_GLOBAL__N_135GammaBetaBackwardCUDAKernelTemplateIffLj32ELj16ELj128ELb0ELb1ELb0EEEvllPKT_S5_PKT0_S8_PS3_S9_.numbered_sgpr, 32
	.set _ZN2at6native12_GLOBAL__N_135GammaBetaBackwardCUDAKernelTemplateIffLj32ELj16ELj128ELb0ELb1ELb0EEEvllPKT_S5_PKT0_S8_PS3_S9_.num_named_barrier, 0
	.set _ZN2at6native12_GLOBAL__N_135GammaBetaBackwardCUDAKernelTemplateIffLj32ELj16ELj128ELb0ELb1ELb0EEEvllPKT_S5_PKT0_S8_PS3_S9_.private_seg_size, 0
	.set _ZN2at6native12_GLOBAL__N_135GammaBetaBackwardCUDAKernelTemplateIffLj32ELj16ELj128ELb0ELb1ELb0EEEvllPKT_S5_PKT0_S8_PS3_S9_.uses_vcc, 1
	.set _ZN2at6native12_GLOBAL__N_135GammaBetaBackwardCUDAKernelTemplateIffLj32ELj16ELj128ELb0ELb1ELb0EEEvllPKT_S5_PKT0_S8_PS3_S9_.uses_flat_scratch, 0
	.set _ZN2at6native12_GLOBAL__N_135GammaBetaBackwardCUDAKernelTemplateIffLj32ELj16ELj128ELb0ELb1ELb0EEEvllPKT_S5_PKT0_S8_PS3_S9_.has_dyn_sized_stack, 0
	.set _ZN2at6native12_GLOBAL__N_135GammaBetaBackwardCUDAKernelTemplateIffLj32ELj16ELj128ELb0ELb1ELb0EEEvllPKT_S5_PKT0_S8_PS3_S9_.has_recursion, 0
	.set _ZN2at6native12_GLOBAL__N_135GammaBetaBackwardCUDAKernelTemplateIffLj32ELj16ELj128ELb0ELb1ELb0EEEvllPKT_S5_PKT0_S8_PS3_S9_.has_indirect_call, 0
	.section	.AMDGPU.csdata,"",@progbits
; Kernel info:
; codeLenInByte = 2324
; TotalNumSgprs: 38
; NumVgprs: 54
; NumAgprs: 0
; TotalNumVgprs: 54
; ScratchSize: 0
; MemoryBound: 0
; FloatMode: 240
; IeeeMode: 1
; LDSByteSize: 0 bytes/workgroup (compile time only)
; SGPRBlocks: 4
; VGPRBlocks: 6
; NumSGPRsForWavesPerEU: 38
; NumVGPRsForWavesPerEU: 54
; AccumOffset: 56
; Occupancy: 8
; WaveLimiterHint : 0
; COMPUTE_PGM_RSRC2:SCRATCH_EN: 0
; COMPUTE_PGM_RSRC2:USER_SGPR: 2
; COMPUTE_PGM_RSRC2:TRAP_HANDLER: 0
; COMPUTE_PGM_RSRC2:TGID_X_EN: 1
; COMPUTE_PGM_RSRC2:TGID_Y_EN: 1
; COMPUTE_PGM_RSRC2:TGID_Z_EN: 0
; COMPUTE_PGM_RSRC2:TIDIG_COMP_CNT: 1
; COMPUTE_PGM_RSRC3_GFX90A:ACCUM_OFFSET: 13
; COMPUTE_PGM_RSRC3_GFX90A:TG_SPLIT: 0
	.section	.text._ZN2at6native12_GLOBAL__N_135GammaBetaBackwardCUDAKernelTemplateIffLj32ELj16ELj128ELb0ELb0ELb0EEEvllPKT_S5_PKT0_S8_PS3_S9_,"axG",@progbits,_ZN2at6native12_GLOBAL__N_135GammaBetaBackwardCUDAKernelTemplateIffLj32ELj16ELj128ELb0ELb0ELb0EEEvllPKT_S5_PKT0_S8_PS3_S9_,comdat
	.globl	_ZN2at6native12_GLOBAL__N_135GammaBetaBackwardCUDAKernelTemplateIffLj32ELj16ELj128ELb0ELb0ELb0EEEvllPKT_S5_PKT0_S8_PS3_S9_ ; -- Begin function _ZN2at6native12_GLOBAL__N_135GammaBetaBackwardCUDAKernelTemplateIffLj32ELj16ELj128ELb0ELb0ELb0EEEvllPKT_S5_PKT0_S8_PS3_S9_
	.p2align	8
	.type	_ZN2at6native12_GLOBAL__N_135GammaBetaBackwardCUDAKernelTemplateIffLj32ELj16ELj128ELb0ELb0ELb0EEEvllPKT_S5_PKT0_S8_PS3_S9_,@function
_ZN2at6native12_GLOBAL__N_135GammaBetaBackwardCUDAKernelTemplateIffLj32ELj16ELj128ELb0ELb0ELb0EEEvllPKT_S5_PKT0_S8_PS3_S9_: ; @_ZN2at6native12_GLOBAL__N_135GammaBetaBackwardCUDAKernelTemplateIffLj32ELj16ELj128ELb0ELb0ELb0EEEvllPKT_S5_PKT0_S8_PS3_S9_
; %bb.0:
	s_load_dwordx8 s[8:15], s[0:1], 0x0
	s_load_dwordx4 s[16:19], s[0:1], 0x20
	s_lshl_b32 s33, s2, 5
	s_mov_b32 s21, 0
	s_lshl_b32 s20, s3, 7
	s_or_b32 s4, s33, 31
	v_mov_b64_e32 v[2:3], s[20:21]
	v_mov_b32_e32 v20, s4
	v_mov_b32_e32 v21, 0
	s_waitcnt lgkmcnt(0)
	v_cmp_gt_i64_e64 s[4:5], s[8:9], v[2:3]
	v_cmp_le_i64_e32 vcc, s[10:11], v[20:21]
	s_nop 0
	v_cndmask_b32_e64 v1, 0, 1, s[4:5]
	v_cmp_ne_u32_e64 s[4:5], 1, v1
	s_cbranch_vccz .LBB67_48
; %bb.1:
	s_and_b64 vcc, exec, s[4:5]
	v_mov_b32_e32 v20, 0
	s_cbranch_vccnz .LBB67_49
; %bb.2:
	v_and_b32_e32 v1, 0x3ff, v0
	v_mov_b32_e32 v2, 0
	v_bfe_u32 v62, v0, 10, 10
	v_add_u32_e32 v4, s33, v1
	v_mov_b32_e32 v5, v2
	v_lshlrev_b32_e32 v22, 3, v62
	v_mov_b32_e32 v23, v2
	v_cmp_gt_i64_e64 s[6:7], s[10:11], v[4:5]
	v_lshlrev_b64 v[24:25], 2, v[4:5]
	v_lshl_add_u64 v[4:5], v[22:23], 0, s[20:21]
	v_mul_lo_u32 v3, s11, v4
	v_mul_lo_u32 v8, s10, v5
	v_mad_u64_u32 v[6:7], s[24:25], s10, v4, 0
	v_add3_u32 v7, v7, v8, v3
	v_lshlrev_b64 v[6:7], 2, v[6:7]
	v_lshl_add_u64 v[26:27], s[12:13], 0, v[6:7]
	v_lshl_add_u64 v[28:29], s[14:15], 0, v[6:7]
	v_lshl_add_u64 v[6:7], v[4:5], 0, 7
	v_mul_lo_u32 v9, s11, v6
	v_mul_lo_u32 v10, s10, v7
	v_mad_u64_u32 v[6:7], s[26:27], s10, v6, 0
	v_add3_u32 v7, v7, v10, v9
	v_lshlrev_b64 v[6:7], 2, v[6:7]
	v_lshl_add_u64 v[30:31], s[12:13], 0, v[6:7]
	v_lshl_add_u64 v[32:33], s[14:15], 0, v[6:7]
	v_lshl_add_u64 v[6:7], v[4:5], 0, 6
	v_mul_lo_u32 v9, s11, v6
	v_mul_lo_u32 v10, s10, v7
	v_mad_u64_u32 v[6:7], s[26:27], s10, v6, 0
	v_add3_u32 v7, v7, v10, v9
	v_lshlrev_b64 v[6:7], 2, v[6:7]
	v_lshl_add_u64 v[34:35], s[12:13], 0, v[6:7]
	v_lshl_add_u64 v[36:37], s[14:15], 0, v[6:7]
	v_lshl_add_u64 v[6:7], v[4:5], 0, 5
	v_mul_lo_u32 v9, s11, v6
	v_mul_lo_u32 v10, s10, v7
	v_mad_u64_u32 v[6:7], s[26:27], s10, v6, 0
	v_add3_u32 v7, v7, v10, v9
	v_lshlrev_b64 v[6:7], 2, v[6:7]
	v_lshl_add_u64 v[38:39], s[12:13], 0, v[6:7]
	v_lshl_add_u64 v[40:41], s[14:15], 0, v[6:7]
	v_lshl_add_u64 v[6:7], v[4:5], 0, 4
	v_mul_lo_u32 v9, s11, v6
	v_mul_lo_u32 v10, s10, v7
	v_mad_u64_u32 v[6:7], s[26:27], s10, v6, 0
	v_add3_u32 v7, v7, v10, v9
	v_lshlrev_b64 v[6:7], 2, v[6:7]
	v_lshl_add_u64 v[42:43], s[12:13], 0, v[6:7]
	v_lshl_add_u64 v[44:45], s[14:15], 0, v[6:7]
	v_lshl_add_u64 v[6:7], v[4:5], 0, 3
	v_mul_lo_u32 v9, s11, v6
	v_mul_lo_u32 v10, s10, v7
	v_mad_u64_u32 v[6:7], s[26:27], s10, v6, 0
	v_add3_u32 v7, v7, v10, v9
	s_load_dword s3, s[0:1], 0x44
	v_lshlrev_b64 v[6:7], 2, v[6:7]
	v_lshl_add_u64 v[46:47], s[12:13], 0, v[6:7]
	v_lshl_add_u64 v[48:49], s[14:15], 0, v[6:7]
	;; [unrolled: 1-line block ×3, first 2 shown]
	v_mul_lo_u32 v5, s11, v6
	v_mul_lo_u32 v9, s10, v7
	v_mad_u64_u32 v[6:7], s[26:27], s10, v6, 0
	v_add3_u32 v7, v7, v9, v5
	s_add_u32 s22, s0, 64
	v_lshlrev_b64 v[6:7], 2, v[6:7]
	s_addc_u32 s23, s1, 0
	s_waitcnt lgkmcnt(0)
	s_lshl_b32 s3, s3, 7
	v_lshl_add_u64 v[50:51], s[12:13], 0, v[6:7]
	v_lshl_add_u64 v[52:53], s[14:15], 0, v[6:7]
	v_mov_b64_e32 v[6:7], s[10:11]
	s_mul_i32 s24, s11, s3
	s_mul_hi_u32 s25, s10, s3
	v_mad_u64_u32 v[4:5], s[26:27], s10, v4, v[6:7]
	s_add_i32 s25, s25, s24
	s_mul_i32 s24, s10, s3
	v_add3_u32 v5, v3, v5, v8
	v_mbcnt_lo_u32_b32 v3, -1, 0
	s_lshl_b64 s[24:25], s[24:25], 2
	v_mbcnt_hi_u32_b32 v3, -1, v3
	v_lshlrev_b64 v[4:5], 2, v[4:5]
	s_add_u32 s26, s20, 0x7f
	s_movk_i32 s28, 0xff81
	s_movk_i32 s30, 0xff82
	;; [unrolled: 1-line block ×8, first 2 shown]
	v_lshlrev_b32_e32 v3, 2, v3
	v_lshl_add_u64 v[54:55], s[12:13], 0, v[4:5]
	v_lshl_add_u64 v[56:57], s[14:15], 0, v[4:5]
	s_addc_u32 s27, 0, 0
	s_mov_b32 s29, -1
	s_mov_b32 s31, -1
	;; [unrolled: 1-line block ×8, first 2 shown]
	v_and_b32_e32 v63, 0x100, v3
	s_mov_b64 s[46:47], s[20:21]
	v_mov_b32_e32 v20, 0
	v_mov_b32_e32 v21, v2
	s_branch .LBB67_5
.LBB67_3:                               ;   in Loop: Header=BB67_5 Depth=1
	s_or_b64 exec, exec, s[48:49]
	s_waitcnt vmcnt(1)
	ds_bpermute_b32 v3, v63, v61
	ds_bpermute_b32 v58, v63, v61 offset:4
	s_waitcnt vmcnt(0)
	ds_bpermute_b32 v59, v63, v60
	ds_bpermute_b32 v64, v63, v60 offset:4
	v_mov_b32_e32 v65, v7
	s_waitcnt lgkmcnt(3)
	v_sub_f32_e32 v3, v12, v3
	v_mul_f32_e32 v3, v4, v3
	s_waitcnt lgkmcnt(2)
	v_sub_f32_e32 v13, v13, v58
	s_waitcnt lgkmcnt(1)
	v_mul_f32_e32 v12, v3, v59
	ds_bpermute_b32 v3, v63, v61 offset:8
	v_mul_f32_e32 v13, v5, v13
	s_waitcnt lgkmcnt(1)
	v_mul_f32_e32 v58, v13, v64
	ds_bpermute_b32 v13, v63, v60 offset:8
	ds_bpermute_b32 v59, v63, v61 offset:12
	;; [unrolled: 1-line block ×3, first 2 shown]
	s_waitcnt lgkmcnt(3)
	v_sub_f32_e32 v3, v14, v3
	v_mul_f32_e32 v3, v6, v3
	s_waitcnt lgkmcnt(2)
	v_mul_f32_e32 v14, v3, v13
	s_waitcnt lgkmcnt(1)
	v_sub_f32_e32 v3, v15, v59
	ds_bpermute_b32 v13, v63, v61 offset:16
	v_mul_f32_e32 v3, v7, v3
	s_waitcnt lgkmcnt(1)
	v_mul_f32_e32 v64, v3, v64
	ds_bpermute_b32 v3, v63, v60 offset:16
	ds_bpermute_b32 v15, v63, v61 offset:20
	;; [unrolled: 1-line block ×3, first 2 shown]
	s_waitcnt lgkmcnt(3)
	v_sub_f32_e32 v13, v16, v13
	v_mul_f32_e32 v13, v8, v13
	s_waitcnt lgkmcnt(2)
	v_mul_f32_e32 v16, v13, v3
	s_waitcnt lgkmcnt(1)
	v_sub_f32_e32 v3, v17, v15
	v_mul_f32_e32 v3, v9, v3
	v_mov_b32_e32 v13, v4
	s_waitcnt lgkmcnt(0)
	v_mul_f32_e32 v66, v3, v59
	v_pk_add_f32 v[12:13], v[20:21], v[12:13]
	v_mov_b32_e32 v59, v5
	v_pk_add_f32 v[4:5], v[58:59], v[12:13]
	v_mov_b32_e32 v15, v6
	v_pk_add_f32 v[4:5], v[14:15], v[4:5]
	ds_bpermute_b32 v3, v63, v61 offset:24
	v_pk_add_f32 v[4:5], v[64:65], v[4:5]
	v_mov_b32_e32 v17, v8
	v_pk_add_f32 v[4:5], v[16:17], v[4:5]
	v_mov_b32_e32 v67, v9
	v_pk_add_f32 v[6:7], v[66:67], v[4:5]
	ds_bpermute_b32 v5, v63, v60 offset:24
	s_waitcnt lgkmcnt(1)
	v_sub_f32_e32 v8, v18, v3
	ds_bpermute_b32 v3, v63, v60 offset:28
	ds_bpermute_b32 v4, v63, v61 offset:28
	v_mul_f32_e32 v8, v10, v8
	s_waitcnt lgkmcnt(2)
	v_mul_f32_e32 v8, v8, v5
	v_mov_b32_e32 v9, v10
	v_pk_add_f32 v[60:61], v[8:9], v[6:7]
.LBB67_4:                               ;   in Loop: Header=BB67_5 Depth=1
	s_waitcnt lgkmcnt(0)
	v_sub_f32_e32 v4, v19, v4
	v_mul_f32_e32 v4, v11, v4
	s_add_u32 s46, s46, s3
	v_mul_f32_e32 v10, v4, v3
	s_addc_u32 s47, s47, 0
	v_mov_b64_e32 v[4:5], s[8:9]
	s_add_u32 s26, s26, s3
	v_cmp_lt_i64_e32 vcc, s[46:47], v[4:5]
	v_pk_add_f32 v[20:21], v[60:61], v[10:11]
	v_lshl_add_u64 v[26:27], v[26:27], 0, s[24:25]
	v_lshl_add_u64 v[28:29], v[28:29], 0, s[24:25]
	;; [unrolled: 1-line block ×16, first 2 shown]
	s_addc_u32 s27, s27, 0
	s_cbranch_vccz .LBB67_49
.LBB67_5:                               ; =>This Inner Loop Header: Depth=1
	v_mov_b64_e32 v[4:5], s[8:9]
	v_cmp_ge_i64_e32 vcc, s[26:27], v[4:5]
	v_lshl_add_u64 v[58:59], v[22:23], 0, s[26:27]
	s_mov_b64 s[48:49], -1
	s_and_b64 vcc, exec, vcc
                                        ; implicit-def: $vgpr4_vgpr5_vgpr6_vgpr7_vgpr8_vgpr9_vgpr10_vgpr11
                                        ; implicit-def: $vgpr60_vgpr61
                                        ; implicit-def: $vgpr3
                                        ; implicit-def: $vgpr12_vgpr13_vgpr14_vgpr15_vgpr16_vgpr17_vgpr18_vgpr19
                                        ; implicit-def: $vgpr4
	s_cbranch_vccz .LBB67_27
; %bb.6:                                ;   in Loop: Header=BB67_5 Depth=1
	s_load_dword s48, s[22:23], 0xc
	v_mov_b32_e32 v60, 0
	v_mov_b32_e32 v61, 0
	s_waitcnt lgkmcnt(0)
	s_and_b32 s48, s48, 0xffff
	v_mad_u32_u24 v3, v62, s48, v1
	v_and_b32_e32 v4, 63, v3
	v_cmp_gt_u32_e32 vcc, 8, v4
	s_and_saveexec_b64 s[48:49], vcc
	s_cbranch_execz .LBB67_10
; %bb.7:                                ;   in Loop: Header=BB67_5 Depth=1
	v_mov_b32_e32 v5, v2
	v_lshl_add_u64 v[4:5], v[58:59], 0, v[4:5]
	v_lshl_add_u64 v[4:5], v[4:5], 0, s[28:29]
	v_cmp_gt_i64_e32 vcc, s[8:9], v[4:5]
	v_mov_b32_e32 v61, 0
	v_mov_b32_e32 v60, 0
	s_and_saveexec_b64 s[50:51], vcc
	s_cbranch_execz .LBB67_9
; %bb.8:                                ;   in Loop: Header=BB67_5 Depth=1
	v_lshlrev_b64 v[4:5], 2, v[4:5]
	v_lshl_add_u64 v[6:7], s[18:19], 0, v[4:5]
	v_lshl_add_u64 v[4:5], s[16:17], 0, v[4:5]
	global_load_dword v61, v[4:5], off
	global_load_dword v60, v[6:7], off
.LBB67_9:                               ;   in Loop: Header=BB67_5 Depth=1
	s_or_b64 exec, exec, s[50:51]
.LBB67_10:                              ;   in Loop: Header=BB67_5 Depth=1
	s_or_b64 exec, exec, s[48:49]
	v_lshl_add_u64 v[4:5], v[58:59], 0, s[28:29]
	v_mov_b32_e32 v8, v2
	v_mov_b32_e32 v9, v2
	v_cmp_gt_i64_e32 vcc, s[8:9], v[4:5]
	v_mov_b32_e32 v3, v2
	v_mov_b32_e32 v4, v2
	;; [unrolled: 1-line block ×5, first 2 shown]
	v_mov_b64_e32 v[18:19], v[8:9]
	v_mov_b64_e32 v[16:17], v[6:7]
	v_mov_b64_e32 v[14:15], v[4:5]
	v_mov_b64_e32 v[12:13], v[2:3]
	v_mov_b64_e32 v[10:11], v[8:9]
	s_and_b64 s[50:51], s[6:7], vcc
	v_mov_b64_e32 v[8:9], v[6:7]
	v_mov_b64_e32 v[6:7], v[4:5]
	;; [unrolled: 1-line block ×3, first 2 shown]
	s_and_saveexec_b64 s[48:49], s[50:51]
	s_cbranch_execz .LBB67_12
; %bb.11:                               ;   in Loop: Header=BB67_5 Depth=1
	v_lshl_add_u64 v[4:5], v[26:27], 0, v[24:25]
	v_lshl_add_u64 v[6:7], v[28:29], 0, v[24:25]
	global_load_dword v4, v[4:5], off
	v_mov_b32_e32 v5, v2
	global_load_dword v12, v[6:7], off
	v_mov_b32_e32 v6, v2
	v_mov_b32_e32 v7, v2
	;; [unrolled: 1-line block ×13, first 2 shown]
.LBB67_12:                              ;   in Loop: Header=BB67_5 Depth=1
	s_or_b64 exec, exec, s[48:49]
	v_lshl_add_u64 v[64:65], v[58:59], 0, s[30:31]
	v_cmp_gt_i64_e32 vcc, s[8:9], v[64:65]
	s_and_b64 s[50:51], s[6:7], vcc
	s_and_saveexec_b64 s[48:49], s[50:51]
	s_cbranch_execz .LBB67_14
; %bb.13:                               ;   in Loop: Header=BB67_5 Depth=1
	v_lshl_add_u64 v[64:65], v[54:55], 0, v[24:25]
	global_load_dword v5, v[64:65], off
	v_lshl_add_u64 v[64:65], v[56:57], 0, v[24:25]
	global_load_dword v13, v[64:65], off
.LBB67_14:                              ;   in Loop: Header=BB67_5 Depth=1
	s_or_b64 exec, exec, s[48:49]
	v_lshl_add_u64 v[64:65], v[58:59], 0, s[34:35]
	v_cmp_gt_i64_e32 vcc, s[8:9], v[64:65]
	s_and_b64 s[50:51], s[6:7], vcc
	s_and_saveexec_b64 s[48:49], s[50:51]
	s_cbranch_execz .LBB67_16
; %bb.15:                               ;   in Loop: Header=BB67_5 Depth=1
	v_lshl_add_u64 v[64:65], v[50:51], 0, v[24:25]
	global_load_dword v6, v[64:65], off
	v_lshl_add_u64 v[64:65], v[52:53], 0, v[24:25]
	global_load_dword v14, v[64:65], off
.LBB67_16:                              ;   in Loop: Header=BB67_5 Depth=1
	;; [unrolled: 12-line block ×7, first 2 shown]
	s_or_b64 exec, exec, s[48:49]
	s_waitcnt vmcnt(1)
	ds_bpermute_b32 v3, v63, v61
	ds_bpermute_b32 v64, v63, v61 offset:4
	s_waitcnt vmcnt(0)
	ds_bpermute_b32 v65, v63, v60
	ds_bpermute_b32 v66, v63, v60 offset:4
	v_mov_b32_e32 v67, v7
	s_waitcnt lgkmcnt(3)
	v_sub_f32_e32 v3, v12, v3
	v_mul_f32_e32 v3, v4, v3
	s_waitcnt lgkmcnt(2)
	v_sub_f32_e32 v13, v13, v64
	s_waitcnt lgkmcnt(1)
	v_mul_f32_e32 v12, v3, v65
	ds_bpermute_b32 v3, v63, v61 offset:8
	v_mul_f32_e32 v13, v5, v13
	s_waitcnt lgkmcnt(1)
	v_mul_f32_e32 v64, v13, v66
	ds_bpermute_b32 v13, v63, v60 offset:8
	ds_bpermute_b32 v65, v63, v61 offset:12
	ds_bpermute_b32 v66, v63, v60 offset:12
	s_waitcnt lgkmcnt(3)
	v_sub_f32_e32 v3, v14, v3
	v_mul_f32_e32 v3, v6, v3
	s_waitcnt lgkmcnt(2)
	v_mul_f32_e32 v14, v3, v13
	s_waitcnt lgkmcnt(1)
	v_sub_f32_e32 v3, v15, v65
	ds_bpermute_b32 v13, v63, v61 offset:16
	v_mul_f32_e32 v3, v7, v3
	s_waitcnt lgkmcnt(1)
	v_mul_f32_e32 v66, v3, v66
	ds_bpermute_b32 v3, v63, v60 offset:16
	ds_bpermute_b32 v15, v63, v61 offset:20
	;; [unrolled: 1-line block ×3, first 2 shown]
	s_waitcnt lgkmcnt(3)
	v_sub_f32_e32 v13, v16, v13
	v_mul_f32_e32 v13, v8, v13
	s_waitcnt lgkmcnt(2)
	v_mul_f32_e32 v16, v13, v3
	s_waitcnt lgkmcnt(1)
	v_sub_f32_e32 v3, v17, v15
	v_mul_f32_e32 v3, v9, v3
	v_mov_b32_e32 v13, v4
	s_waitcnt lgkmcnt(0)
	v_mul_f32_e32 v68, v3, v65
	v_pk_add_f32 v[12:13], v[20:21], v[12:13]
	v_mov_b32_e32 v65, v5
	v_pk_add_f32 v[4:5], v[64:65], v[12:13]
	v_mov_b32_e32 v15, v6
	ds_bpermute_b32 v3, v63, v61 offset:24
	v_pk_add_f32 v[4:5], v[14:15], v[4:5]
	v_mov_b32_e32 v17, v8
	v_pk_add_f32 v[4:5], v[66:67], v[4:5]
	v_mov_b32_e32 v69, v9
	v_pk_add_f32 v[4:5], v[16:17], v[4:5]
	s_waitcnt lgkmcnt(0)
	v_sub_f32_e32 v3, v18, v3
	v_pk_add_f32 v[6:7], v[68:69], v[4:5]
	ds_bpermute_b32 v5, v63, v60 offset:24
	v_mul_f32_e32 v8, v10, v3
	ds_bpermute_b32 v3, v63, v60 offset:28
	ds_bpermute_b32 v4, v63, v61 offset:28
	v_mov_b32_e32 v9, v10
	s_waitcnt lgkmcnt(2)
	v_mul_f32_e32 v8, v8, v5
	v_pk_add_f32 v[60:61], v[8:9], v[6:7]
	s_mov_b64 s[48:49], 0
.LBB67_27:                              ;   in Loop: Header=BB67_5 Depth=1
	s_and_b64 vcc, exec, s[48:49]
	s_cbranch_vccz .LBB67_4
; %bb.28:                               ;   in Loop: Header=BB67_5 Depth=1
	s_load_dword s48, s[22:23], 0x0
	v_mov_b32_e32 v60, 0
	v_mov_b32_e32 v61, 0
	s_waitcnt lgkmcnt(0)
	s_cmp_lt_u32 s2, s48
	s_cselect_b32 s48, 12, 18
	s_add_u32 s48, s22, s48
	s_addc_u32 s49, s23, 0
	global_load_ushort v3, v2, s[48:49]
	s_waitcnt vmcnt(0)
	v_mad_u32_u24 v3, v62, v3, v1
	v_and_b32_e32 v4, 63, v3
	v_cmp_gt_u32_e32 vcc, 8, v4
	s_and_saveexec_b64 s[48:49], vcc
	s_cbranch_execz .LBB67_32
; %bb.29:                               ;   in Loop: Header=BB67_5 Depth=1
	v_mov_b32_e32 v5, v2
	v_lshl_add_u64 v[4:5], v[58:59], 0, v[4:5]
	v_lshl_add_u64 v[4:5], v[4:5], 0, s[28:29]
	v_cmp_gt_i64_e32 vcc, s[8:9], v[4:5]
	v_mov_b32_e32 v61, 0
	v_mov_b32_e32 v60, 0
	s_and_saveexec_b64 s[50:51], vcc
	s_cbranch_execz .LBB67_31
; %bb.30:                               ;   in Loop: Header=BB67_5 Depth=1
	v_lshlrev_b64 v[4:5], 2, v[4:5]
	v_lshl_add_u64 v[6:7], s[18:19], 0, v[4:5]
	v_lshl_add_u64 v[4:5], s[16:17], 0, v[4:5]
	global_load_dword v61, v[4:5], off
	global_load_dword v60, v[6:7], off
.LBB67_31:                              ;   in Loop: Header=BB67_5 Depth=1
	s_or_b64 exec, exec, s[50:51]
.LBB67_32:                              ;   in Loop: Header=BB67_5 Depth=1
	s_or_b64 exec, exec, s[48:49]
	v_mov_b32_e32 v8, v2
	v_mov_b32_e32 v9, v2
	;; [unrolled: 1-line block ×7, first 2 shown]
	v_mov_b64_e32 v[18:19], v[8:9]
	v_mov_b64_e32 v[16:17], v[6:7]
	;; [unrolled: 1-line block ×8, first 2 shown]
	s_and_saveexec_b64 s[48:49], s[6:7]
	s_cbranch_execnz .LBB67_40
; %bb.33:                               ;   in Loop: Header=BB67_5 Depth=1
	s_or_b64 exec, exec, s[48:49]
	s_and_saveexec_b64 s[48:49], s[6:7]
	s_cbranch_execnz .LBB67_41
.LBB67_34:                              ;   in Loop: Header=BB67_5 Depth=1
	s_or_b64 exec, exec, s[48:49]
	s_and_saveexec_b64 s[48:49], s[6:7]
	s_cbranch_execnz .LBB67_42
.LBB67_35:                              ;   in Loop: Header=BB67_5 Depth=1
	s_or_b64 exec, exec, s[48:49]
	s_and_saveexec_b64 s[48:49], s[6:7]
	s_cbranch_execnz .LBB67_43
.LBB67_36:                              ;   in Loop: Header=BB67_5 Depth=1
	s_or_b64 exec, exec, s[48:49]
	s_and_saveexec_b64 s[48:49], s[6:7]
	s_cbranch_execnz .LBB67_44
.LBB67_37:                              ;   in Loop: Header=BB67_5 Depth=1
	s_or_b64 exec, exec, s[48:49]
	s_and_saveexec_b64 s[48:49], s[6:7]
	s_cbranch_execnz .LBB67_45
.LBB67_38:                              ;   in Loop: Header=BB67_5 Depth=1
	s_or_b64 exec, exec, s[48:49]
	s_and_saveexec_b64 s[48:49], s[6:7]
	s_cbranch_execnz .LBB67_46
.LBB67_39:                              ;   in Loop: Header=BB67_5 Depth=1
	s_or_b64 exec, exec, s[48:49]
	s_and_saveexec_b64 s[48:49], s[6:7]
	s_cbranch_execz .LBB67_3
	s_branch .LBB67_47
.LBB67_40:                              ;   in Loop: Header=BB67_5 Depth=1
	v_lshl_add_u64 v[4:5], v[26:27], 0, v[24:25]
	v_lshl_add_u64 v[6:7], v[28:29], 0, v[24:25]
	global_load_dword v4, v[4:5], off
	v_mov_b32_e32 v5, v2
	global_load_dword v12, v[6:7], off
	v_mov_b32_e32 v6, v2
	v_mov_b32_e32 v7, v2
	;; [unrolled: 1-line block ×13, first 2 shown]
	s_or_b64 exec, exec, s[48:49]
	s_and_saveexec_b64 s[48:49], s[6:7]
	s_cbranch_execz .LBB67_34
.LBB67_41:                              ;   in Loop: Header=BB67_5 Depth=1
	v_lshl_add_u64 v[58:59], v[54:55], 0, v[24:25]
	global_load_dword v5, v[58:59], off
	v_lshl_add_u64 v[58:59], v[56:57], 0, v[24:25]
	global_load_dword v13, v[58:59], off
	s_or_b64 exec, exec, s[48:49]
	s_and_saveexec_b64 s[48:49], s[6:7]
	s_cbranch_execz .LBB67_35
.LBB67_42:                              ;   in Loop: Header=BB67_5 Depth=1
	v_lshl_add_u64 v[58:59], v[50:51], 0, v[24:25]
	global_load_dword v6, v[58:59], off
	v_lshl_add_u64 v[58:59], v[52:53], 0, v[24:25]
	global_load_dword v14, v[58:59], off
	s_or_b64 exec, exec, s[48:49]
	s_and_saveexec_b64 s[48:49], s[6:7]
	s_cbranch_execz .LBB67_36
.LBB67_43:                              ;   in Loop: Header=BB67_5 Depth=1
	v_lshl_add_u64 v[58:59], v[46:47], 0, v[24:25]
	global_load_dword v7, v[58:59], off
	v_lshl_add_u64 v[58:59], v[48:49], 0, v[24:25]
	global_load_dword v15, v[58:59], off
	s_or_b64 exec, exec, s[48:49]
	s_and_saveexec_b64 s[48:49], s[6:7]
	s_cbranch_execz .LBB67_37
.LBB67_44:                              ;   in Loop: Header=BB67_5 Depth=1
	v_lshl_add_u64 v[58:59], v[42:43], 0, v[24:25]
	global_load_dword v8, v[58:59], off
	v_lshl_add_u64 v[58:59], v[44:45], 0, v[24:25]
	global_load_dword v16, v[58:59], off
	s_or_b64 exec, exec, s[48:49]
	s_and_saveexec_b64 s[48:49], s[6:7]
	s_cbranch_execz .LBB67_38
.LBB67_45:                              ;   in Loop: Header=BB67_5 Depth=1
	v_lshl_add_u64 v[58:59], v[38:39], 0, v[24:25]
	global_load_dword v9, v[58:59], off
	v_lshl_add_u64 v[58:59], v[40:41], 0, v[24:25]
	global_load_dword v17, v[58:59], off
	s_or_b64 exec, exec, s[48:49]
	s_and_saveexec_b64 s[48:49], s[6:7]
	s_cbranch_execz .LBB67_39
.LBB67_46:                              ;   in Loop: Header=BB67_5 Depth=1
	v_lshl_add_u64 v[58:59], v[34:35], 0, v[24:25]
	global_load_dword v10, v[58:59], off
	v_lshl_add_u64 v[58:59], v[36:37], 0, v[24:25]
	global_load_dword v18, v[58:59], off
	s_or_b64 exec, exec, s[48:49]
	s_and_saveexec_b64 s[48:49], s[6:7]
	s_cbranch_execz .LBB67_3
.LBB67_47:                              ;   in Loop: Header=BB67_5 Depth=1
	v_lshl_add_u64 v[58:59], v[30:31], 0, v[24:25]
	global_load_dword v11, v[58:59], off
	v_lshl_add_u64 v[58:59], v[32:33], 0, v[24:25]
	global_load_dword v19, v[58:59], off
	s_branch .LBB67_3
.LBB67_48:
                                        ; implicit-def: $vgpr21
	s_branch .LBB67_50
.LBB67_49:
	s_cbranch_execnz .LBB67_81
.LBB67_50:
	v_mov_b32_e32 v21, 0
	s_and_b64 vcc, exec, s[4:5]
	v_mov_b32_e32 v20, v21
	s_cbranch_vccnz .LBB67_81
; %bb.51:
	v_mov_b32_e32 v2, 0
	v_bfe_u32 v88, v0, 10, 10
	v_lshlrev_b32_e32 v6, 5, v88
	v_mov_b32_e32 v7, v2
	v_lshl_add_u64 v[6:7], s[20:21], 2, v[6:7]
	v_lshl_add_u64 v[8:9], v[6:7], 0, 4
	v_mov_b64_e32 v[10:11], s[12:13]
	v_lshl_add_u64 v[12:13], v[6:7], 0, 8
	v_lshl_add_u64 v[14:15], v[6:7], 0, 12
	;; [unrolled: 1-line block ×6, first 2 shown]
	v_mad_u64_u32 v[24:25], s[4:5], s10, v8, v[10:11]
	v_mad_u64_u32 v[26:27], s[4:5], s10, v12, v[10:11]
	v_mad_u64_u32 v[28:29], s[4:5], s10, v14, v[10:11]
	v_mad_u64_u32 v[30:31], s[4:5], s10, v16, v[10:11]
	v_mad_u64_u32 v[32:33], s[4:5], s10, v18, v[10:11]
	v_mad_u64_u32 v[34:35], s[4:5], s10, v20, v[10:11]
	v_mad_u64_u32 v[36:37], s[4:5], s10, v6, v[10:11]
	v_mov_b64_e32 v[10:11], s[14:15]
	v_mul_lo_u32 v9, s10, v9
	v_mul_lo_u32 v40, s11, v8
	v_mad_u64_u32 v[38:39], s[4:5], s10, v8, v[10:11]
	v_add3_u32 v25, v40, v25, v9
	v_mul_lo_u32 v13, s10, v13
	v_mul_lo_u32 v42, s11, v12
	v_add3_u32 v39, v40, v39, v9
	v_mad_u64_u32 v[40:41], s[4:5], s10, v12, v[10:11]
	v_add3_u32 v27, v42, v27, v13
	v_mul_lo_u32 v15, s10, v15
	v_mul_lo_u32 v44, s11, v14
	v_add3_u32 v41, v42, v41, v13
	;; [unrolled: 5-line block ×4, first 2 shown]
	v_mad_u64_u32 v[46:47], s[4:5], s10, v18, v[10:11]
	v_lshlrev_b32_e32 v22, 3, v88
	v_mov_b32_e32 v23, v2
	v_add3_u32 v33, v48, v33, v19
	v_mul_lo_u32 v21, s10, v21
	v_mul_lo_u32 v50, s11, v20
	v_add3_u32 v47, v48, v47, v19
	v_mad_u64_u32 v[48:49], s[4:5], s10, v20, v[10:11]
	v_lshl_add_u64 v[4:5], v[22:23], 0, s[20:21]
	v_add3_u32 v35, v50, v35, v21
	v_mul_lo_u32 v7, s10, v7
	v_mul_lo_u32 v8, s11, v6
	v_add3_u32 v49, v50, v49, v21
	v_mad_u64_u32 v[50:51], s[4:5], s10, v6, v[10:11]
	v_add3_u32 v37, v8, v37, v7
	v_add3_u32 v51, v8, v51, v7
	v_lshl_add_u64 v[6:7], v[4:5], 0, 7
	v_mul_lo_u32 v8, s11, v6
	v_mul_lo_u32 v9, s10, v7
	v_mad_u64_u32 v[6:7], s[4:5], s10, v6, 0
	v_add3_u32 v7, v7, v9, v8
	v_lshl_add_u64 v[8:9], v[4:5], 0, 6
	v_mul_lo_u32 v10, s11, v8
	v_mul_lo_u32 v11, s10, v9
	v_mad_u64_u32 v[8:9], s[4:5], s10, v8, 0
	;; [unrolled: 5-line block ×5, first 2 shown]
	v_add3_u32 v15, v15, v17, v16
	v_lshl_add_u64 v[16:17], v[4:5], 0, 2
	v_mul_lo_u32 v52, s10, v5
	v_mul_lo_u32 v5, s11, v16
	;; [unrolled: 1-line block ×3, first 2 shown]
	v_mad_u64_u32 v[16:17], s[4:5], s10, v16, 0
	v_add3_u32 v17, v17, v18, v5
	v_mov_b64_e32 v[18:19], s[10:11]
	v_mul_lo_u32 v3, s11, v4
	v_mad_u64_u32 v[18:19], s[4:5], s10, v4, v[18:19]
	v_mad_u64_u32 v[4:5], s[4:5], s10, v4, 0
	s_load_dword s3, s[0:1], 0x44
	v_add3_u32 v5, v5, v52, v3
	v_lshlrev_b64 v[4:5], 2, v[4:5]
	v_lshl_add_u64 v[54:55], s[12:13], 0, v[4:5]
	v_lshl_add_u64 v[56:57], s[14:15], 0, v[4:5]
	v_lshlrev_b64 v[4:5], 2, v[6:7]
	v_lshl_add_u64 v[58:59], s[12:13], 0, v[4:5]
	v_lshl_add_u64 v[60:61], s[14:15], 0, v[4:5]
	v_lshlrev_b64 v[4:5], 2, v[8:9]
	s_add_u32 s4, s0, 64
	v_lshl_add_u64 v[62:63], s[12:13], 0, v[4:5]
	v_lshl_add_u64 v[64:65], s[14:15], 0, v[4:5]
	v_lshlrev_b64 v[4:5], 2, v[10:11]
	s_addc_u32 s5, s1, 0
	s_waitcnt lgkmcnt(0)
	s_lshl_b32 s3, s3, 7
	v_lshl_add_u64 v[66:67], s[12:13], 0, v[4:5]
	v_lshl_add_u64 v[68:69], s[14:15], 0, v[4:5]
	v_lshlrev_b64 v[4:5], 2, v[12:13]
	s_mul_i32 s6, s11, s3
	s_mul_hi_u32 s7, s10, s3
	v_lshl_add_u64 v[70:71], s[12:13], 0, v[4:5]
	v_lshl_add_u64 v[72:73], s[14:15], 0, v[4:5]
	v_lshlrev_b64 v[4:5], 2, v[14:15]
	v_add3_u32 v19, v3, v19, v52
	s_add_i32 s7, s7, s6
	s_mul_i32 s6, s10, s3
	v_lshl_add_u64 v[74:75], s[12:13], 0, v[4:5]
	v_lshl_add_u64 v[76:77], s[14:15], 0, v[4:5]
	v_lshlrev_b64 v[4:5], 2, v[16:17]
	v_mbcnt_lo_u32_b32 v3, -1, 0
	v_and_b32_e32 v1, 0x3ff, v0
	s_lshl_b64 s[6:7], s[6:7], 2
	v_lshl_add_u64 v[78:79], s[12:13], 0, v[4:5]
	v_lshl_add_u64 v[80:81], s[14:15], 0, v[4:5]
	v_lshlrev_b64 v[4:5], 2, v[18:19]
	v_mbcnt_hi_u32_b32 v3, -1, v3
	v_add_u32_e32 v20, s33, v1
	v_mov_b32_e32 v21, v2
	s_add_u32 s22, s20, 0x7f
	v_lshl_add_u64 v[82:83], s[12:13], 0, v[4:5]
	v_lshl_add_u64 v[84:85], s[14:15], 0, v[4:5]
	s_movk_i32 s12, 0xff81
	s_movk_i32 s14, 0xff82
	;; [unrolled: 1-line block ×8, first 2 shown]
	v_lshlrev_b32_e32 v3, 2, v3
	v_lshlrev_b64 v[52:53], 2, v[20:21]
	s_addc_u32 s23, 0, 0
	s_mov_b32 s13, -1
	s_mov_b32 s15, -1
	;; [unrolled: 1-line block ×8, first 2 shown]
	v_and_b32_e32 v89, 0x100, v3
	v_mov_b32_e32 v20, 0
	s_branch .LBB67_55
.LBB67_52:                              ;   in Loop: Header=BB67_55 Depth=1
	s_or_b64 exec, exec, s[40:41]
.LBB67_53:                              ;   in Loop: Header=BB67_55 Depth=1
	s_or_b64 exec, exec, s[38:39]
	v_lshl_add_u64 v[4:5], v[54:55], 0, v[52:53]
	v_lshl_add_u64 v[8:9], v[56:57], 0, v[52:53]
	global_load_dword v5, v[4:5], off
	v_lshl_add_u64 v[10:11], v[40:41], 0, v[52:53]
	global_load_dword v4, v[8:9], off
	;; [unrolled: 2-line block ×5, first 2 shown]
	s_waitcnt vmcnt(6)
	ds_bpermute_b32 v90, v89, v3
	global_load_dword v8, v[10:11], off
	v_lshl_add_u64 v[10:11], v[28:29], 0, v[52:53]
	global_load_dword v13, v[10:11], off
	v_lshl_add_u64 v[10:11], v[42:43], 0, v[52:53]
	;; [unrolled: 2-line block ×10, first 2 shown]
	global_load_dword v11, v[10:11], off
	ds_bpermute_b32 v92, v89, v3 offset:4
	s_waitcnt vmcnt(16)
	ds_bpermute_b32 v10, v89, v6
	ds_bpermute_b32 v94, v89, v3 offset:8
	ds_bpermute_b32 v91, v89, v6 offset:4
	;; [unrolled: 1-line block ×13, first 2 shown]
	s_waitcnt vmcnt(14) lgkmcnt(14)
	v_sub_f32_e32 v4, v4, v90
	v_mul_f32_e32 v4, v5, v4
	s_waitcnt lgkmcnt(13)
	v_mul_f32_e32 v4, v4, v10
	v_pk_add_f32 v[4:5], v[20:21], v[4:5]
	s_waitcnt vmcnt(12)
	v_sub_f32_e32 v6, v12, v92
	v_mul_f32_e32 v6, v7, v6
	s_waitcnt lgkmcnt(11)
	v_mul_f32_e32 v6, v6, v91
	v_pk_add_f32 v[4:5], v[4:5], v[6:7]
	s_waitcnt vmcnt(10)
	;; [unrolled: 6-line block ×3, first 2 shown]
	v_sub_f32_e32 v12, v14, v96
	v_mul_f32_e32 v12, v13, v12
	s_waitcnt vmcnt(7) lgkmcnt(8)
	v_sub_f32_e32 v14, v16, v98
	s_waitcnt lgkmcnt(7)
	v_mul_f32_e32 v12, v12, v95
	s_waitcnt vmcnt(6) lgkmcnt(6)
	v_sub_f32_e32 v16, v18, v100
	v_pk_add_f32 v[4:5], v[4:5], v[12:13]
	s_waitcnt vmcnt(5) lgkmcnt(2)
	v_sub_f32_e32 v18, v86, v102
	s_waitcnt vmcnt(4) lgkmcnt(0)
	v_sub_f32_e32 v3, v87, v3
	s_waitcnt vmcnt(3)
	v_mul_f32_e32 v14, v15, v14
	v_mul_f32_e32 v14, v14, v97
	s_waitcnt vmcnt(2)
	v_mul_f32_e32 v16, v17, v16
	v_mul_f32_e32 v16, v16, v99
	s_waitcnt vmcnt(1)
	v_mul_f32_e32 v18, v19, v18
	v_pk_add_f32 v[4:5], v[4:5], v[14:15]
	s_waitcnt vmcnt(0)
	v_mul_f32_e32 v3, v11, v3
	v_mul_f32_e32 v18, v18, v101
	v_pk_add_f32 v[4:5], v[4:5], v[16:17]
	v_mul_f32_e32 v10, v3, v103
	v_pk_add_f32 v[4:5], v[4:5], v[18:19]
.LBB67_54:                              ;   in Loop: Header=BB67_55 Depth=1
	s_add_u32 s20, s20, s3
	v_pk_add_f32 v[20:21], v[4:5], v[10:11]
	s_addc_u32 s21, s21, 0
	v_mov_b64_e32 v[4:5], s[8:9]
	s_add_u32 s22, s22, s3
	v_cmp_ge_i64_e32 vcc, s[20:21], v[4:5]
	v_lshl_add_u64 v[54:55], v[54:55], 0, s[6:7]
	v_lshl_add_u64 v[56:57], v[56:57], 0, s[6:7]
	s_addc_u32 s23, s23, 0
	v_lshl_add_u64 v[24:25], v[24:25], 0, s[6:7]
	v_lshl_add_u64 v[26:27], v[26:27], 0, s[6:7]
	;; [unrolled: 1-line block ×28, first 2 shown]
	s_cbranch_vccnz .LBB67_81
.LBB67_55:                              ; =>This Inner Loop Header: Depth=1
	v_mov_b64_e32 v[4:5], s[8:9]
	v_cmp_ge_i64_e32 vcc, s[22:23], v[4:5]
	v_lshl_add_u64 v[86:87], v[22:23], 0, s[22:23]
	s_mov_b64 s[38:39], -1
                                        ; implicit-def: $vgpr4_vgpr5
                                        ; implicit-def: $vgpr10_vgpr11
	s_cbranch_vccz .LBB67_77
; %bb.56:                               ;   in Loop: Header=BB67_55 Depth=1
	s_load_dword s33, s[4:5], 0xc
	v_mov_b32_e32 v90, 0
	v_mov_b32_e32 v91, 0
	s_waitcnt lgkmcnt(0)
	s_and_b32 s33, s33, 0xffff
	v_mad_u32_u24 v3, v88, s33, v1
	v_and_b32_e32 v4, 63, v3
	v_cmp_gt_u32_e32 vcc, 8, v4
	s_and_saveexec_b64 s[38:39], vcc
	s_cbranch_execz .LBB67_60
; %bb.57:                               ;   in Loop: Header=BB67_55 Depth=1
	v_mov_b32_e32 v5, v2
	v_lshl_add_u64 v[4:5], v[86:87], 0, v[4:5]
	v_lshl_add_u64 v[4:5], v[4:5], 0, s[12:13]
	v_cmp_gt_i64_e32 vcc, s[8:9], v[4:5]
	v_mov_b32_e32 v91, 0
	v_mov_b32_e32 v90, 0
	s_and_saveexec_b64 s[40:41], vcc
	s_cbranch_execz .LBB67_59
; %bb.58:                               ;   in Loop: Header=BB67_55 Depth=1
	v_lshlrev_b64 v[4:5], 2, v[4:5]
	v_lshl_add_u64 v[6:7], s[18:19], 0, v[4:5]
	v_lshl_add_u64 v[4:5], s[16:17], 0, v[4:5]
	global_load_dword v91, v[4:5], off
	global_load_dword v90, v[6:7], off
.LBB67_59:                              ;   in Loop: Header=BB67_55 Depth=1
	s_or_b64 exec, exec, s[40:41]
.LBB67_60:                              ;   in Loop: Header=BB67_55 Depth=1
	s_or_b64 exec, exec, s[38:39]
	v_lshl_add_u64 v[4:5], v[86:87], 0, s[12:13]
	v_mov_b32_e32 v8, v2
	v_mov_b32_e32 v9, v2
	v_cmp_gt_i64_e32 vcc, s[8:9], v[4:5]
	v_mov_b32_e32 v3, v2
	v_mov_b32_e32 v4, v2
	v_mov_b32_e32 v5, v2
	v_mov_b32_e32 v6, v2
	v_mov_b32_e32 v7, v2
	v_mov_b64_e32 v[18:19], v[8:9]
	v_mov_b64_e32 v[16:17], v[6:7]
	;; [unrolled: 1-line block ×8, first 2 shown]
	s_and_saveexec_b64 s[38:39], vcc
	s_cbranch_execz .LBB67_62
; %bb.61:                               ;   in Loop: Header=BB67_55 Depth=1
	v_lshl_add_u64 v[4:5], v[54:55], 0, v[52:53]
	v_lshl_add_u64 v[6:7], v[56:57], 0, v[52:53]
	global_load_dword v4, v[4:5], off
	v_mov_b32_e32 v5, v2
	global_load_dword v12, v[6:7], off
	v_mov_b32_e32 v6, v2
	v_mov_b32_e32 v7, v2
	;; [unrolled: 1-line block ×13, first 2 shown]
.LBB67_62:                              ;   in Loop: Header=BB67_55 Depth=1
	s_or_b64 exec, exec, s[38:39]
	v_lshl_add_u64 v[92:93], v[86:87], 0, s[14:15]
	v_cmp_gt_i64_e32 vcc, s[8:9], v[92:93]
	s_and_saveexec_b64 s[38:39], vcc
	s_cbranch_execz .LBB67_64
; %bb.63:                               ;   in Loop: Header=BB67_55 Depth=1
	v_lshl_add_u64 v[92:93], v[82:83], 0, v[52:53]
	global_load_dword v5, v[92:93], off
	v_lshl_add_u64 v[92:93], v[84:85], 0, v[52:53]
	global_load_dword v13, v[92:93], off
.LBB67_64:                              ;   in Loop: Header=BB67_55 Depth=1
	s_or_b64 exec, exec, s[38:39]
	v_lshl_add_u64 v[92:93], v[86:87], 0, s[24:25]
	v_cmp_gt_i64_e32 vcc, s[8:9], v[92:93]
	s_and_saveexec_b64 s[38:39], vcc
	s_cbranch_execz .LBB67_66
; %bb.65:                               ;   in Loop: Header=BB67_55 Depth=1
	v_lshl_add_u64 v[92:93], v[78:79], 0, v[52:53]
	global_load_dword v6, v[92:93], off
	v_lshl_add_u64 v[92:93], v[80:81], 0, v[52:53]
	global_load_dword v14, v[92:93], off
.LBB67_66:                              ;   in Loop: Header=BB67_55 Depth=1
	;; [unrolled: 11-line block ×7, first 2 shown]
	s_or_b64 exec, exec, s[38:39]
	s_waitcnt vmcnt(1)
	ds_bpermute_b32 v3, v89, v91
	ds_bpermute_b32 v92, v89, v91 offset:4
	s_waitcnt vmcnt(0)
	ds_bpermute_b32 v93, v89, v90
	ds_bpermute_b32 v94, v89, v90 offset:4
	v_mov_b32_e32 v95, v7
	s_waitcnt lgkmcnt(3)
	v_sub_f32_e32 v3, v12, v3
	v_mul_f32_e32 v3, v4, v3
	s_waitcnt lgkmcnt(2)
	v_sub_f32_e32 v13, v13, v92
	s_waitcnt lgkmcnt(1)
	v_mul_f32_e32 v12, v3, v93
	ds_bpermute_b32 v3, v89, v91 offset:8
	v_mul_f32_e32 v13, v5, v13
	s_waitcnt lgkmcnt(1)
	v_mul_f32_e32 v92, v13, v94
	ds_bpermute_b32 v13, v89, v90 offset:8
	ds_bpermute_b32 v93, v89, v91 offset:12
	;; [unrolled: 1-line block ×3, first 2 shown]
	s_waitcnt lgkmcnt(3)
	v_sub_f32_e32 v3, v14, v3
	v_mul_f32_e32 v3, v6, v3
	s_waitcnt lgkmcnt(2)
	v_mul_f32_e32 v14, v3, v13
	s_waitcnt lgkmcnt(1)
	v_sub_f32_e32 v3, v15, v93
	ds_bpermute_b32 v13, v89, v91 offset:16
	v_mul_f32_e32 v3, v7, v3
	s_waitcnt lgkmcnt(1)
	v_mul_f32_e32 v94, v3, v94
	ds_bpermute_b32 v3, v89, v90 offset:16
	ds_bpermute_b32 v15, v89, v91 offset:20
	;; [unrolled: 1-line block ×3, first 2 shown]
	s_waitcnt lgkmcnt(3)
	v_sub_f32_e32 v13, v16, v13
	v_mul_f32_e32 v13, v8, v13
	s_waitcnt lgkmcnt(2)
	v_mul_f32_e32 v16, v13, v3
	s_waitcnt lgkmcnt(1)
	v_sub_f32_e32 v3, v17, v15
	v_mul_f32_e32 v3, v9, v3
	s_waitcnt lgkmcnt(0)
	v_mul_f32_e32 v96, v3, v93
	ds_bpermute_b32 v3, v89, v91 offset:24
	v_mov_b32_e32 v15, v6
	ds_bpermute_b32 v6, v89, v90 offset:24
	v_mov_b32_e32 v13, v4
	v_pk_add_f32 v[12:13], v[20:21], v[12:13]
	v_mov_b32_e32 v93, v5
	v_pk_add_f32 v[4:5], v[92:93], v[12:13]
	v_mov_b32_e32 v17, v8
	s_waitcnt lgkmcnt(1)
	v_sub_f32_e32 v3, v18, v3
	ds_bpermute_b32 v8, v89, v91 offset:28
	v_pk_add_f32 v[4:5], v[14:15], v[4:5]
	v_mul_f32_e32 v3, v10, v3
	v_pk_add_f32 v[4:5], v[94:95], v[4:5]
	s_waitcnt lgkmcnt(1)
	v_mul_f32_e32 v6, v3, v6
	ds_bpermute_b32 v3, v89, v90 offset:28
	v_pk_add_f32 v[4:5], v[16:17], v[4:5]
	v_mov_b32_e32 v97, v9
	v_pk_add_f32 v[4:5], v[96:97], v[4:5]
	v_mov_b32_e32 v7, v10
	v_pk_add_f32 v[4:5], v[6:7], v[4:5]
	s_waitcnt lgkmcnt(1)
	v_sub_f32_e32 v6, v19, v8
	v_mul_f32_e32 v6, v11, v6
	s_waitcnt lgkmcnt(0)
	v_mul_f32_e32 v10, v6, v3
	s_mov_b64 s[38:39], 0
.LBB67_77:                              ;   in Loop: Header=BB67_55 Depth=1
	s_and_b64 vcc, exec, s[38:39]
	s_cbranch_vccz .LBB67_54
; %bb.78:                               ;   in Loop: Header=BB67_55 Depth=1
	s_load_dword s33, s[4:5], 0x0
	v_mov_b32_e32 v6, 0
	s_waitcnt lgkmcnt(0)
	s_cmp_lt_u32 s2, s33
	s_cselect_b32 s33, 12, 18
	s_add_u32 s38, s4, s33
	s_addc_u32 s39, s5, 0
	global_load_ushort v3, v2, s[38:39]
	s_waitcnt vmcnt(0)
	v_mad_u32_u24 v3, v88, v3, v1
	v_and_b32_e32 v4, 63, v3
	v_cmp_gt_u32_e32 vcc, 8, v4
	v_mov_b32_e32 v3, 0
	s_and_saveexec_b64 s[38:39], vcc
	s_cbranch_execz .LBB67_53
; %bb.79:                               ;   in Loop: Header=BB67_55 Depth=1
	v_mov_b32_e32 v5, v2
	v_lshl_add_u64 v[4:5], v[86:87], 0, v[4:5]
	v_lshl_add_u64 v[4:5], v[4:5], 0, s[12:13]
	v_cmp_gt_i64_e32 vcc, s[8:9], v[4:5]
	v_mov_b32_e32 v3, 0
	v_mov_b32_e32 v6, 0
	s_and_saveexec_b64 s[40:41], vcc
	s_cbranch_execz .LBB67_52
; %bb.80:                               ;   in Loop: Header=BB67_55 Depth=1
	v_lshlrev_b64 v[4:5], 2, v[4:5]
	v_lshl_add_u64 v[8:9], s[18:19], 0, v[4:5]
	v_lshl_add_u64 v[4:5], s[16:17], 0, v[4:5]
	global_load_dword v3, v[4:5], off
	global_load_dword v6, v[8:9], off
	s_branch .LBB67_52
.LBB67_81:
	v_and_b32_e32 v1, 0x3ff, v0
	v_bfe_u32 v0, v0, 10, 10
	v_mad_u32_u24 v2, v0, 33, v1
	v_sub_u32_e32 v7, v2, v0
	s_movk_i32 s3, 0x800
	v_lshl_add_u32 v3, v2, 2, 0
	v_cmp_gt_u32_e32 vcc, s3, v7
	ds_write_b32 v3, v20
	ds_write_b32 v3, v21 offset:2112
	s_waitcnt lgkmcnt(0)
	s_barrier
	s_and_saveexec_b64 s[4:5], vcc
	s_cbranch_execz .LBB67_113
; %bb.82:
	s_load_dwordx4 s[12:15], s[0:1], 0x30
	v_and_b32_e32 v2, 63, v7
	v_lshrrev_b32_e32 v0, 6, v7
	v_cmp_lt_u32_e64 s[4:5], 15, v2
	v_cmp_gt_u32_e64 s[0:1], 16, v2
	v_mul_u32_u24_e32 v6, 33, v2
                                        ; implicit-def: $vgpr2
	s_and_saveexec_b64 s[6:7], s[0:1]
	s_cbranch_execz .LBB67_84
; %bb.83:
	v_add_u32_e32 v2, v0, v6
	v_lshl_add_u32 v2, v2, 2, 0
	ds_read_b32 v3, v2
	ds_read_b32 v2, v2 offset:2112
.LBB67_84:
	s_or_b64 exec, exec, s[6:7]
	v_mbcnt_lo_u32_b32 v4, -1, 0
	v_mbcnt_hi_u32_b32 v11, -1, v4
	v_and_b32_e32 v4, 64, v11
	v_add_u32_e32 v12, 64, v4
	v_xor_b32_e32 v4, 8, v11
	v_cmp_lt_i32_e32 vcc, v4, v12
	v_xor_b32_e32 v9, 4, v11
	v_xor_b32_e32 v10, 2, v11
	v_cndmask_b32_e32 v4, v11, v4, vcc
	v_lshlrev_b32_e32 v8, 2, v4
	s_waitcnt lgkmcnt(0)
	ds_bpermute_b32 v5, v8, v3
	ds_bpermute_b32 v4, v8, v2
	v_cmp_lt_i32_e32 vcc, v9, v12
	s_mov_b32 s3, 0
	s_lshl_b64 s[6:7], s[2:3], 5
	v_cndmask_b32_e32 v9, v11, v9, vcc
	v_lshlrev_b32_e32 v9, 2, v9
	s_waitcnt lgkmcnt(0)
	v_pk_add_f32 v[2:3], v[2:3], v[4:5]
	ds_bpermute_b32 v5, v9, v3
	ds_bpermute_b32 v4, v9, v2
	v_cmp_lt_i32_e32 vcc, v10, v12
	v_cmp_eq_u32_e64 s[2:3], 0, v1
	v_xor_b32_e32 v1, 1, v11
	v_cndmask_b32_e32 v10, v11, v10, vcc
	v_lshlrev_b32_e32 v10, 2, v10
	s_waitcnt lgkmcnt(0)
	v_pk_add_f32 v[2:3], v[2:3], v[4:5]
	ds_bpermute_b32 v5, v10, v3
	ds_bpermute_b32 v4, v10, v2
	v_cmp_lt_i32_e32 vcc, v1, v12
	s_cmp_lg_u64 s[12:13], 0
	s_cselect_b64 s[16:17], -1, 0
	v_cndmask_b32_e32 v1, v11, v1, vcc
	s_waitcnt lgkmcnt(0)
	v_pk_add_f32 v[2:3], v[2:3], v[4:5]
	v_lshlrev_b32_e32 v11, 2, v1
	ds_bpermute_b32 v5, v11, v3
	ds_bpermute_b32 v4, v11, v2
	s_cmp_lg_u64 s[14:15], 0
	s_cselect_b64 s[8:9], -1, 0
	v_mov_b32_e32 v1, 0
	s_waitcnt lgkmcnt(0)
	v_pk_add_f32 v[2:3], v[2:3], v[4:5]
	v_or_b32_e32 v4, s6, v0
	v_mov_b32_e32 v5, s7
	v_cmp_gt_i64_e32 vcc, s[10:11], v[4:5]
	s_and_b64 s[20:21], s[2:3], vcc
	s_and_saveexec_b64 s[18:19], s[20:21]
	s_cbranch_execz .LBB67_89
; %bb.85:
	s_andn2_b64 vcc, exec, s[16:17]
	s_cbranch_vccnz .LBB67_87
; %bb.86:
	v_lshl_add_u64 v[12:13], v[4:5], 2, s[12:13]
	global_store_dword v[12:13], v3, off
.LBB67_87:
	s_andn2_b64 vcc, exec, s[8:9]
	s_cbranch_vccnz .LBB67_89
; %bb.88:
	v_lshl_add_u64 v[4:5], v[4:5], 2, s[14:15]
	global_store_dword v[4:5], v2, off
.LBB67_89:
	s_or_b64 exec, exec, s[18:19]
	s_movk_i32 s18, 0x600
	v_cmp_gt_u32_e32 vcc, s18, v7
	s_and_b64 exec, exec, vcc
	s_cbranch_execz .LBB67_113
; %bb.90:
	s_and_saveexec_b64 s[18:19], s[4:5]
	s_xor_b64 s[18:19], exec, s[18:19]
	s_andn2_saveexec_b64 s[18:19], s[18:19]
	s_cbranch_execz .LBB67_92
; %bb.91:
	v_add_u32_e32 v2, v0, v6
	v_lshl_add_u32 v2, v2, 2, 0
	ds_read_b32 v3, v2 offset:32
	ds_read_b32 v2, v2 offset:2144
.LBB67_92:
	s_or_b64 exec, exec, s[18:19]
	s_waitcnt lgkmcnt(1)
	ds_bpermute_b32 v5, v8, v3
	s_waitcnt lgkmcnt(1)
	ds_bpermute_b32 v4, v8, v2
	v_add_u32_e32 v12, 8, v0
	v_mov_b32_e32 v13, 0
	v_lshl_add_u64 v[12:13], s[6:7], 0, v[12:13]
	v_cmp_gt_i64_e32 vcc, s[10:11], v[12:13]
	s_waitcnt lgkmcnt(0)
	v_pk_add_f32 v[2:3], v[2:3], v[4:5]
	ds_bpermute_b32 v5, v9, v3
	ds_bpermute_b32 v4, v9, v2
	s_and_b64 s[20:21], s[2:3], vcc
	s_waitcnt lgkmcnt(0)
	v_pk_add_f32 v[2:3], v[2:3], v[4:5]
	ds_bpermute_b32 v5, v10, v3
	ds_bpermute_b32 v4, v10, v2
	s_waitcnt lgkmcnt(0)
	v_pk_add_f32 v[2:3], v[2:3], v[4:5]
	ds_bpermute_b32 v5, v11, v3
	ds_bpermute_b32 v4, v11, v2
	s_waitcnt lgkmcnt(0)
	v_pk_add_f32 v[2:3], v[2:3], v[4:5]
	s_and_saveexec_b64 s[18:19], s[20:21]
	s_cbranch_execz .LBB67_97
; %bb.93:
	s_andn2_b64 vcc, exec, s[16:17]
	s_cbranch_vccnz .LBB67_95
; %bb.94:
	v_lshl_add_u64 v[4:5], s[6:7], 0, v[0:1]
	v_lshl_add_u64 v[4:5], v[4:5], 2, s[12:13]
	global_store_dword v[4:5], v3, off offset:32
.LBB67_95:
	s_andn2_b64 vcc, exec, s[8:9]
	s_cbranch_vccnz .LBB67_97
; %bb.96:
	v_lshl_add_u64 v[4:5], s[6:7], 0, v[0:1]
	v_lshl_add_u64 v[4:5], v[4:5], 2, s[14:15]
	global_store_dword v[4:5], v2, off offset:32
.LBB67_97:
	s_or_b64 exec, exec, s[18:19]
	s_movk_i32 s18, 0x400
	v_cmp_gt_u32_e32 vcc, s18, v7
	s_and_b64 exec, exec, vcc
	s_cbranch_execz .LBB67_113
; %bb.98:
	s_and_saveexec_b64 s[18:19], s[4:5]
	s_xor_b64 s[4:5], exec, s[18:19]
	s_andn2_saveexec_b64 s[4:5], s[4:5]
	s_cbranch_execz .LBB67_100
; %bb.99:
	v_add_u32_e32 v2, v0, v6
	v_lshl_add_u32 v2, v2, 2, 0
	ds_read_b32 v3, v2 offset:64
	ds_read_b32 v2, v2 offset:2176
.LBB67_100:
	s_or_b64 exec, exec, s[4:5]
	s_waitcnt lgkmcnt(1)
	ds_bpermute_b32 v5, v8, v3
	s_waitcnt lgkmcnt(1)
	ds_bpermute_b32 v4, v8, v2
	v_add_u32_e32 v12, 16, v0
	v_mov_b32_e32 v13, s7
	v_or_b32_e32 v12, s6, v12
	v_cmp_gt_i64_e32 vcc, s[10:11], v[12:13]
	s_waitcnt lgkmcnt(0)
	v_pk_add_f32 v[2:3], v[2:3], v[4:5]
	ds_bpermute_b32 v5, v9, v3
	ds_bpermute_b32 v4, v9, v2
	s_and_b64 s[18:19], s[2:3], vcc
	s_waitcnt lgkmcnt(0)
	v_pk_add_f32 v[2:3], v[2:3], v[4:5]
	ds_bpermute_b32 v5, v10, v3
	ds_bpermute_b32 v4, v10, v2
	s_waitcnt lgkmcnt(0)
	v_pk_add_f32 v[2:3], v[2:3], v[4:5]
	ds_bpermute_b32 v5, v11, v3
	ds_bpermute_b32 v4, v11, v2
	s_waitcnt lgkmcnt(0)
	v_pk_add_f32 v[2:3], v[2:3], v[4:5]
	s_and_saveexec_b64 s[4:5], s[18:19]
	s_cbranch_execz .LBB67_105
; %bb.101:
	s_andn2_b64 vcc, exec, s[16:17]
	s_cbranch_vccnz .LBB67_103
; %bb.102:
	v_lshl_add_u64 v[4:5], s[6:7], 0, v[0:1]
	v_lshl_add_u64 v[4:5], v[4:5], 2, s[12:13]
	global_store_dword v[4:5], v3, off offset:64
.LBB67_103:
	s_andn2_b64 vcc, exec, s[8:9]
	s_cbranch_vccnz .LBB67_105
; %bb.104:
	v_lshl_add_u64 v[4:5], s[6:7], 0, v[0:1]
	v_lshl_add_u64 v[4:5], v[4:5], 2, s[14:15]
	global_store_dword v[4:5], v2, off offset:64
.LBB67_105:
	s_or_b64 exec, exec, s[4:5]
	s_movk_i32 s4, 0x200
	v_cmp_gt_u32_e32 vcc, s4, v7
	s_and_b64 exec, exec, vcc
	s_cbranch_execz .LBB67_113
; %bb.106:
	s_and_saveexec_b64 s[4:5], s[0:1]
	s_cbranch_execz .LBB67_108
; %bb.107:
	v_add_u32_e32 v2, v0, v6
	v_lshl_add_u32 v2, v2, 2, 0
	ds_read_b32 v3, v2 offset:96
	ds_read_b32 v2, v2 offset:2208
.LBB67_108:
	s_or_b64 exec, exec, s[4:5]
	s_waitcnt lgkmcnt(1)
	ds_bpermute_b32 v4, v8, v3
	s_waitcnt lgkmcnt(1)
	ds_bpermute_b32 v5, v8, v2
	v_add_u32_e32 v6, 24, v0
	v_or_b32_e32 v6, s6, v6
	v_mov_b32_e32 v7, s7
	s_waitcnt lgkmcnt(1)
	v_add_f32_e32 v3, v3, v4
	s_waitcnt lgkmcnt(0)
	v_add_f32_e32 v2, v2, v5
	ds_bpermute_b32 v4, v9, v3
	ds_bpermute_b32 v5, v9, v2
	v_cmp_gt_i64_e32 vcc, s[10:11], v[6:7]
	s_and_b64 s[0:1], s[2:3], vcc
	s_waitcnt lgkmcnt(1)
	v_add_f32_e32 v3, v3, v4
	s_waitcnt lgkmcnt(0)
	v_add_f32_e32 v2, v2, v5
	ds_bpermute_b32 v4, v10, v3
	ds_bpermute_b32 v5, v10, v2
	s_waitcnt lgkmcnt(1)
	v_add_f32_e32 v4, v3, v4
	s_waitcnt lgkmcnt(0)
	v_add_f32_e32 v2, v2, v5
	ds_bpermute_b32 v5, v11, v4
	ds_bpermute_b32 v3, v11, v2
	s_and_b64 exec, exec, s[0:1]
	s_cbranch_execz .LBB67_113
; %bb.109:
	s_andn2_b64 vcc, exec, s[16:17]
	v_lshl_add_u64 v[0:1], s[6:7], 0, v[0:1]
	s_cbranch_vccnz .LBB67_111
; %bb.110:
	s_waitcnt lgkmcnt(1)
	v_add_f32_e32 v6, v4, v5
	v_lshl_add_u64 v[4:5], v[0:1], 2, s[12:13]
	global_store_dword v[4:5], v6, off offset:96
.LBB67_111:
	s_andn2_b64 vcc, exec, s[8:9]
	s_cbranch_vccnz .LBB67_113
; %bb.112:
	s_waitcnt lgkmcnt(0)
	v_add_f32_e32 v2, v2, v3
	v_lshl_add_u64 v[0:1], v[0:1], 2, s[14:15]
	global_store_dword v[0:1], v2, off offset:96
.LBB67_113:
	s_endpgm
	.section	.rodata,"a",@progbits
	.p2align	6, 0x0
	.amdhsa_kernel _ZN2at6native12_GLOBAL__N_135GammaBetaBackwardCUDAKernelTemplateIffLj32ELj16ELj128ELb0ELb0ELb0EEEvllPKT_S5_PKT0_S8_PS3_S9_
		.amdhsa_group_segment_fixed_size 0
		.amdhsa_private_segment_fixed_size 0
		.amdhsa_kernarg_size 320
		.amdhsa_user_sgpr_count 2
		.amdhsa_user_sgpr_dispatch_ptr 0
		.amdhsa_user_sgpr_queue_ptr 0
		.amdhsa_user_sgpr_kernarg_segment_ptr 1
		.amdhsa_user_sgpr_dispatch_id 0
		.amdhsa_user_sgpr_kernarg_preload_length 0
		.amdhsa_user_sgpr_kernarg_preload_offset 0
		.amdhsa_user_sgpr_private_segment_size 0
		.amdhsa_uses_dynamic_stack 0
		.amdhsa_enable_private_segment 0
		.amdhsa_system_sgpr_workgroup_id_x 1
		.amdhsa_system_sgpr_workgroup_id_y 1
		.amdhsa_system_sgpr_workgroup_id_z 0
		.amdhsa_system_sgpr_workgroup_info 0
		.amdhsa_system_vgpr_workitem_id 1
		.amdhsa_next_free_vgpr 104
		.amdhsa_next_free_sgpr 52
		.amdhsa_accum_offset 104
		.amdhsa_reserve_vcc 1
		.amdhsa_float_round_mode_32 0
		.amdhsa_float_round_mode_16_64 0
		.amdhsa_float_denorm_mode_32 3
		.amdhsa_float_denorm_mode_16_64 3
		.amdhsa_dx10_clamp 1
		.amdhsa_ieee_mode 1
		.amdhsa_fp16_overflow 0
		.amdhsa_tg_split 0
		.amdhsa_exception_fp_ieee_invalid_op 0
		.amdhsa_exception_fp_denorm_src 0
		.amdhsa_exception_fp_ieee_div_zero 0
		.amdhsa_exception_fp_ieee_overflow 0
		.amdhsa_exception_fp_ieee_underflow 0
		.amdhsa_exception_fp_ieee_inexact 0
		.amdhsa_exception_int_div_zero 0
	.end_amdhsa_kernel
	.section	.text._ZN2at6native12_GLOBAL__N_135GammaBetaBackwardCUDAKernelTemplateIffLj32ELj16ELj128ELb0ELb0ELb0EEEvllPKT_S5_PKT0_S8_PS3_S9_,"axG",@progbits,_ZN2at6native12_GLOBAL__N_135GammaBetaBackwardCUDAKernelTemplateIffLj32ELj16ELj128ELb0ELb0ELb0EEEvllPKT_S5_PKT0_S8_PS3_S9_,comdat
.Lfunc_end67:
	.size	_ZN2at6native12_GLOBAL__N_135GammaBetaBackwardCUDAKernelTemplateIffLj32ELj16ELj128ELb0ELb0ELb0EEEvllPKT_S5_PKT0_S8_PS3_S9_, .Lfunc_end67-_ZN2at6native12_GLOBAL__N_135GammaBetaBackwardCUDAKernelTemplateIffLj32ELj16ELj128ELb0ELb0ELb0EEEvllPKT_S5_PKT0_S8_PS3_S9_
                                        ; -- End function
	.set _ZN2at6native12_GLOBAL__N_135GammaBetaBackwardCUDAKernelTemplateIffLj32ELj16ELj128ELb0ELb0ELb0EEEvllPKT_S5_PKT0_S8_PS3_S9_.num_vgpr, 104
	.set _ZN2at6native12_GLOBAL__N_135GammaBetaBackwardCUDAKernelTemplateIffLj32ELj16ELj128ELb0ELb0ELb0EEEvllPKT_S5_PKT0_S8_PS3_S9_.num_agpr, 0
	.set _ZN2at6native12_GLOBAL__N_135GammaBetaBackwardCUDAKernelTemplateIffLj32ELj16ELj128ELb0ELb0ELb0EEEvllPKT_S5_PKT0_S8_PS3_S9_.numbered_sgpr, 52
	.set _ZN2at6native12_GLOBAL__N_135GammaBetaBackwardCUDAKernelTemplateIffLj32ELj16ELj128ELb0ELb0ELb0EEEvllPKT_S5_PKT0_S8_PS3_S9_.num_named_barrier, 0
	.set _ZN2at6native12_GLOBAL__N_135GammaBetaBackwardCUDAKernelTemplateIffLj32ELj16ELj128ELb0ELb0ELb0EEEvllPKT_S5_PKT0_S8_PS3_S9_.private_seg_size, 0
	.set _ZN2at6native12_GLOBAL__N_135GammaBetaBackwardCUDAKernelTemplateIffLj32ELj16ELj128ELb0ELb0ELb0EEEvllPKT_S5_PKT0_S8_PS3_S9_.uses_vcc, 1
	.set _ZN2at6native12_GLOBAL__N_135GammaBetaBackwardCUDAKernelTemplateIffLj32ELj16ELj128ELb0ELb0ELb0EEEvllPKT_S5_PKT0_S8_PS3_S9_.uses_flat_scratch, 0
	.set _ZN2at6native12_GLOBAL__N_135GammaBetaBackwardCUDAKernelTemplateIffLj32ELj16ELj128ELb0ELb0ELb0EEEvllPKT_S5_PKT0_S8_PS3_S9_.has_dyn_sized_stack, 0
	.set _ZN2at6native12_GLOBAL__N_135GammaBetaBackwardCUDAKernelTemplateIffLj32ELj16ELj128ELb0ELb0ELb0EEEvllPKT_S5_PKT0_S8_PS3_S9_.has_recursion, 0
	.set _ZN2at6native12_GLOBAL__N_135GammaBetaBackwardCUDAKernelTemplateIffLj32ELj16ELj128ELb0ELb0ELb0EEEvllPKT_S5_PKT0_S8_PS3_S9_.has_indirect_call, 0
	.section	.AMDGPU.csdata,"",@progbits
; Kernel info:
; codeLenInByte = 7812
; TotalNumSgprs: 58
; NumVgprs: 104
; NumAgprs: 0
; TotalNumVgprs: 104
; ScratchSize: 0
; MemoryBound: 0
; FloatMode: 240
; IeeeMode: 1
; LDSByteSize: 0 bytes/workgroup (compile time only)
; SGPRBlocks: 7
; VGPRBlocks: 12
; NumSGPRsForWavesPerEU: 58
; NumVGPRsForWavesPerEU: 104
; AccumOffset: 104
; Occupancy: 4
; WaveLimiterHint : 0
; COMPUTE_PGM_RSRC2:SCRATCH_EN: 0
; COMPUTE_PGM_RSRC2:USER_SGPR: 2
; COMPUTE_PGM_RSRC2:TRAP_HANDLER: 0
; COMPUTE_PGM_RSRC2:TGID_X_EN: 1
; COMPUTE_PGM_RSRC2:TGID_Y_EN: 1
; COMPUTE_PGM_RSRC2:TGID_Z_EN: 0
; COMPUTE_PGM_RSRC2:TIDIG_COMP_CNT: 1
; COMPUTE_PGM_RSRC3_GFX90A:ACCUM_OFFSET: 25
; COMPUTE_PGM_RSRC3_GFX90A:TG_SPLIT: 0
	.section	.text._ZN2at6native12_GLOBAL__N_135GammaBetaBackwardCUDAKernelTemplateIffLj32ELj32ELj256ELb0ELb1ELb0EEEvllPKT_S5_PKT0_S8_PS3_S9_,"axG",@progbits,_ZN2at6native12_GLOBAL__N_135GammaBetaBackwardCUDAKernelTemplateIffLj32ELj32ELj256ELb0ELb1ELb0EEEvllPKT_S5_PKT0_S8_PS3_S9_,comdat
	.globl	_ZN2at6native12_GLOBAL__N_135GammaBetaBackwardCUDAKernelTemplateIffLj32ELj32ELj256ELb0ELb1ELb0EEEvllPKT_S5_PKT0_S8_PS3_S9_ ; -- Begin function _ZN2at6native12_GLOBAL__N_135GammaBetaBackwardCUDAKernelTemplateIffLj32ELj32ELj256ELb0ELb1ELb0EEEvllPKT_S5_PKT0_S8_PS3_S9_
	.p2align	8
	.type	_ZN2at6native12_GLOBAL__N_135GammaBetaBackwardCUDAKernelTemplateIffLj32ELj32ELj256ELb0ELb1ELb0EEEvllPKT_S5_PKT0_S8_PS3_S9_,@function
_ZN2at6native12_GLOBAL__N_135GammaBetaBackwardCUDAKernelTemplateIffLj32ELj32ELj256ELb0ELb1ELb0EEEvllPKT_S5_PKT0_S8_PS3_S9_: ; @_ZN2at6native12_GLOBAL__N_135GammaBetaBackwardCUDAKernelTemplateIffLj32ELj32ELj256ELb0ELb1ELb0EEEvllPKT_S5_PKT0_S8_PS3_S9_
; %bb.0:
	s_load_dwordx4 s[16:19], s[0:1], 0x0
	s_lshl_b32 s20, s3, 8
	s_mov_b32 s21, 0
	v_mov_b64_e32 v[2:3], s[20:21]
	v_bfe_u32 v12, v0, 10, 10
	s_waitcnt lgkmcnt(0)
	v_cmp_gt_i64_e32 vcc, s[16:17], v[2:3]
	s_cbranch_vccnz .LBB68_2
; %bb.1:
	s_mov_b64 s[4:5], 0
	v_bfe_u32 v2, v0, 10, 10
	s_branch .LBB68_3
.LBB68_2:
	s_mov_b64 s[4:5], -1
                                        ; implicit-def: $vgpr2
.LBB68_3:
	s_load_dwordx4 s[12:15], s[0:1], 0x30
	v_mov_b32_e32 v1, 0
	v_and_b32_e32 v10, 0x3ff, v0
	s_andn2_b64 vcc, exec, s[4:5]
	v_mbcnt_lo_u32_b32 v11, -1, 0
	v_mov_b32_e32 v0, v1
	s_cbranch_vccnz .LBB68_11
; %bb.4:
	s_load_dword s3, s[0:1], 0x4c
	s_load_dword s22, s[0:1], 0x44
	s_load_dwordx8 s[4:11], s[0:1], 0x10
	v_lshlrev_b32_e32 v0, 3, v12
	v_mbcnt_hi_u32_b32 v4, -1, v11
	s_waitcnt lgkmcnt(0)
	s_and_b32 s0, s3, 0xffff
	v_mad_u32_u24 v1, v12, s0, v10
	v_and_b32_e32 v2, 63, v1
	v_mov_b32_e32 v1, 0
	v_mov_b32_e32 v3, v1
	v_lshl_add_u64 v[8:9], v[0:1], 0, s[20:21]
	v_cmp_gt_u32_e64 s[0:1], 8, v2
	s_lshl_b32 s22, s22, 8
	v_lshl_add_u64 v[2:3], v[8:9], 0, v[2:3]
	v_mul_lo_u32 v0, s19, v8
	v_mul_lo_u32 v21, s18, v9
	v_mad_u64_u32 v[8:9], s[26:27], s18, v8, 0
	v_lshl_add_u32 v6, s2, 5, v10
	v_mov_b32_e32 v7, v1
	v_lshlrev_b32_e32 v4, 2, v4
	s_mul_i32 s3, s19, s22
	s_mul_hi_u32 s26, s18, s22
	s_mov_b32 s23, 0
	v_and_b32_e32 v13, 0x100, v4
	v_add3_u32 v9, v9, v21, v0
	v_lshlrev_b64 v[6:7], 2, v[6:7]
	s_add_i32 s27, s26, s3
	s_mul_i32 s26, s18, s22
	v_or_b32_e32 v14, 4, v13
	v_or_b32_e32 v15, 8, v13
	;; [unrolled: 1-line block ×7, first 2 shown]
	v_lshlrev_b64 v[4:5], 2, v[2:3]
	s_lshl_b64 s[24:25], s[22:23], 2
	v_lshl_add_u64 v[6:7], v[8:9], 2, v[6:7]
	s_lshl_b64 s[26:27], s[26:27], 2
	s_lshl_b64 s[18:19], s[18:19], 2
	v_mov_b64_e32 v[8:9], s[16:17]
	v_mov_b32_e32 v0, v1
	s_branch .LBB68_7
.LBB68_5:                               ;   in Loop: Header=BB68_7 Depth=1
	s_or_b64 exec, exec, s[30:31]
.LBB68_6:                               ;   in Loop: Header=BB68_7 Depth=1
	s_or_b64 exec, exec, s[28:29]
	v_lshl_add_u64 v[26:27], s[6:7], 0, v[6:7]
	v_lshl_add_u64 v[24:25], s[4:5], 0, v[6:7]
	global_load_dword v28, v[26:27], off
	v_lshl_add_u64 v[26:27], v[26:27], 0, s[18:19]
	global_load_dword v23, v[24:25], off
	;; [unrolled: 2-line block ×5, first 2 shown]
	global_load_dword v31, v[24:25], off
	v_lshl_add_u64 v[26:27], v[26:27], 0, s[18:19]
	global_load_dword v34, v[26:27], off
	v_lshl_add_u64 v[24:25], v[24:25], 0, s[18:19]
	v_lshl_add_u64 v[26:27], v[26:27], 0, s[18:19]
	global_load_dword v33, v[24:25], off
	global_load_dword v36, v[26:27], off
	v_lshl_add_u64 v[24:25], v[24:25], 0, s[18:19]
	v_lshl_add_u64 v[26:27], v[26:27], 0, s[18:19]
	global_load_dword v35, v[24:25], off
	;; [unrolled: 4-line block ×4, first 2 shown]
	v_lshl_add_u64 v[24:25], v[24:25], 0, s[18:19]
	global_load_dword v26, v[26:27], off
	s_waitcnt vmcnt(16)
	ds_bpermute_b32 v27, v13, v21
	global_load_dword v25, v[24:25], off
	ds_bpermute_b32 v42, v14, v21
	s_waitcnt vmcnt(16)
	ds_bpermute_b32 v24, v13, v22
	ds_bpermute_b32 v44, v15, v21
	;; [unrolled: 1-line block ×14, first 2 shown]
	s_add_u32 s20, s20, s22
	s_addc_u32 s21, s21, 0
	v_cmp_lt_i64_e32 vcc, s[20:21], v[8:9]
	v_lshl_add_u64 v[4:5], v[4:5], 0, s[24:25]
	v_lshl_add_u64 v[2:3], v[2:3], 0, s[22:23]
	;; [unrolled: 1-line block ×3, first 2 shown]
	s_and_b64 vcc, exec, vcc
	s_waitcnt vmcnt(15) lgkmcnt(14)
	v_sub_f32_e32 v22, v28, v27
	s_waitcnt vmcnt(14)
	v_mul_f32_e32 v22, v23, v22
	s_waitcnt lgkmcnt(13)
	v_mul_f32_e32 v22, v22, v24
	s_waitcnt vmcnt(13)
	v_sub_f32_e32 v27, v30, v42
	v_pk_add_f32 v[0:1], v[0:1], v[22:23]
	s_waitcnt vmcnt(12)
	v_mul_f32_e32 v24, v29, v27
	s_waitcnt vmcnt(11) lgkmcnt(12)
	v_sub_f32_e32 v27, v32, v44
	s_waitcnt lgkmcnt(11)
	v_mul_f32_e32 v28, v24, v41
	s_waitcnt vmcnt(10)
	v_mul_f32_e32 v24, v31, v27
	s_waitcnt vmcnt(9) lgkmcnt(10)
	v_sub_f32_e32 v27, v34, v46
	s_waitcnt lgkmcnt(9)
	v_mul_f32_e32 v30, v24, v43
	v_pk_add_f32 v[0:1], v[0:1], v[28:29]
	s_waitcnt vmcnt(8)
	v_mul_f32_e32 v22, v33, v27
	s_waitcnt vmcnt(7) lgkmcnt(8)
	v_sub_f32_e32 v23, v36, v48
	s_waitcnt lgkmcnt(7)
	v_mul_f32_e32 v32, v22, v45
	v_pk_add_f32 v[0:1], v[0:1], v[30:31]
	s_waitcnt vmcnt(6)
	v_mul_f32_e32 v22, v35, v23
	s_waitcnt vmcnt(5) lgkmcnt(4)
	v_sub_f32_e32 v23, v38, v50
	v_mul_f32_e32 v34, v22, v47
	v_pk_add_f32 v[0:1], v[0:1], v[32:33]
	s_waitcnt vmcnt(4)
	v_mul_f32_e32 v22, v37, v23
	s_waitcnt vmcnt(3) lgkmcnt(1)
	v_sub_f32_e32 v23, v40, v52
	v_mul_f32_e32 v36, v22, v49
	v_pk_add_f32 v[0:1], v[0:1], v[34:35]
	s_waitcnt vmcnt(2)
	v_mul_f32_e32 v22, v39, v23
	v_mul_f32_e32 v38, v22, v51
	s_waitcnt vmcnt(1) lgkmcnt(0)
	v_sub_f32_e32 v21, v26, v21
	v_pk_add_f32 v[0:1], v[0:1], v[36:37]
	s_waitcnt vmcnt(0)
	v_mul_f32_e32 v21, v25, v21
	v_pk_add_f32 v[0:1], v[0:1], v[38:39]
	v_mul_f32_e32 v24, v21, v53
	v_pk_add_f32 v[0:1], v[0:1], v[24:25]
	s_cbranch_vccz .LBB68_10
.LBB68_7:                               ; =>This Inner Loop Header: Depth=1
	v_mov_b32_e32 v22, 0
	v_mov_b32_e32 v21, 0
	s_and_saveexec_b64 s[28:29], s[0:1]
	s_cbranch_execz .LBB68_6
; %bb.8:                                ;   in Loop: Header=BB68_7 Depth=1
	v_cmp_gt_i64_e32 vcc, s[16:17], v[2:3]
	v_mov_b32_e32 v21, 0
	v_mov_b32_e32 v22, 0
	s_and_saveexec_b64 s[30:31], vcc
	s_cbranch_execz .LBB68_5
; %bb.9:                                ;   in Loop: Header=BB68_7 Depth=1
	v_lshl_add_u64 v[26:27], s[8:9], 0, v[4:5]
	v_lshl_add_u64 v[24:25], s[10:11], 0, v[4:5]
	global_load_dword v21, v[26:27], off
	global_load_dword v22, v[24:25], off
	s_branch .LBB68_5
.LBB68_10:
	v_mov_b32_e32 v2, v12
.LBB68_11:
	v_mad_u32_u24 v3, v2, 33, v10
	v_sub_u32_e32 v7, v3, v2
	s_movk_i32 s0, 0x800
	v_lshl_add_u32 v4, v3, 2, 0
	v_cmp_gt_u32_e32 vcc, s0, v7
	ds_write_b32 v4, v0
	ds_write_b32 v4, v1 offset:4224
	s_waitcnt lgkmcnt(0)
	s_barrier
	s_and_saveexec_b64 s[0:1], vcc
	s_cbranch_execz .LBB68_27
; %bb.12:
	v_and_b32_e32 v1, 63, v7
	v_lshrrev_b32_e32 v0, 6, v7
	v_cmp_gt_u32_e64 s[4:5], 32, v1
	v_mul_u32_u24_e32 v6, 33, v1
                                        ; implicit-def: $vgpr2
	s_and_saveexec_b64 s[0:1], s[4:5]
	s_cbranch_execz .LBB68_14
; %bb.13:
	v_add_u32_e32 v1, v0, v6
	v_lshl_add_u32 v1, v1, 2, 0
	ds_read_b32 v3, v1
	ds_read_b32 v2, v1 offset:4224
.LBB68_14:
	s_or_b64 exec, exec, s[0:1]
	v_mbcnt_hi_u32_b32 v1, -1, v11
	v_and_b32_e32 v4, 64, v1
	v_add_u32_e32 v12, 64, v4
	v_xor_b32_e32 v4, 16, v1
	v_cmp_lt_i32_e32 vcc, v4, v12
	v_xor_b32_e32 v9, 8, v1
	v_cmp_eq_u32_e64 s[0:1], 0, v10
	v_cndmask_b32_e32 v4, v1, v4, vcc
	v_lshlrev_b32_e32 v8, 2, v4
	s_waitcnt lgkmcnt(1)
	ds_bpermute_b32 v5, v8, v3
	s_waitcnt lgkmcnt(1)
	ds_bpermute_b32 v4, v8, v2
	v_cmp_lt_i32_e32 vcc, v9, v12
	v_xor_b32_e32 v10, 4, v1
	v_xor_b32_e32 v11, 2, v1
	v_cndmask_b32_e32 v9, v1, v9, vcc
	v_lshlrev_b32_e32 v9, 2, v9
	s_waitcnt lgkmcnt(0)
	v_pk_add_f32 v[2:3], v[2:3], v[4:5]
	ds_bpermute_b32 v5, v9, v3
	ds_bpermute_b32 v4, v9, v2
	v_cmp_lt_i32_e32 vcc, v10, v12
	v_xor_b32_e32 v13, 1, v1
	s_mov_b32 s3, 0
	v_cndmask_b32_e32 v10, v1, v10, vcc
	v_lshlrev_b32_e32 v10, 2, v10
	s_waitcnt lgkmcnt(0)
	v_pk_add_f32 v[2:3], v[2:3], v[4:5]
	ds_bpermute_b32 v5, v10, v3
	ds_bpermute_b32 v4, v10, v2
	v_cmp_lt_i32_e32 vcc, v11, v12
	s_lshl_b64 s[2:3], s[2:3], 5
	s_cmp_lg_u64 s[12:13], 0
	v_cndmask_b32_e32 v11, v1, v11, vcc
	v_lshlrev_b32_e32 v11, 2, v11
	s_waitcnt lgkmcnt(0)
	v_pk_add_f32 v[2:3], v[2:3], v[4:5]
	ds_bpermute_b32 v5, v11, v3
	ds_bpermute_b32 v4, v11, v2
	v_cmp_lt_i32_e32 vcc, v13, v12
	s_cselect_b64 s[8:9], -1, 0
	s_cmp_lg_u64 s[14:15], 0
	v_cndmask_b32_e32 v1, v1, v13, vcc
	v_lshlrev_b32_e32 v12, 2, v1
	s_waitcnt lgkmcnt(0)
	v_pk_add_f32 v[2:3], v[2:3], v[4:5]
	ds_bpermute_b32 v5, v12, v3
	ds_bpermute_b32 v4, v12, v2
	s_cselect_b64 s[6:7], -1, 0
	v_mov_b32_e32 v1, 0
	s_waitcnt lgkmcnt(0)
	v_pk_add_f32 v[2:3], v[2:3], v[4:5]
	s_and_saveexec_b64 s[10:11], s[0:1]
	s_cbranch_execz .LBB68_19
; %bb.15:
	v_mov_b32_e32 v5, s3
	s_andn2_b64 vcc, exec, s[8:9]
	v_or_b32_e32 v4, s2, v0
	s_cbranch_vccnz .LBB68_17
; %bb.16:
	v_lshl_add_u64 v[14:15], v[4:5], 2, s[12:13]
	global_store_dword v[14:15], v3, off
.LBB68_17:
	s_andn2_b64 vcc, exec, s[6:7]
	s_cbranch_vccnz .LBB68_19
; %bb.18:
	v_lshl_add_u64 v[4:5], v[4:5], 2, s[14:15]
	global_store_dword v[4:5], v2, off
.LBB68_19:
	s_or_b64 exec, exec, s[10:11]
	s_movk_i32 s10, 0x400
	v_cmp_gt_u32_e32 vcc, s10, v7
	s_and_b64 exec, exec, vcc
	s_cbranch_execz .LBB68_27
; %bb.20:
	s_and_saveexec_b64 s[10:11], s[4:5]
	s_cbranch_execz .LBB68_22
; %bb.21:
	v_add_u32_e32 v2, v0, v6
	v_lshl_add_u32 v2, v2, 2, 0
	ds_read_b32 v3, v2 offset:64
	ds_read_b32 v2, v2 offset:4288
.LBB68_22:
	s_or_b64 exec, exec, s[10:11]
	s_waitcnt lgkmcnt(1)
	ds_bpermute_b32 v4, v8, v3
	s_waitcnt lgkmcnt(1)
	ds_bpermute_b32 v5, v8, v2
	s_waitcnt lgkmcnt(1)
	v_add_f32_e32 v3, v3, v4
	s_waitcnt lgkmcnt(0)
	v_add_f32_e32 v2, v2, v5
	ds_bpermute_b32 v4, v9, v3
	ds_bpermute_b32 v5, v9, v2
	s_waitcnt lgkmcnt(1)
	v_add_f32_e32 v3, v3, v4
	s_waitcnt lgkmcnt(0)
	v_add_f32_e32 v2, v2, v5
	ds_bpermute_b32 v4, v10, v3
	;; [unrolled: 6-line block ×4, first 2 shown]
	ds_bpermute_b32 v3, v12, v2
	s_and_b64 exec, exec, s[0:1]
	s_cbranch_execz .LBB68_27
; %bb.23:
	s_andn2_b64 vcc, exec, s[8:9]
	v_lshl_add_u64 v[0:1], s[2:3], 0, v[0:1]
	s_cbranch_vccnz .LBB68_25
; %bb.24:
	s_waitcnt lgkmcnt(1)
	v_add_f32_e32 v6, v4, v5
	v_lshl_add_u64 v[4:5], v[0:1], 2, s[12:13]
	global_store_dword v[4:5], v6, off offset:64
.LBB68_25:
	s_andn2_b64 vcc, exec, s[6:7]
	s_cbranch_vccnz .LBB68_27
; %bb.26:
	s_waitcnt lgkmcnt(0)
	v_add_f32_e32 v2, v2, v3
	v_lshl_add_u64 v[0:1], v[0:1], 2, s[14:15]
	global_store_dword v[0:1], v2, off offset:64
.LBB68_27:
	s_endpgm
	.section	.rodata,"a",@progbits
	.p2align	6, 0x0
	.amdhsa_kernel _ZN2at6native12_GLOBAL__N_135GammaBetaBackwardCUDAKernelTemplateIffLj32ELj32ELj256ELb0ELb1ELb0EEEvllPKT_S5_PKT0_S8_PS3_S9_
		.amdhsa_group_segment_fixed_size 0
		.amdhsa_private_segment_fixed_size 0
		.amdhsa_kernarg_size 320
		.amdhsa_user_sgpr_count 2
		.amdhsa_user_sgpr_dispatch_ptr 0
		.amdhsa_user_sgpr_queue_ptr 0
		.amdhsa_user_sgpr_kernarg_segment_ptr 1
		.amdhsa_user_sgpr_dispatch_id 0
		.amdhsa_user_sgpr_kernarg_preload_length 0
		.amdhsa_user_sgpr_kernarg_preload_offset 0
		.amdhsa_user_sgpr_private_segment_size 0
		.amdhsa_uses_dynamic_stack 0
		.amdhsa_enable_private_segment 0
		.amdhsa_system_sgpr_workgroup_id_x 1
		.amdhsa_system_sgpr_workgroup_id_y 1
		.amdhsa_system_sgpr_workgroup_id_z 0
		.amdhsa_system_sgpr_workgroup_info 0
		.amdhsa_system_vgpr_workitem_id 1
		.amdhsa_next_free_vgpr 54
		.amdhsa_next_free_sgpr 32
		.amdhsa_accum_offset 56
		.amdhsa_reserve_vcc 1
		.amdhsa_float_round_mode_32 0
		.amdhsa_float_round_mode_16_64 0
		.amdhsa_float_denorm_mode_32 3
		.amdhsa_float_denorm_mode_16_64 3
		.amdhsa_dx10_clamp 1
		.amdhsa_ieee_mode 1
		.amdhsa_fp16_overflow 0
		.amdhsa_tg_split 0
		.amdhsa_exception_fp_ieee_invalid_op 0
		.amdhsa_exception_fp_denorm_src 0
		.amdhsa_exception_fp_ieee_div_zero 0
		.amdhsa_exception_fp_ieee_overflow 0
		.amdhsa_exception_fp_ieee_underflow 0
		.amdhsa_exception_fp_ieee_inexact 0
		.amdhsa_exception_int_div_zero 0
	.end_amdhsa_kernel
	.section	.text._ZN2at6native12_GLOBAL__N_135GammaBetaBackwardCUDAKernelTemplateIffLj32ELj32ELj256ELb0ELb1ELb0EEEvllPKT_S5_PKT0_S8_PS3_S9_,"axG",@progbits,_ZN2at6native12_GLOBAL__N_135GammaBetaBackwardCUDAKernelTemplateIffLj32ELj32ELj256ELb0ELb1ELb0EEEvllPKT_S5_PKT0_S8_PS3_S9_,comdat
.Lfunc_end68:
	.size	_ZN2at6native12_GLOBAL__N_135GammaBetaBackwardCUDAKernelTemplateIffLj32ELj32ELj256ELb0ELb1ELb0EEEvllPKT_S5_PKT0_S8_PS3_S9_, .Lfunc_end68-_ZN2at6native12_GLOBAL__N_135GammaBetaBackwardCUDAKernelTemplateIffLj32ELj32ELj256ELb0ELb1ELb0EEEvllPKT_S5_PKT0_S8_PS3_S9_
                                        ; -- End function
	.set _ZN2at6native12_GLOBAL__N_135GammaBetaBackwardCUDAKernelTemplateIffLj32ELj32ELj256ELb0ELb1ELb0EEEvllPKT_S5_PKT0_S8_PS3_S9_.num_vgpr, 54
	.set _ZN2at6native12_GLOBAL__N_135GammaBetaBackwardCUDAKernelTemplateIffLj32ELj32ELj256ELb0ELb1ELb0EEEvllPKT_S5_PKT0_S8_PS3_S9_.num_agpr, 0
	.set _ZN2at6native12_GLOBAL__N_135GammaBetaBackwardCUDAKernelTemplateIffLj32ELj32ELj256ELb0ELb1ELb0EEEvllPKT_S5_PKT0_S8_PS3_S9_.numbered_sgpr, 32
	.set _ZN2at6native12_GLOBAL__N_135GammaBetaBackwardCUDAKernelTemplateIffLj32ELj32ELj256ELb0ELb1ELb0EEEvllPKT_S5_PKT0_S8_PS3_S9_.num_named_barrier, 0
	.set _ZN2at6native12_GLOBAL__N_135GammaBetaBackwardCUDAKernelTemplateIffLj32ELj32ELj256ELb0ELb1ELb0EEEvllPKT_S5_PKT0_S8_PS3_S9_.private_seg_size, 0
	.set _ZN2at6native12_GLOBAL__N_135GammaBetaBackwardCUDAKernelTemplateIffLj32ELj32ELj256ELb0ELb1ELb0EEEvllPKT_S5_PKT0_S8_PS3_S9_.uses_vcc, 1
	.set _ZN2at6native12_GLOBAL__N_135GammaBetaBackwardCUDAKernelTemplateIffLj32ELj32ELj256ELb0ELb1ELb0EEEvllPKT_S5_PKT0_S8_PS3_S9_.uses_flat_scratch, 0
	.set _ZN2at6native12_GLOBAL__N_135GammaBetaBackwardCUDAKernelTemplateIffLj32ELj32ELj256ELb0ELb1ELb0EEEvllPKT_S5_PKT0_S8_PS3_S9_.has_dyn_sized_stack, 0
	.set _ZN2at6native12_GLOBAL__N_135GammaBetaBackwardCUDAKernelTemplateIffLj32ELj32ELj256ELb0ELb1ELb0EEEvllPKT_S5_PKT0_S8_PS3_S9_.has_recursion, 0
	.set _ZN2at6native12_GLOBAL__N_135GammaBetaBackwardCUDAKernelTemplateIffLj32ELj32ELj256ELb0ELb1ELb0EEEvllPKT_S5_PKT0_S8_PS3_S9_.has_indirect_call, 0
	.section	.AMDGPU.csdata,"",@progbits
; Kernel info:
; codeLenInByte = 1868
; TotalNumSgprs: 38
; NumVgprs: 54
; NumAgprs: 0
; TotalNumVgprs: 54
; ScratchSize: 0
; MemoryBound: 0
; FloatMode: 240
; IeeeMode: 1
; LDSByteSize: 0 bytes/workgroup (compile time only)
; SGPRBlocks: 4
; VGPRBlocks: 6
; NumSGPRsForWavesPerEU: 38
; NumVGPRsForWavesPerEU: 54
; AccumOffset: 56
; Occupancy: 8
; WaveLimiterHint : 0
; COMPUTE_PGM_RSRC2:SCRATCH_EN: 0
; COMPUTE_PGM_RSRC2:USER_SGPR: 2
; COMPUTE_PGM_RSRC2:TRAP_HANDLER: 0
; COMPUTE_PGM_RSRC2:TGID_X_EN: 1
; COMPUTE_PGM_RSRC2:TGID_Y_EN: 1
; COMPUTE_PGM_RSRC2:TGID_Z_EN: 0
; COMPUTE_PGM_RSRC2:TIDIG_COMP_CNT: 1
; COMPUTE_PGM_RSRC3_GFX90A:ACCUM_OFFSET: 13
; COMPUTE_PGM_RSRC3_GFX90A:TG_SPLIT: 0
	.section	.text._ZN2at6native12_GLOBAL__N_135GammaBetaBackwardCUDAKernelTemplateIffLj32ELj32ELj256ELb0ELb0ELb0EEEvllPKT_S5_PKT0_S8_PS3_S9_,"axG",@progbits,_ZN2at6native12_GLOBAL__N_135GammaBetaBackwardCUDAKernelTemplateIffLj32ELj32ELj256ELb0ELb0ELb0EEEvllPKT_S5_PKT0_S8_PS3_S9_,comdat
	.globl	_ZN2at6native12_GLOBAL__N_135GammaBetaBackwardCUDAKernelTemplateIffLj32ELj32ELj256ELb0ELb0ELb0EEEvllPKT_S5_PKT0_S8_PS3_S9_ ; -- Begin function _ZN2at6native12_GLOBAL__N_135GammaBetaBackwardCUDAKernelTemplateIffLj32ELj32ELj256ELb0ELb0ELb0EEEvllPKT_S5_PKT0_S8_PS3_S9_
	.p2align	8
	.type	_ZN2at6native12_GLOBAL__N_135GammaBetaBackwardCUDAKernelTemplateIffLj32ELj32ELj256ELb0ELb0ELb0EEEvllPKT_S5_PKT0_S8_PS3_S9_,@function
_ZN2at6native12_GLOBAL__N_135GammaBetaBackwardCUDAKernelTemplateIffLj32ELj32ELj256ELb0ELb0ELb0EEEvllPKT_S5_PKT0_S8_PS3_S9_: ; @_ZN2at6native12_GLOBAL__N_135GammaBetaBackwardCUDAKernelTemplateIffLj32ELj32ELj256ELb0ELb0ELb0EEEvllPKT_S5_PKT0_S8_PS3_S9_
; %bb.0:
	s_load_dwordx8 s[8:15], s[0:1], 0x0
	s_load_dwordx4 s[16:19], s[0:1], 0x20
	s_lshl_b32 s33, s2, 5
	s_mov_b32 s21, 0
	s_lshl_b32 s20, s3, 8
	s_or_b32 s4, s33, 31
	v_mov_b64_e32 v[2:3], s[20:21]
	v_mov_b32_e32 v20, s4
	v_mov_b32_e32 v21, 0
	s_waitcnt lgkmcnt(0)
	v_cmp_gt_i64_e64 s[4:5], s[8:9], v[2:3]
	v_cmp_le_i64_e32 vcc, s[10:11], v[20:21]
	s_nop 0
	v_cndmask_b32_e64 v1, 0, 1, s[4:5]
	v_cmp_ne_u32_e64 s[4:5], 1, v1
	s_cbranch_vccz .LBB69_48
; %bb.1:
	s_and_b64 vcc, exec, s[4:5]
	v_mov_b32_e32 v20, 0
	s_cbranch_vccnz .LBB69_49
; %bb.2:
	v_and_b32_e32 v1, 0x3ff, v0
	v_mov_b32_e32 v2, 0
	v_bfe_u32 v62, v0, 10, 10
	v_add_u32_e32 v4, s33, v1
	v_mov_b32_e32 v5, v2
	v_lshlrev_b32_e32 v22, 3, v62
	v_mov_b32_e32 v23, v2
	v_cmp_gt_i64_e64 s[6:7], s[10:11], v[4:5]
	v_lshlrev_b64 v[24:25], 2, v[4:5]
	v_lshl_add_u64 v[4:5], v[22:23], 0, s[20:21]
	v_mul_lo_u32 v3, s11, v4
	v_mul_lo_u32 v8, s10, v5
	v_mad_u64_u32 v[6:7], s[24:25], s10, v4, 0
	v_add3_u32 v7, v7, v8, v3
	v_lshlrev_b64 v[6:7], 2, v[6:7]
	v_lshl_add_u64 v[26:27], s[12:13], 0, v[6:7]
	v_lshl_add_u64 v[28:29], s[14:15], 0, v[6:7]
	v_lshl_add_u64 v[6:7], v[4:5], 0, 7
	v_mul_lo_u32 v9, s11, v6
	v_mul_lo_u32 v10, s10, v7
	v_mad_u64_u32 v[6:7], s[26:27], s10, v6, 0
	v_add3_u32 v7, v7, v10, v9
	v_lshlrev_b64 v[6:7], 2, v[6:7]
	v_lshl_add_u64 v[30:31], s[12:13], 0, v[6:7]
	v_lshl_add_u64 v[32:33], s[14:15], 0, v[6:7]
	;; [unrolled: 8-line block ×5, first 2 shown]
	v_lshl_add_u64 v[6:7], v[4:5], 0, 3
	v_mul_lo_u32 v9, s11, v6
	v_mul_lo_u32 v10, s10, v7
	v_mad_u64_u32 v[6:7], s[26:27], s10, v6, 0
	v_add3_u32 v7, v7, v10, v9
	s_load_dword s3, s[0:1], 0x44
	v_lshlrev_b64 v[6:7], 2, v[6:7]
	v_lshl_add_u64 v[46:47], s[12:13], 0, v[6:7]
	v_lshl_add_u64 v[48:49], s[14:15], 0, v[6:7]
	;; [unrolled: 1-line block ×3, first 2 shown]
	v_mul_lo_u32 v5, s11, v6
	v_mul_lo_u32 v9, s10, v7
	v_mad_u64_u32 v[6:7], s[26:27], s10, v6, 0
	v_add3_u32 v7, v7, v9, v5
	s_add_u32 s22, s0, 64
	v_lshlrev_b64 v[6:7], 2, v[6:7]
	s_addc_u32 s23, s1, 0
	s_waitcnt lgkmcnt(0)
	s_lshl_b32 s3, s3, 8
	v_lshl_add_u64 v[50:51], s[12:13], 0, v[6:7]
	v_lshl_add_u64 v[52:53], s[14:15], 0, v[6:7]
	v_mov_b64_e32 v[6:7], s[10:11]
	s_mul_i32 s24, s11, s3
	s_mul_hi_u32 s25, s10, s3
	v_mad_u64_u32 v[4:5], s[26:27], s10, v4, v[6:7]
	s_add_i32 s25, s25, s24
	s_mul_i32 s24, s10, s3
	v_add3_u32 v5, v3, v5, v8
	v_mbcnt_lo_u32_b32 v3, -1, 0
	s_lshl_b64 s[24:25], s[24:25], 2
	v_mbcnt_hi_u32_b32 v3, -1, v3
	v_lshlrev_b64 v[4:5], 2, v[4:5]
	s_add_u32 s26, s20, 0xff
	s_movk_i32 s28, 0xff01
	s_movk_i32 s30, 0xff02
	;; [unrolled: 1-line block ×8, first 2 shown]
	v_lshlrev_b32_e32 v3, 2, v3
	v_lshl_add_u64 v[54:55], s[12:13], 0, v[4:5]
	v_lshl_add_u64 v[56:57], s[14:15], 0, v[4:5]
	s_addc_u32 s27, 0, 0
	s_mov_b32 s29, -1
	s_mov_b32 s31, -1
	;; [unrolled: 1-line block ×8, first 2 shown]
	v_and_b32_e32 v63, 0x100, v3
	s_mov_b64 s[46:47], s[20:21]
	v_mov_b32_e32 v20, 0
	v_mov_b32_e32 v21, v2
	s_branch .LBB69_5
.LBB69_3:                               ;   in Loop: Header=BB69_5 Depth=1
	s_or_b64 exec, exec, s[48:49]
	s_waitcnt vmcnt(1)
	ds_bpermute_b32 v3, v63, v61
	ds_bpermute_b32 v58, v63, v61 offset:4
	s_waitcnt vmcnt(0)
	ds_bpermute_b32 v59, v63, v60
	ds_bpermute_b32 v64, v63, v60 offset:4
	v_mov_b32_e32 v65, v7
	s_waitcnt lgkmcnt(3)
	v_sub_f32_e32 v3, v12, v3
	v_mul_f32_e32 v3, v4, v3
	s_waitcnt lgkmcnt(2)
	v_sub_f32_e32 v13, v13, v58
	s_waitcnt lgkmcnt(1)
	v_mul_f32_e32 v12, v3, v59
	ds_bpermute_b32 v3, v63, v61 offset:8
	v_mul_f32_e32 v13, v5, v13
	s_waitcnt lgkmcnt(1)
	v_mul_f32_e32 v58, v13, v64
	ds_bpermute_b32 v13, v63, v60 offset:8
	ds_bpermute_b32 v59, v63, v61 offset:12
	;; [unrolled: 1-line block ×3, first 2 shown]
	s_waitcnt lgkmcnt(3)
	v_sub_f32_e32 v3, v14, v3
	v_mul_f32_e32 v3, v6, v3
	s_waitcnt lgkmcnt(2)
	v_mul_f32_e32 v14, v3, v13
	s_waitcnt lgkmcnt(1)
	v_sub_f32_e32 v3, v15, v59
	ds_bpermute_b32 v13, v63, v61 offset:16
	v_mul_f32_e32 v3, v7, v3
	s_waitcnt lgkmcnt(1)
	v_mul_f32_e32 v64, v3, v64
	ds_bpermute_b32 v3, v63, v60 offset:16
	ds_bpermute_b32 v15, v63, v61 offset:20
	;; [unrolled: 1-line block ×3, first 2 shown]
	s_waitcnt lgkmcnt(3)
	v_sub_f32_e32 v13, v16, v13
	v_mul_f32_e32 v13, v8, v13
	s_waitcnt lgkmcnt(2)
	v_mul_f32_e32 v16, v13, v3
	s_waitcnt lgkmcnt(1)
	v_sub_f32_e32 v3, v17, v15
	v_mul_f32_e32 v3, v9, v3
	v_mov_b32_e32 v13, v4
	s_waitcnt lgkmcnt(0)
	v_mul_f32_e32 v66, v3, v59
	v_pk_add_f32 v[12:13], v[20:21], v[12:13]
	v_mov_b32_e32 v59, v5
	v_pk_add_f32 v[4:5], v[58:59], v[12:13]
	v_mov_b32_e32 v15, v6
	v_pk_add_f32 v[4:5], v[14:15], v[4:5]
	ds_bpermute_b32 v3, v63, v61 offset:24
	v_pk_add_f32 v[4:5], v[64:65], v[4:5]
	v_mov_b32_e32 v17, v8
	v_pk_add_f32 v[4:5], v[16:17], v[4:5]
	v_mov_b32_e32 v67, v9
	v_pk_add_f32 v[6:7], v[66:67], v[4:5]
	ds_bpermute_b32 v5, v63, v60 offset:24
	s_waitcnt lgkmcnt(1)
	v_sub_f32_e32 v8, v18, v3
	ds_bpermute_b32 v3, v63, v60 offset:28
	ds_bpermute_b32 v4, v63, v61 offset:28
	v_mul_f32_e32 v8, v10, v8
	s_waitcnt lgkmcnt(2)
	v_mul_f32_e32 v8, v8, v5
	v_mov_b32_e32 v9, v10
	v_pk_add_f32 v[60:61], v[8:9], v[6:7]
.LBB69_4:                               ;   in Loop: Header=BB69_5 Depth=1
	s_waitcnt lgkmcnt(0)
	v_sub_f32_e32 v4, v19, v4
	v_mul_f32_e32 v4, v11, v4
	s_add_u32 s46, s46, s3
	v_mul_f32_e32 v10, v4, v3
	s_addc_u32 s47, s47, 0
	v_mov_b64_e32 v[4:5], s[8:9]
	s_add_u32 s26, s26, s3
	v_cmp_lt_i64_e32 vcc, s[46:47], v[4:5]
	v_pk_add_f32 v[20:21], v[60:61], v[10:11]
	v_lshl_add_u64 v[26:27], v[26:27], 0, s[24:25]
	v_lshl_add_u64 v[28:29], v[28:29], 0, s[24:25]
	;; [unrolled: 1-line block ×16, first 2 shown]
	s_addc_u32 s27, s27, 0
	s_cbranch_vccz .LBB69_49
.LBB69_5:                               ; =>This Inner Loop Header: Depth=1
	v_mov_b64_e32 v[4:5], s[8:9]
	v_cmp_ge_i64_e32 vcc, s[26:27], v[4:5]
	v_lshl_add_u64 v[58:59], v[22:23], 0, s[26:27]
	s_mov_b64 s[48:49], -1
	s_and_b64 vcc, exec, vcc
                                        ; implicit-def: $vgpr4_vgpr5_vgpr6_vgpr7_vgpr8_vgpr9_vgpr10_vgpr11
                                        ; implicit-def: $vgpr60_vgpr61
                                        ; implicit-def: $vgpr3
                                        ; implicit-def: $vgpr12_vgpr13_vgpr14_vgpr15_vgpr16_vgpr17_vgpr18_vgpr19
                                        ; implicit-def: $vgpr4
	s_cbranch_vccz .LBB69_27
; %bb.6:                                ;   in Loop: Header=BB69_5 Depth=1
	s_load_dword s48, s[22:23], 0xc
	v_mov_b32_e32 v60, 0
	v_mov_b32_e32 v61, 0
	s_waitcnt lgkmcnt(0)
	s_and_b32 s48, s48, 0xffff
	v_mad_u32_u24 v3, v62, s48, v1
	v_and_b32_e32 v4, 63, v3
	v_cmp_gt_u32_e32 vcc, 8, v4
	s_and_saveexec_b64 s[48:49], vcc
	s_cbranch_execz .LBB69_10
; %bb.7:                                ;   in Loop: Header=BB69_5 Depth=1
	v_mov_b32_e32 v5, v2
	v_lshl_add_u64 v[4:5], v[58:59], 0, v[4:5]
	v_lshl_add_u64 v[4:5], v[4:5], 0, s[28:29]
	v_cmp_gt_i64_e32 vcc, s[8:9], v[4:5]
	v_mov_b32_e32 v61, 0
	v_mov_b32_e32 v60, 0
	s_and_saveexec_b64 s[50:51], vcc
	s_cbranch_execz .LBB69_9
; %bb.8:                                ;   in Loop: Header=BB69_5 Depth=1
	v_lshlrev_b64 v[4:5], 2, v[4:5]
	v_lshl_add_u64 v[6:7], s[18:19], 0, v[4:5]
	v_lshl_add_u64 v[4:5], s[16:17], 0, v[4:5]
	global_load_dword v61, v[4:5], off
	global_load_dword v60, v[6:7], off
.LBB69_9:                               ;   in Loop: Header=BB69_5 Depth=1
	s_or_b64 exec, exec, s[50:51]
.LBB69_10:                              ;   in Loop: Header=BB69_5 Depth=1
	s_or_b64 exec, exec, s[48:49]
	v_lshl_add_u64 v[4:5], v[58:59], 0, s[28:29]
	v_mov_b32_e32 v8, v2
	v_mov_b32_e32 v9, v2
	v_cmp_gt_i64_e32 vcc, s[8:9], v[4:5]
	v_mov_b32_e32 v3, v2
	v_mov_b32_e32 v4, v2
	;; [unrolled: 1-line block ×5, first 2 shown]
	v_mov_b64_e32 v[18:19], v[8:9]
	v_mov_b64_e32 v[16:17], v[6:7]
	;; [unrolled: 1-line block ×5, first 2 shown]
	s_and_b64 s[50:51], s[6:7], vcc
	v_mov_b64_e32 v[8:9], v[6:7]
	v_mov_b64_e32 v[6:7], v[4:5]
	;; [unrolled: 1-line block ×3, first 2 shown]
	s_and_saveexec_b64 s[48:49], s[50:51]
	s_cbranch_execz .LBB69_12
; %bb.11:                               ;   in Loop: Header=BB69_5 Depth=1
	v_lshl_add_u64 v[4:5], v[26:27], 0, v[24:25]
	v_lshl_add_u64 v[6:7], v[28:29], 0, v[24:25]
	global_load_dword v4, v[4:5], off
	v_mov_b32_e32 v5, v2
	global_load_dword v12, v[6:7], off
	v_mov_b32_e32 v6, v2
	v_mov_b32_e32 v7, v2
	;; [unrolled: 1-line block ×13, first 2 shown]
.LBB69_12:                              ;   in Loop: Header=BB69_5 Depth=1
	s_or_b64 exec, exec, s[48:49]
	v_lshl_add_u64 v[64:65], v[58:59], 0, s[30:31]
	v_cmp_gt_i64_e32 vcc, s[8:9], v[64:65]
	s_and_b64 s[50:51], s[6:7], vcc
	s_and_saveexec_b64 s[48:49], s[50:51]
	s_cbranch_execz .LBB69_14
; %bb.13:                               ;   in Loop: Header=BB69_5 Depth=1
	v_lshl_add_u64 v[64:65], v[54:55], 0, v[24:25]
	global_load_dword v5, v[64:65], off
	v_lshl_add_u64 v[64:65], v[56:57], 0, v[24:25]
	global_load_dword v13, v[64:65], off
.LBB69_14:                              ;   in Loop: Header=BB69_5 Depth=1
	s_or_b64 exec, exec, s[48:49]
	v_lshl_add_u64 v[64:65], v[58:59], 0, s[34:35]
	v_cmp_gt_i64_e32 vcc, s[8:9], v[64:65]
	s_and_b64 s[50:51], s[6:7], vcc
	s_and_saveexec_b64 s[48:49], s[50:51]
	s_cbranch_execz .LBB69_16
; %bb.15:                               ;   in Loop: Header=BB69_5 Depth=1
	v_lshl_add_u64 v[64:65], v[50:51], 0, v[24:25]
	global_load_dword v6, v[64:65], off
	v_lshl_add_u64 v[64:65], v[52:53], 0, v[24:25]
	global_load_dword v14, v[64:65], off
.LBB69_16:                              ;   in Loop: Header=BB69_5 Depth=1
	;; [unrolled: 12-line block ×7, first 2 shown]
	s_or_b64 exec, exec, s[48:49]
	s_waitcnt vmcnt(1)
	ds_bpermute_b32 v3, v63, v61
	ds_bpermute_b32 v64, v63, v61 offset:4
	s_waitcnt vmcnt(0)
	ds_bpermute_b32 v65, v63, v60
	ds_bpermute_b32 v66, v63, v60 offset:4
	v_mov_b32_e32 v67, v7
	s_waitcnt lgkmcnt(3)
	v_sub_f32_e32 v3, v12, v3
	v_mul_f32_e32 v3, v4, v3
	s_waitcnt lgkmcnt(2)
	v_sub_f32_e32 v13, v13, v64
	s_waitcnt lgkmcnt(1)
	v_mul_f32_e32 v12, v3, v65
	ds_bpermute_b32 v3, v63, v61 offset:8
	v_mul_f32_e32 v13, v5, v13
	s_waitcnt lgkmcnt(1)
	v_mul_f32_e32 v64, v13, v66
	ds_bpermute_b32 v13, v63, v60 offset:8
	ds_bpermute_b32 v65, v63, v61 offset:12
	;; [unrolled: 1-line block ×3, first 2 shown]
	s_waitcnt lgkmcnt(3)
	v_sub_f32_e32 v3, v14, v3
	v_mul_f32_e32 v3, v6, v3
	s_waitcnt lgkmcnt(2)
	v_mul_f32_e32 v14, v3, v13
	s_waitcnt lgkmcnt(1)
	v_sub_f32_e32 v3, v15, v65
	ds_bpermute_b32 v13, v63, v61 offset:16
	v_mul_f32_e32 v3, v7, v3
	s_waitcnt lgkmcnt(1)
	v_mul_f32_e32 v66, v3, v66
	ds_bpermute_b32 v3, v63, v60 offset:16
	ds_bpermute_b32 v15, v63, v61 offset:20
	;; [unrolled: 1-line block ×3, first 2 shown]
	s_waitcnt lgkmcnt(3)
	v_sub_f32_e32 v13, v16, v13
	v_mul_f32_e32 v13, v8, v13
	s_waitcnt lgkmcnt(2)
	v_mul_f32_e32 v16, v13, v3
	s_waitcnt lgkmcnt(1)
	v_sub_f32_e32 v3, v17, v15
	v_mul_f32_e32 v3, v9, v3
	v_mov_b32_e32 v13, v4
	s_waitcnt lgkmcnt(0)
	v_mul_f32_e32 v68, v3, v65
	v_pk_add_f32 v[12:13], v[20:21], v[12:13]
	v_mov_b32_e32 v65, v5
	v_pk_add_f32 v[4:5], v[64:65], v[12:13]
	v_mov_b32_e32 v15, v6
	ds_bpermute_b32 v3, v63, v61 offset:24
	v_pk_add_f32 v[4:5], v[14:15], v[4:5]
	v_mov_b32_e32 v17, v8
	v_pk_add_f32 v[4:5], v[66:67], v[4:5]
	v_mov_b32_e32 v69, v9
	v_pk_add_f32 v[4:5], v[16:17], v[4:5]
	s_waitcnt lgkmcnt(0)
	v_sub_f32_e32 v3, v18, v3
	v_pk_add_f32 v[6:7], v[68:69], v[4:5]
	ds_bpermute_b32 v5, v63, v60 offset:24
	v_mul_f32_e32 v8, v10, v3
	ds_bpermute_b32 v3, v63, v60 offset:28
	ds_bpermute_b32 v4, v63, v61 offset:28
	v_mov_b32_e32 v9, v10
	s_waitcnt lgkmcnt(2)
	v_mul_f32_e32 v8, v8, v5
	v_pk_add_f32 v[60:61], v[8:9], v[6:7]
	s_mov_b64 s[48:49], 0
.LBB69_27:                              ;   in Loop: Header=BB69_5 Depth=1
	s_and_b64 vcc, exec, s[48:49]
	s_cbranch_vccz .LBB69_4
; %bb.28:                               ;   in Loop: Header=BB69_5 Depth=1
	s_load_dword s48, s[22:23], 0x0
	v_mov_b32_e32 v60, 0
	v_mov_b32_e32 v61, 0
	s_waitcnt lgkmcnt(0)
	s_cmp_lt_u32 s2, s48
	s_cselect_b32 s48, 12, 18
	s_add_u32 s48, s22, s48
	s_addc_u32 s49, s23, 0
	global_load_ushort v3, v2, s[48:49]
	s_waitcnt vmcnt(0)
	v_mad_u32_u24 v3, v62, v3, v1
	v_and_b32_e32 v4, 63, v3
	v_cmp_gt_u32_e32 vcc, 8, v4
	s_and_saveexec_b64 s[48:49], vcc
	s_cbranch_execz .LBB69_32
; %bb.29:                               ;   in Loop: Header=BB69_5 Depth=1
	v_mov_b32_e32 v5, v2
	v_lshl_add_u64 v[4:5], v[58:59], 0, v[4:5]
	v_lshl_add_u64 v[4:5], v[4:5], 0, s[28:29]
	v_cmp_gt_i64_e32 vcc, s[8:9], v[4:5]
	v_mov_b32_e32 v61, 0
	v_mov_b32_e32 v60, 0
	s_and_saveexec_b64 s[50:51], vcc
	s_cbranch_execz .LBB69_31
; %bb.30:                               ;   in Loop: Header=BB69_5 Depth=1
	v_lshlrev_b64 v[4:5], 2, v[4:5]
	v_lshl_add_u64 v[6:7], s[18:19], 0, v[4:5]
	v_lshl_add_u64 v[4:5], s[16:17], 0, v[4:5]
	global_load_dword v61, v[4:5], off
	global_load_dword v60, v[6:7], off
.LBB69_31:                              ;   in Loop: Header=BB69_5 Depth=1
	s_or_b64 exec, exec, s[50:51]
.LBB69_32:                              ;   in Loop: Header=BB69_5 Depth=1
	s_or_b64 exec, exec, s[48:49]
	v_mov_b32_e32 v8, v2
	v_mov_b32_e32 v9, v2
	;; [unrolled: 1-line block ×7, first 2 shown]
	v_mov_b64_e32 v[18:19], v[8:9]
	v_mov_b64_e32 v[16:17], v[6:7]
	;; [unrolled: 1-line block ×8, first 2 shown]
	s_and_saveexec_b64 s[48:49], s[6:7]
	s_cbranch_execnz .LBB69_40
; %bb.33:                               ;   in Loop: Header=BB69_5 Depth=1
	s_or_b64 exec, exec, s[48:49]
	s_and_saveexec_b64 s[48:49], s[6:7]
	s_cbranch_execnz .LBB69_41
.LBB69_34:                              ;   in Loop: Header=BB69_5 Depth=1
	s_or_b64 exec, exec, s[48:49]
	s_and_saveexec_b64 s[48:49], s[6:7]
	s_cbranch_execnz .LBB69_42
.LBB69_35:                              ;   in Loop: Header=BB69_5 Depth=1
	s_or_b64 exec, exec, s[48:49]
	s_and_saveexec_b64 s[48:49], s[6:7]
	s_cbranch_execnz .LBB69_43
.LBB69_36:                              ;   in Loop: Header=BB69_5 Depth=1
	s_or_b64 exec, exec, s[48:49]
	s_and_saveexec_b64 s[48:49], s[6:7]
	s_cbranch_execnz .LBB69_44
.LBB69_37:                              ;   in Loop: Header=BB69_5 Depth=1
	s_or_b64 exec, exec, s[48:49]
	s_and_saveexec_b64 s[48:49], s[6:7]
	s_cbranch_execnz .LBB69_45
.LBB69_38:                              ;   in Loop: Header=BB69_5 Depth=1
	s_or_b64 exec, exec, s[48:49]
	s_and_saveexec_b64 s[48:49], s[6:7]
	s_cbranch_execnz .LBB69_46
.LBB69_39:                              ;   in Loop: Header=BB69_5 Depth=1
	s_or_b64 exec, exec, s[48:49]
	s_and_saveexec_b64 s[48:49], s[6:7]
	s_cbranch_execz .LBB69_3
	s_branch .LBB69_47
.LBB69_40:                              ;   in Loop: Header=BB69_5 Depth=1
	v_lshl_add_u64 v[4:5], v[26:27], 0, v[24:25]
	v_lshl_add_u64 v[6:7], v[28:29], 0, v[24:25]
	global_load_dword v4, v[4:5], off
	v_mov_b32_e32 v5, v2
	global_load_dword v12, v[6:7], off
	v_mov_b32_e32 v6, v2
	v_mov_b32_e32 v7, v2
	;; [unrolled: 1-line block ×13, first 2 shown]
	s_or_b64 exec, exec, s[48:49]
	s_and_saveexec_b64 s[48:49], s[6:7]
	s_cbranch_execz .LBB69_34
.LBB69_41:                              ;   in Loop: Header=BB69_5 Depth=1
	v_lshl_add_u64 v[58:59], v[54:55], 0, v[24:25]
	global_load_dword v5, v[58:59], off
	v_lshl_add_u64 v[58:59], v[56:57], 0, v[24:25]
	global_load_dword v13, v[58:59], off
	s_or_b64 exec, exec, s[48:49]
	s_and_saveexec_b64 s[48:49], s[6:7]
	s_cbranch_execz .LBB69_35
.LBB69_42:                              ;   in Loop: Header=BB69_5 Depth=1
	v_lshl_add_u64 v[58:59], v[50:51], 0, v[24:25]
	global_load_dword v6, v[58:59], off
	v_lshl_add_u64 v[58:59], v[52:53], 0, v[24:25]
	global_load_dword v14, v[58:59], off
	s_or_b64 exec, exec, s[48:49]
	s_and_saveexec_b64 s[48:49], s[6:7]
	s_cbranch_execz .LBB69_36
.LBB69_43:                              ;   in Loop: Header=BB69_5 Depth=1
	v_lshl_add_u64 v[58:59], v[46:47], 0, v[24:25]
	global_load_dword v7, v[58:59], off
	v_lshl_add_u64 v[58:59], v[48:49], 0, v[24:25]
	global_load_dword v15, v[58:59], off
	s_or_b64 exec, exec, s[48:49]
	s_and_saveexec_b64 s[48:49], s[6:7]
	s_cbranch_execz .LBB69_37
.LBB69_44:                              ;   in Loop: Header=BB69_5 Depth=1
	v_lshl_add_u64 v[58:59], v[42:43], 0, v[24:25]
	global_load_dword v8, v[58:59], off
	v_lshl_add_u64 v[58:59], v[44:45], 0, v[24:25]
	global_load_dword v16, v[58:59], off
	s_or_b64 exec, exec, s[48:49]
	s_and_saveexec_b64 s[48:49], s[6:7]
	s_cbranch_execz .LBB69_38
.LBB69_45:                              ;   in Loop: Header=BB69_5 Depth=1
	v_lshl_add_u64 v[58:59], v[38:39], 0, v[24:25]
	global_load_dword v9, v[58:59], off
	v_lshl_add_u64 v[58:59], v[40:41], 0, v[24:25]
	global_load_dword v17, v[58:59], off
	s_or_b64 exec, exec, s[48:49]
	s_and_saveexec_b64 s[48:49], s[6:7]
	s_cbranch_execz .LBB69_39
.LBB69_46:                              ;   in Loop: Header=BB69_5 Depth=1
	v_lshl_add_u64 v[58:59], v[34:35], 0, v[24:25]
	global_load_dword v10, v[58:59], off
	v_lshl_add_u64 v[58:59], v[36:37], 0, v[24:25]
	global_load_dword v18, v[58:59], off
	s_or_b64 exec, exec, s[48:49]
	s_and_saveexec_b64 s[48:49], s[6:7]
	s_cbranch_execz .LBB69_3
.LBB69_47:                              ;   in Loop: Header=BB69_5 Depth=1
	v_lshl_add_u64 v[58:59], v[30:31], 0, v[24:25]
	global_load_dword v11, v[58:59], off
	v_lshl_add_u64 v[58:59], v[32:33], 0, v[24:25]
	global_load_dword v19, v[58:59], off
	s_branch .LBB69_3
.LBB69_48:
                                        ; implicit-def: $vgpr21
	s_branch .LBB69_50
.LBB69_49:
	s_cbranch_execnz .LBB69_81
.LBB69_50:
	v_mov_b32_e32 v21, 0
	s_and_b64 vcc, exec, s[4:5]
	v_mov_b32_e32 v20, v21
	s_cbranch_vccnz .LBB69_81
; %bb.51:
	v_mov_b32_e32 v2, 0
	v_bfe_u32 v88, v0, 10, 10
	v_lshlrev_b32_e32 v6, 5, v88
	v_mov_b32_e32 v7, v2
	v_lshl_add_u64 v[6:7], s[20:21], 2, v[6:7]
	v_lshl_add_u64 v[8:9], v[6:7], 0, 4
	v_mov_b64_e32 v[10:11], s[12:13]
	v_lshl_add_u64 v[12:13], v[6:7], 0, 8
	v_lshl_add_u64 v[14:15], v[6:7], 0, 12
	;; [unrolled: 1-line block ×6, first 2 shown]
	v_mad_u64_u32 v[24:25], s[4:5], s10, v8, v[10:11]
	v_mad_u64_u32 v[26:27], s[4:5], s10, v12, v[10:11]
	;; [unrolled: 1-line block ×7, first 2 shown]
	v_mov_b64_e32 v[10:11], s[14:15]
	v_mul_lo_u32 v9, s10, v9
	v_mul_lo_u32 v40, s11, v8
	v_mad_u64_u32 v[38:39], s[4:5], s10, v8, v[10:11]
	v_add3_u32 v25, v40, v25, v9
	v_mul_lo_u32 v13, s10, v13
	v_mul_lo_u32 v42, s11, v12
	v_add3_u32 v39, v40, v39, v9
	v_mad_u64_u32 v[40:41], s[4:5], s10, v12, v[10:11]
	v_add3_u32 v27, v42, v27, v13
	v_mul_lo_u32 v15, s10, v15
	v_mul_lo_u32 v44, s11, v14
	v_add3_u32 v41, v42, v41, v13
	;; [unrolled: 5-line block ×4, first 2 shown]
	v_mad_u64_u32 v[46:47], s[4:5], s10, v18, v[10:11]
	v_lshlrev_b32_e32 v22, 3, v88
	v_mov_b32_e32 v23, v2
	v_add3_u32 v33, v48, v33, v19
	v_mul_lo_u32 v21, s10, v21
	v_mul_lo_u32 v50, s11, v20
	v_add3_u32 v47, v48, v47, v19
	v_mad_u64_u32 v[48:49], s[4:5], s10, v20, v[10:11]
	v_lshl_add_u64 v[4:5], v[22:23], 0, s[20:21]
	v_add3_u32 v35, v50, v35, v21
	v_mul_lo_u32 v7, s10, v7
	v_mul_lo_u32 v8, s11, v6
	v_add3_u32 v49, v50, v49, v21
	v_mad_u64_u32 v[50:51], s[4:5], s10, v6, v[10:11]
	v_add3_u32 v37, v8, v37, v7
	v_add3_u32 v51, v8, v51, v7
	v_lshl_add_u64 v[6:7], v[4:5], 0, 7
	v_mul_lo_u32 v8, s11, v6
	v_mul_lo_u32 v9, s10, v7
	v_mad_u64_u32 v[6:7], s[4:5], s10, v6, 0
	v_add3_u32 v7, v7, v9, v8
	v_lshl_add_u64 v[8:9], v[4:5], 0, 6
	v_mul_lo_u32 v10, s11, v8
	v_mul_lo_u32 v11, s10, v9
	v_mad_u64_u32 v[8:9], s[4:5], s10, v8, 0
	;; [unrolled: 5-line block ×5, first 2 shown]
	v_add3_u32 v15, v15, v17, v16
	v_lshl_add_u64 v[16:17], v[4:5], 0, 2
	v_mul_lo_u32 v52, s10, v5
	v_mul_lo_u32 v5, s11, v16
	;; [unrolled: 1-line block ×3, first 2 shown]
	v_mad_u64_u32 v[16:17], s[4:5], s10, v16, 0
	v_add3_u32 v17, v17, v18, v5
	v_mov_b64_e32 v[18:19], s[10:11]
	v_mul_lo_u32 v3, s11, v4
	v_mad_u64_u32 v[18:19], s[4:5], s10, v4, v[18:19]
	v_mad_u64_u32 v[4:5], s[4:5], s10, v4, 0
	s_load_dword s3, s[0:1], 0x44
	v_add3_u32 v5, v5, v52, v3
	v_lshlrev_b64 v[4:5], 2, v[4:5]
	v_lshl_add_u64 v[54:55], s[12:13], 0, v[4:5]
	v_lshl_add_u64 v[56:57], s[14:15], 0, v[4:5]
	v_lshlrev_b64 v[4:5], 2, v[6:7]
	v_lshl_add_u64 v[58:59], s[12:13], 0, v[4:5]
	v_lshl_add_u64 v[60:61], s[14:15], 0, v[4:5]
	v_lshlrev_b64 v[4:5], 2, v[8:9]
	s_add_u32 s4, s0, 64
	v_lshl_add_u64 v[62:63], s[12:13], 0, v[4:5]
	v_lshl_add_u64 v[64:65], s[14:15], 0, v[4:5]
	v_lshlrev_b64 v[4:5], 2, v[10:11]
	s_addc_u32 s5, s1, 0
	s_waitcnt lgkmcnt(0)
	s_lshl_b32 s3, s3, 8
	v_lshl_add_u64 v[66:67], s[12:13], 0, v[4:5]
	v_lshl_add_u64 v[68:69], s[14:15], 0, v[4:5]
	v_lshlrev_b64 v[4:5], 2, v[12:13]
	s_mul_i32 s6, s11, s3
	s_mul_hi_u32 s7, s10, s3
	v_lshl_add_u64 v[70:71], s[12:13], 0, v[4:5]
	v_lshl_add_u64 v[72:73], s[14:15], 0, v[4:5]
	v_lshlrev_b64 v[4:5], 2, v[14:15]
	v_add3_u32 v19, v3, v19, v52
	s_add_i32 s7, s7, s6
	s_mul_i32 s6, s10, s3
	v_lshl_add_u64 v[74:75], s[12:13], 0, v[4:5]
	v_lshl_add_u64 v[76:77], s[14:15], 0, v[4:5]
	v_lshlrev_b64 v[4:5], 2, v[16:17]
	v_mbcnt_lo_u32_b32 v3, -1, 0
	v_and_b32_e32 v1, 0x3ff, v0
	s_lshl_b64 s[6:7], s[6:7], 2
	v_lshl_add_u64 v[78:79], s[12:13], 0, v[4:5]
	v_lshl_add_u64 v[80:81], s[14:15], 0, v[4:5]
	v_lshlrev_b64 v[4:5], 2, v[18:19]
	v_mbcnt_hi_u32_b32 v3, -1, v3
	v_add_u32_e32 v20, s33, v1
	v_mov_b32_e32 v21, v2
	s_add_u32 s22, s20, 0xff
	v_lshl_add_u64 v[82:83], s[12:13], 0, v[4:5]
	v_lshl_add_u64 v[84:85], s[14:15], 0, v[4:5]
	s_movk_i32 s12, 0xff01
	s_movk_i32 s14, 0xff02
	s_movk_i32 s24, 0xff03
	s_movk_i32 s26, 0xff04
	s_movk_i32 s28, 0xff05
	s_movk_i32 s30, 0xff06
	s_movk_i32 s34, 0xff07
	s_movk_i32 s36, 0xff08
	v_lshlrev_b32_e32 v3, 2, v3
	v_lshlrev_b64 v[52:53], 2, v[20:21]
	s_addc_u32 s23, 0, 0
	s_mov_b32 s13, -1
	s_mov_b32 s15, -1
	;; [unrolled: 1-line block ×8, first 2 shown]
	v_and_b32_e32 v89, 0x100, v3
	v_mov_b32_e32 v20, 0
	s_branch .LBB69_55
.LBB69_52:                              ;   in Loop: Header=BB69_55 Depth=1
	s_or_b64 exec, exec, s[40:41]
.LBB69_53:                              ;   in Loop: Header=BB69_55 Depth=1
	s_or_b64 exec, exec, s[38:39]
	v_lshl_add_u64 v[4:5], v[54:55], 0, v[52:53]
	v_lshl_add_u64 v[8:9], v[56:57], 0, v[52:53]
	global_load_dword v5, v[4:5], off
	v_lshl_add_u64 v[10:11], v[40:41], 0, v[52:53]
	global_load_dword v4, v[8:9], off
	;; [unrolled: 2-line block ×5, first 2 shown]
	s_waitcnt vmcnt(6)
	ds_bpermute_b32 v90, v89, v3
	global_load_dword v8, v[10:11], off
	v_lshl_add_u64 v[10:11], v[28:29], 0, v[52:53]
	global_load_dword v13, v[10:11], off
	v_lshl_add_u64 v[10:11], v[42:43], 0, v[52:53]
	;; [unrolled: 2-line block ×10, first 2 shown]
	global_load_dword v11, v[10:11], off
	ds_bpermute_b32 v92, v89, v3 offset:4
	s_waitcnt vmcnt(16)
	ds_bpermute_b32 v10, v89, v6
	ds_bpermute_b32 v94, v89, v3 offset:8
	ds_bpermute_b32 v91, v89, v6 offset:4
	;; [unrolled: 1-line block ×13, first 2 shown]
	s_waitcnt vmcnt(14) lgkmcnt(14)
	v_sub_f32_e32 v4, v4, v90
	v_mul_f32_e32 v4, v5, v4
	s_waitcnt lgkmcnt(13)
	v_mul_f32_e32 v4, v4, v10
	v_pk_add_f32 v[4:5], v[20:21], v[4:5]
	s_waitcnt vmcnt(12)
	v_sub_f32_e32 v6, v12, v92
	v_mul_f32_e32 v6, v7, v6
	s_waitcnt lgkmcnt(11)
	v_mul_f32_e32 v6, v6, v91
	v_pk_add_f32 v[4:5], v[4:5], v[6:7]
	s_waitcnt vmcnt(10)
	;; [unrolled: 6-line block ×3, first 2 shown]
	v_sub_f32_e32 v12, v14, v96
	v_mul_f32_e32 v12, v13, v12
	s_waitcnt vmcnt(7) lgkmcnt(8)
	v_sub_f32_e32 v14, v16, v98
	s_waitcnt lgkmcnt(7)
	v_mul_f32_e32 v12, v12, v95
	s_waitcnt vmcnt(6) lgkmcnt(6)
	v_sub_f32_e32 v16, v18, v100
	v_pk_add_f32 v[4:5], v[4:5], v[12:13]
	s_waitcnt vmcnt(5) lgkmcnt(2)
	v_sub_f32_e32 v18, v86, v102
	s_waitcnt vmcnt(4) lgkmcnt(0)
	v_sub_f32_e32 v3, v87, v3
	s_waitcnt vmcnt(3)
	v_mul_f32_e32 v14, v15, v14
	v_mul_f32_e32 v14, v14, v97
	s_waitcnt vmcnt(2)
	v_mul_f32_e32 v16, v17, v16
	v_mul_f32_e32 v16, v16, v99
	s_waitcnt vmcnt(1)
	v_mul_f32_e32 v18, v19, v18
	v_pk_add_f32 v[4:5], v[4:5], v[14:15]
	s_waitcnt vmcnt(0)
	v_mul_f32_e32 v3, v11, v3
	v_mul_f32_e32 v18, v18, v101
	v_pk_add_f32 v[4:5], v[4:5], v[16:17]
	v_mul_f32_e32 v10, v3, v103
	v_pk_add_f32 v[4:5], v[4:5], v[18:19]
.LBB69_54:                              ;   in Loop: Header=BB69_55 Depth=1
	s_add_u32 s20, s20, s3
	v_pk_add_f32 v[20:21], v[4:5], v[10:11]
	s_addc_u32 s21, s21, 0
	v_mov_b64_e32 v[4:5], s[8:9]
	s_add_u32 s22, s22, s3
	v_cmp_ge_i64_e32 vcc, s[20:21], v[4:5]
	v_lshl_add_u64 v[54:55], v[54:55], 0, s[6:7]
	v_lshl_add_u64 v[56:57], v[56:57], 0, s[6:7]
	s_addc_u32 s23, s23, 0
	v_lshl_add_u64 v[24:25], v[24:25], 0, s[6:7]
	v_lshl_add_u64 v[26:27], v[26:27], 0, s[6:7]
	v_lshl_add_u64 v[28:29], v[28:29], 0, s[6:7]
	v_lshl_add_u64 v[30:31], v[30:31], 0, s[6:7]
	v_lshl_add_u64 v[32:33], v[32:33], 0, s[6:7]
	v_lshl_add_u64 v[34:35], v[34:35], 0, s[6:7]
	v_lshl_add_u64 v[36:37], v[36:37], 0, s[6:7]
	v_lshl_add_u64 v[38:39], v[38:39], 0, s[6:7]
	v_lshl_add_u64 v[40:41], v[40:41], 0, s[6:7]
	v_lshl_add_u64 v[42:43], v[42:43], 0, s[6:7]
	v_lshl_add_u64 v[44:45], v[44:45], 0, s[6:7]
	v_lshl_add_u64 v[46:47], v[46:47], 0, s[6:7]
	v_lshl_add_u64 v[48:49], v[48:49], 0, s[6:7]
	v_lshl_add_u64 v[50:51], v[50:51], 0, s[6:7]
	v_lshl_add_u64 v[58:59], v[58:59], 0, s[6:7]
	v_lshl_add_u64 v[60:61], v[60:61], 0, s[6:7]
	v_lshl_add_u64 v[62:63], v[62:63], 0, s[6:7]
	v_lshl_add_u64 v[64:65], v[64:65], 0, s[6:7]
	v_lshl_add_u64 v[66:67], v[66:67], 0, s[6:7]
	v_lshl_add_u64 v[68:69], v[68:69], 0, s[6:7]
	v_lshl_add_u64 v[70:71], v[70:71], 0, s[6:7]
	v_lshl_add_u64 v[72:73], v[72:73], 0, s[6:7]
	v_lshl_add_u64 v[74:75], v[74:75], 0, s[6:7]
	v_lshl_add_u64 v[76:77], v[76:77], 0, s[6:7]
	v_lshl_add_u64 v[78:79], v[78:79], 0, s[6:7]
	v_lshl_add_u64 v[80:81], v[80:81], 0, s[6:7]
	v_lshl_add_u64 v[82:83], v[82:83], 0, s[6:7]
	v_lshl_add_u64 v[84:85], v[84:85], 0, s[6:7]
	s_cbranch_vccnz .LBB69_81
.LBB69_55:                              ; =>This Inner Loop Header: Depth=1
	v_mov_b64_e32 v[4:5], s[8:9]
	v_cmp_ge_i64_e32 vcc, s[22:23], v[4:5]
	v_lshl_add_u64 v[86:87], v[22:23], 0, s[22:23]
	s_mov_b64 s[38:39], -1
                                        ; implicit-def: $vgpr4_vgpr5
                                        ; implicit-def: $vgpr10_vgpr11
	s_cbranch_vccz .LBB69_77
; %bb.56:                               ;   in Loop: Header=BB69_55 Depth=1
	s_load_dword s33, s[4:5], 0xc
	v_mov_b32_e32 v90, 0
	v_mov_b32_e32 v91, 0
	s_waitcnt lgkmcnt(0)
	s_and_b32 s33, s33, 0xffff
	v_mad_u32_u24 v3, v88, s33, v1
	v_and_b32_e32 v4, 63, v3
	v_cmp_gt_u32_e32 vcc, 8, v4
	s_and_saveexec_b64 s[38:39], vcc
	s_cbranch_execz .LBB69_60
; %bb.57:                               ;   in Loop: Header=BB69_55 Depth=1
	v_mov_b32_e32 v5, v2
	v_lshl_add_u64 v[4:5], v[86:87], 0, v[4:5]
	v_lshl_add_u64 v[4:5], v[4:5], 0, s[12:13]
	v_cmp_gt_i64_e32 vcc, s[8:9], v[4:5]
	v_mov_b32_e32 v91, 0
	v_mov_b32_e32 v90, 0
	s_and_saveexec_b64 s[40:41], vcc
	s_cbranch_execz .LBB69_59
; %bb.58:                               ;   in Loop: Header=BB69_55 Depth=1
	v_lshlrev_b64 v[4:5], 2, v[4:5]
	v_lshl_add_u64 v[6:7], s[18:19], 0, v[4:5]
	v_lshl_add_u64 v[4:5], s[16:17], 0, v[4:5]
	global_load_dword v91, v[4:5], off
	global_load_dword v90, v[6:7], off
.LBB69_59:                              ;   in Loop: Header=BB69_55 Depth=1
	s_or_b64 exec, exec, s[40:41]
.LBB69_60:                              ;   in Loop: Header=BB69_55 Depth=1
	s_or_b64 exec, exec, s[38:39]
	v_lshl_add_u64 v[4:5], v[86:87], 0, s[12:13]
	v_mov_b32_e32 v8, v2
	v_mov_b32_e32 v9, v2
	v_cmp_gt_i64_e32 vcc, s[8:9], v[4:5]
	v_mov_b32_e32 v3, v2
	v_mov_b32_e32 v4, v2
	;; [unrolled: 1-line block ×5, first 2 shown]
	v_mov_b64_e32 v[18:19], v[8:9]
	v_mov_b64_e32 v[16:17], v[6:7]
	;; [unrolled: 1-line block ×8, first 2 shown]
	s_and_saveexec_b64 s[38:39], vcc
	s_cbranch_execz .LBB69_62
; %bb.61:                               ;   in Loop: Header=BB69_55 Depth=1
	v_lshl_add_u64 v[4:5], v[54:55], 0, v[52:53]
	v_lshl_add_u64 v[6:7], v[56:57], 0, v[52:53]
	global_load_dword v4, v[4:5], off
	v_mov_b32_e32 v5, v2
	global_load_dword v12, v[6:7], off
	v_mov_b32_e32 v6, v2
	v_mov_b32_e32 v7, v2
	;; [unrolled: 1-line block ×13, first 2 shown]
.LBB69_62:                              ;   in Loop: Header=BB69_55 Depth=1
	s_or_b64 exec, exec, s[38:39]
	v_lshl_add_u64 v[92:93], v[86:87], 0, s[14:15]
	v_cmp_gt_i64_e32 vcc, s[8:9], v[92:93]
	s_and_saveexec_b64 s[38:39], vcc
	s_cbranch_execz .LBB69_64
; %bb.63:                               ;   in Loop: Header=BB69_55 Depth=1
	v_lshl_add_u64 v[92:93], v[82:83], 0, v[52:53]
	global_load_dword v5, v[92:93], off
	v_lshl_add_u64 v[92:93], v[84:85], 0, v[52:53]
	global_load_dword v13, v[92:93], off
.LBB69_64:                              ;   in Loop: Header=BB69_55 Depth=1
	s_or_b64 exec, exec, s[38:39]
	v_lshl_add_u64 v[92:93], v[86:87], 0, s[24:25]
	v_cmp_gt_i64_e32 vcc, s[8:9], v[92:93]
	s_and_saveexec_b64 s[38:39], vcc
	s_cbranch_execz .LBB69_66
; %bb.65:                               ;   in Loop: Header=BB69_55 Depth=1
	v_lshl_add_u64 v[92:93], v[78:79], 0, v[52:53]
	global_load_dword v6, v[92:93], off
	v_lshl_add_u64 v[92:93], v[80:81], 0, v[52:53]
	global_load_dword v14, v[92:93], off
.LBB69_66:                              ;   in Loop: Header=BB69_55 Depth=1
	;; [unrolled: 11-line block ×7, first 2 shown]
	s_or_b64 exec, exec, s[38:39]
	s_waitcnt vmcnt(1)
	ds_bpermute_b32 v3, v89, v91
	ds_bpermute_b32 v92, v89, v91 offset:4
	s_waitcnt vmcnt(0)
	ds_bpermute_b32 v93, v89, v90
	ds_bpermute_b32 v94, v89, v90 offset:4
	v_mov_b32_e32 v95, v7
	s_waitcnt lgkmcnt(3)
	v_sub_f32_e32 v3, v12, v3
	v_mul_f32_e32 v3, v4, v3
	s_waitcnt lgkmcnt(2)
	v_sub_f32_e32 v13, v13, v92
	s_waitcnt lgkmcnt(1)
	v_mul_f32_e32 v12, v3, v93
	ds_bpermute_b32 v3, v89, v91 offset:8
	v_mul_f32_e32 v13, v5, v13
	s_waitcnt lgkmcnt(1)
	v_mul_f32_e32 v92, v13, v94
	ds_bpermute_b32 v13, v89, v90 offset:8
	ds_bpermute_b32 v93, v89, v91 offset:12
	;; [unrolled: 1-line block ×3, first 2 shown]
	s_waitcnt lgkmcnt(3)
	v_sub_f32_e32 v3, v14, v3
	v_mul_f32_e32 v3, v6, v3
	s_waitcnt lgkmcnt(2)
	v_mul_f32_e32 v14, v3, v13
	s_waitcnt lgkmcnt(1)
	v_sub_f32_e32 v3, v15, v93
	ds_bpermute_b32 v13, v89, v91 offset:16
	v_mul_f32_e32 v3, v7, v3
	s_waitcnt lgkmcnt(1)
	v_mul_f32_e32 v94, v3, v94
	ds_bpermute_b32 v3, v89, v90 offset:16
	ds_bpermute_b32 v15, v89, v91 offset:20
	;; [unrolled: 1-line block ×3, first 2 shown]
	s_waitcnt lgkmcnt(3)
	v_sub_f32_e32 v13, v16, v13
	v_mul_f32_e32 v13, v8, v13
	s_waitcnt lgkmcnt(2)
	v_mul_f32_e32 v16, v13, v3
	s_waitcnt lgkmcnt(1)
	v_sub_f32_e32 v3, v17, v15
	v_mul_f32_e32 v3, v9, v3
	s_waitcnt lgkmcnt(0)
	v_mul_f32_e32 v96, v3, v93
	ds_bpermute_b32 v3, v89, v91 offset:24
	v_mov_b32_e32 v15, v6
	ds_bpermute_b32 v6, v89, v90 offset:24
	v_mov_b32_e32 v13, v4
	v_pk_add_f32 v[12:13], v[20:21], v[12:13]
	v_mov_b32_e32 v93, v5
	v_pk_add_f32 v[4:5], v[92:93], v[12:13]
	v_mov_b32_e32 v17, v8
	s_waitcnt lgkmcnt(1)
	v_sub_f32_e32 v3, v18, v3
	ds_bpermute_b32 v8, v89, v91 offset:28
	v_pk_add_f32 v[4:5], v[14:15], v[4:5]
	v_mul_f32_e32 v3, v10, v3
	v_pk_add_f32 v[4:5], v[94:95], v[4:5]
	s_waitcnt lgkmcnt(1)
	v_mul_f32_e32 v6, v3, v6
	ds_bpermute_b32 v3, v89, v90 offset:28
	v_pk_add_f32 v[4:5], v[16:17], v[4:5]
	v_mov_b32_e32 v97, v9
	v_pk_add_f32 v[4:5], v[96:97], v[4:5]
	v_mov_b32_e32 v7, v10
	v_pk_add_f32 v[4:5], v[6:7], v[4:5]
	s_waitcnt lgkmcnt(1)
	v_sub_f32_e32 v6, v19, v8
	v_mul_f32_e32 v6, v11, v6
	s_waitcnt lgkmcnt(0)
	v_mul_f32_e32 v10, v6, v3
	s_mov_b64 s[38:39], 0
.LBB69_77:                              ;   in Loop: Header=BB69_55 Depth=1
	s_and_b64 vcc, exec, s[38:39]
	s_cbranch_vccz .LBB69_54
; %bb.78:                               ;   in Loop: Header=BB69_55 Depth=1
	s_load_dword s33, s[4:5], 0x0
	v_mov_b32_e32 v6, 0
	s_waitcnt lgkmcnt(0)
	s_cmp_lt_u32 s2, s33
	s_cselect_b32 s33, 12, 18
	s_add_u32 s38, s4, s33
	s_addc_u32 s39, s5, 0
	global_load_ushort v3, v2, s[38:39]
	s_waitcnt vmcnt(0)
	v_mad_u32_u24 v3, v88, v3, v1
	v_and_b32_e32 v4, 63, v3
	v_cmp_gt_u32_e32 vcc, 8, v4
	v_mov_b32_e32 v3, 0
	s_and_saveexec_b64 s[38:39], vcc
	s_cbranch_execz .LBB69_53
; %bb.79:                               ;   in Loop: Header=BB69_55 Depth=1
	v_mov_b32_e32 v5, v2
	v_lshl_add_u64 v[4:5], v[86:87], 0, v[4:5]
	v_lshl_add_u64 v[4:5], v[4:5], 0, s[12:13]
	v_cmp_gt_i64_e32 vcc, s[8:9], v[4:5]
	v_mov_b32_e32 v3, 0
	v_mov_b32_e32 v6, 0
	s_and_saveexec_b64 s[40:41], vcc
	s_cbranch_execz .LBB69_52
; %bb.80:                               ;   in Loop: Header=BB69_55 Depth=1
	v_lshlrev_b64 v[4:5], 2, v[4:5]
	v_lshl_add_u64 v[6:7], s[18:19], 0, v[4:5]
	v_lshl_add_u64 v[4:5], s[16:17], 0, v[4:5]
	global_load_dword v3, v[4:5], off
	s_nop 0
	global_load_dword v6, v[6:7], off
	s_branch .LBB69_52
.LBB69_81:
	v_and_b32_e32 v1, 0x3ff, v0
	v_bfe_u32 v0, v0, 10, 10
	v_mad_u32_u24 v2, v0, 33, v1
	v_sub_u32_e32 v7, v2, v0
	s_movk_i32 s3, 0x800
	v_lshl_add_u32 v3, v2, 2, 0
	v_cmp_gt_u32_e32 vcc, s3, v7
	ds_write_b32 v3, v20
	ds_write_b32 v3, v21 offset:4224
	s_waitcnt lgkmcnt(0)
	s_barrier
	s_and_saveexec_b64 s[4:5], vcc
	s_cbranch_execz .LBB69_97
; %bb.82:
	s_load_dwordx4 s[12:15], s[0:1], 0x30
	v_and_b32_e32 v2, 63, v7
	v_lshrrev_b32_e32 v0, 6, v7
	v_cmp_gt_u32_e64 s[4:5], 32, v2
	v_mul_u32_u24_e32 v6, 33, v2
                                        ; implicit-def: $vgpr2
	s_and_saveexec_b64 s[0:1], s[4:5]
	s_cbranch_execz .LBB69_84
; %bb.83:
	v_add_u32_e32 v2, v0, v6
	v_lshl_add_u32 v2, v2, 2, 0
	ds_read_b32 v3, v2
	ds_read_b32 v2, v2 offset:4224
.LBB69_84:
	s_or_b64 exec, exec, s[0:1]
	v_mbcnt_lo_u32_b32 v4, -1, 0
	v_mbcnt_hi_u32_b32 v12, -1, v4
	v_and_b32_e32 v4, 64, v12
	v_add_u32_e32 v13, 64, v4
	v_cmp_eq_u32_e64 s[0:1], 0, v1
	v_xor_b32_e32 v1, 16, v12
	v_cmp_lt_i32_e32 vcc, v1, v13
	s_mov_b32 s3, 0
	s_lshl_b64 s[2:3], s[2:3], 5
	v_cndmask_b32_e32 v1, v12, v1, vcc
	v_lshlrev_b32_e32 v8, 2, v1
	s_waitcnt lgkmcnt(0)
	ds_bpermute_b32 v5, v8, v3
	ds_bpermute_b32 v4, v8, v2
	v_xor_b32_e32 v1, 8, v12
	v_cmp_lt_i32_e32 vcc, v1, v13
	s_cmp_lg_u64 s[12:13], 0
	s_cselect_b64 s[8:9], -1, 0
	v_cndmask_b32_e32 v1, v12, v1, vcc
	v_lshlrev_b32_e32 v9, 2, v1
	s_waitcnt lgkmcnt(0)
	v_pk_add_f32 v[2:3], v[2:3], v[4:5]
	ds_bpermute_b32 v5, v9, v3
	ds_bpermute_b32 v4, v9, v2
	v_xor_b32_e32 v1, 4, v12
	v_cmp_lt_i32_e32 vcc, v1, v13
	s_cmp_lg_u64 s[14:15], 0
	s_cselect_b64 s[6:7], -1, 0
	v_cndmask_b32_e32 v1, v12, v1, vcc
	v_lshlrev_b32_e32 v10, 2, v1
	s_waitcnt lgkmcnt(0)
	v_pk_add_f32 v[2:3], v[2:3], v[4:5]
	ds_bpermute_b32 v5, v10, v3
	ds_bpermute_b32 v4, v10, v2
	v_xor_b32_e32 v1, 2, v12
	v_cmp_lt_i32_e32 vcc, v1, v13
	s_waitcnt lgkmcnt(0)
	v_pk_add_f32 v[2:3], v[2:3], v[4:5]
	v_cndmask_b32_e32 v1, v12, v1, vcc
	v_lshlrev_b32_e32 v11, 2, v1
	ds_bpermute_b32 v5, v11, v3
	ds_bpermute_b32 v4, v11, v2
	v_xor_b32_e32 v1, 1, v12
	v_cmp_lt_i32_e32 vcc, v1, v13
	s_waitcnt lgkmcnt(0)
	v_pk_add_f32 v[2:3], v[2:3], v[4:5]
	v_cndmask_b32_e32 v1, v12, v1, vcc
	v_lshlrev_b32_e32 v12, 2, v1
	ds_bpermute_b32 v5, v12, v3
	ds_bpermute_b32 v4, v12, v2
	v_mov_b32_e32 v1, 0
	s_waitcnt lgkmcnt(0)
	v_pk_add_f32 v[2:3], v[2:3], v[4:5]
	v_or_b32_e32 v4, s2, v0
	v_mov_b32_e32 v5, s3
	v_cmp_gt_i64_e32 vcc, s[10:11], v[4:5]
	s_and_b64 s[18:19], s[0:1], vcc
	s_and_saveexec_b64 s[16:17], s[18:19]
	s_cbranch_execz .LBB69_89
; %bb.85:
	s_andn2_b64 vcc, exec, s[8:9]
	s_cbranch_vccnz .LBB69_87
; %bb.86:
	v_lshl_add_u64 v[14:15], v[4:5], 2, s[12:13]
	global_store_dword v[14:15], v3, off
.LBB69_87:
	s_andn2_b64 vcc, exec, s[6:7]
	s_cbranch_vccnz .LBB69_89
; %bb.88:
	v_lshl_add_u64 v[4:5], v[4:5], 2, s[14:15]
	global_store_dword v[4:5], v2, off
.LBB69_89:
	s_or_b64 exec, exec, s[16:17]
	s_movk_i32 s16, 0x400
	v_cmp_gt_u32_e32 vcc, s16, v7
	s_and_b64 exec, exec, vcc
	s_cbranch_execz .LBB69_97
; %bb.90:
	s_and_saveexec_b64 s[16:17], s[4:5]
	s_cbranch_execz .LBB69_92
; %bb.91:
	v_add_u32_e32 v2, v0, v6
	v_lshl_add_u32 v2, v2, 2, 0
	ds_read_b32 v3, v2 offset:64
	ds_read_b32 v2, v2 offset:4288
.LBB69_92:
	s_or_b64 exec, exec, s[16:17]
	s_waitcnt lgkmcnt(1)
	ds_bpermute_b32 v4, v8, v3
	s_waitcnt lgkmcnt(1)
	ds_bpermute_b32 v5, v8, v2
	v_add_u32_e32 v6, 16, v0
	v_or_b32_e32 v6, s2, v6
	v_mov_b32_e32 v7, s3
	s_waitcnt lgkmcnt(1)
	v_add_f32_e32 v3, v3, v4
	s_waitcnt lgkmcnt(0)
	v_add_f32_e32 v2, v2, v5
	ds_bpermute_b32 v4, v9, v3
	ds_bpermute_b32 v5, v9, v2
	v_cmp_gt_i64_e32 vcc, s[10:11], v[6:7]
	s_and_b64 s[0:1], s[0:1], vcc
	s_waitcnt lgkmcnt(1)
	v_add_f32_e32 v3, v3, v4
	s_waitcnt lgkmcnt(0)
	v_add_f32_e32 v2, v2, v5
	ds_bpermute_b32 v4, v10, v3
	ds_bpermute_b32 v5, v10, v2
	s_waitcnt lgkmcnt(1)
	v_add_f32_e32 v3, v3, v4
	s_waitcnt lgkmcnt(0)
	v_add_f32_e32 v2, v2, v5
	ds_bpermute_b32 v4, v11, v3
	ds_bpermute_b32 v5, v11, v2
	;; [unrolled: 6-line block ×3, first 2 shown]
	s_and_b64 exec, exec, s[0:1]
	s_cbranch_execz .LBB69_97
; %bb.93:
	s_andn2_b64 vcc, exec, s[8:9]
	v_lshl_add_u64 v[0:1], s[2:3], 0, v[0:1]
	s_cbranch_vccnz .LBB69_95
; %bb.94:
	s_waitcnt lgkmcnt(1)
	v_add_f32_e32 v6, v4, v5
	v_lshl_add_u64 v[4:5], v[0:1], 2, s[12:13]
	global_store_dword v[4:5], v6, off offset:64
.LBB69_95:
	s_andn2_b64 vcc, exec, s[6:7]
	s_cbranch_vccnz .LBB69_97
; %bb.96:
	s_waitcnt lgkmcnt(0)
	v_add_f32_e32 v2, v2, v3
	v_lshl_add_u64 v[0:1], v[0:1], 2, s[14:15]
	global_store_dword v[0:1], v2, off offset:64
.LBB69_97:
	s_endpgm
	.section	.rodata,"a",@progbits
	.p2align	6, 0x0
	.amdhsa_kernel _ZN2at6native12_GLOBAL__N_135GammaBetaBackwardCUDAKernelTemplateIffLj32ELj32ELj256ELb0ELb0ELb0EEEvllPKT_S5_PKT0_S8_PS3_S9_
		.amdhsa_group_segment_fixed_size 0
		.amdhsa_private_segment_fixed_size 0
		.amdhsa_kernarg_size 320
		.amdhsa_user_sgpr_count 2
		.amdhsa_user_sgpr_dispatch_ptr 0
		.amdhsa_user_sgpr_queue_ptr 0
		.amdhsa_user_sgpr_kernarg_segment_ptr 1
		.amdhsa_user_sgpr_dispatch_id 0
		.amdhsa_user_sgpr_kernarg_preload_length 0
		.amdhsa_user_sgpr_kernarg_preload_offset 0
		.amdhsa_user_sgpr_private_segment_size 0
		.amdhsa_uses_dynamic_stack 0
		.amdhsa_enable_private_segment 0
		.amdhsa_system_sgpr_workgroup_id_x 1
		.amdhsa_system_sgpr_workgroup_id_y 1
		.amdhsa_system_sgpr_workgroup_id_z 0
		.amdhsa_system_sgpr_workgroup_info 0
		.amdhsa_system_vgpr_workitem_id 1
		.amdhsa_next_free_vgpr 104
		.amdhsa_next_free_sgpr 52
		.amdhsa_accum_offset 104
		.amdhsa_reserve_vcc 1
		.amdhsa_float_round_mode_32 0
		.amdhsa_float_round_mode_16_64 0
		.amdhsa_float_denorm_mode_32 3
		.amdhsa_float_denorm_mode_16_64 3
		.amdhsa_dx10_clamp 1
		.amdhsa_ieee_mode 1
		.amdhsa_fp16_overflow 0
		.amdhsa_tg_split 0
		.amdhsa_exception_fp_ieee_invalid_op 0
		.amdhsa_exception_fp_denorm_src 0
		.amdhsa_exception_fp_ieee_div_zero 0
		.amdhsa_exception_fp_ieee_overflow 0
		.amdhsa_exception_fp_ieee_underflow 0
		.amdhsa_exception_fp_ieee_inexact 0
		.amdhsa_exception_int_div_zero 0
	.end_amdhsa_kernel
	.section	.text._ZN2at6native12_GLOBAL__N_135GammaBetaBackwardCUDAKernelTemplateIffLj32ELj32ELj256ELb0ELb0ELb0EEEvllPKT_S5_PKT0_S8_PS3_S9_,"axG",@progbits,_ZN2at6native12_GLOBAL__N_135GammaBetaBackwardCUDAKernelTemplateIffLj32ELj32ELj256ELb0ELb0ELb0EEEvllPKT_S5_PKT0_S8_PS3_S9_,comdat
.Lfunc_end69:
	.size	_ZN2at6native12_GLOBAL__N_135GammaBetaBackwardCUDAKernelTemplateIffLj32ELj32ELj256ELb0ELb0ELb0EEEvllPKT_S5_PKT0_S8_PS3_S9_, .Lfunc_end69-_ZN2at6native12_GLOBAL__N_135GammaBetaBackwardCUDAKernelTemplateIffLj32ELj32ELj256ELb0ELb0ELb0EEEvllPKT_S5_PKT0_S8_PS3_S9_
                                        ; -- End function
	.set _ZN2at6native12_GLOBAL__N_135GammaBetaBackwardCUDAKernelTemplateIffLj32ELj32ELj256ELb0ELb0ELb0EEEvllPKT_S5_PKT0_S8_PS3_S9_.num_vgpr, 104
	.set _ZN2at6native12_GLOBAL__N_135GammaBetaBackwardCUDAKernelTemplateIffLj32ELj32ELj256ELb0ELb0ELb0EEEvllPKT_S5_PKT0_S8_PS3_S9_.num_agpr, 0
	.set _ZN2at6native12_GLOBAL__N_135GammaBetaBackwardCUDAKernelTemplateIffLj32ELj32ELj256ELb0ELb0ELb0EEEvllPKT_S5_PKT0_S8_PS3_S9_.numbered_sgpr, 52
	.set _ZN2at6native12_GLOBAL__N_135GammaBetaBackwardCUDAKernelTemplateIffLj32ELj32ELj256ELb0ELb0ELb0EEEvllPKT_S5_PKT0_S8_PS3_S9_.num_named_barrier, 0
	.set _ZN2at6native12_GLOBAL__N_135GammaBetaBackwardCUDAKernelTemplateIffLj32ELj32ELj256ELb0ELb0ELb0EEEvllPKT_S5_PKT0_S8_PS3_S9_.private_seg_size, 0
	.set _ZN2at6native12_GLOBAL__N_135GammaBetaBackwardCUDAKernelTemplateIffLj32ELj32ELj256ELb0ELb0ELb0EEEvllPKT_S5_PKT0_S8_PS3_S9_.uses_vcc, 1
	.set _ZN2at6native12_GLOBAL__N_135GammaBetaBackwardCUDAKernelTemplateIffLj32ELj32ELj256ELb0ELb0ELb0EEEvllPKT_S5_PKT0_S8_PS3_S9_.uses_flat_scratch, 0
	.set _ZN2at6native12_GLOBAL__N_135GammaBetaBackwardCUDAKernelTemplateIffLj32ELj32ELj256ELb0ELb0ELb0EEEvllPKT_S5_PKT0_S8_PS3_S9_.has_dyn_sized_stack, 0
	.set _ZN2at6native12_GLOBAL__N_135GammaBetaBackwardCUDAKernelTemplateIffLj32ELj32ELj256ELb0ELb0ELb0EEEvllPKT_S5_PKT0_S8_PS3_S9_.has_recursion, 0
	.set _ZN2at6native12_GLOBAL__N_135GammaBetaBackwardCUDAKernelTemplateIffLj32ELj32ELj256ELb0ELb0ELb0EEEvllPKT_S5_PKT0_S8_PS3_S9_.has_indirect_call, 0
	.section	.AMDGPU.csdata,"",@progbits
; Kernel info:
; codeLenInByte = 7320
; TotalNumSgprs: 58
; NumVgprs: 104
; NumAgprs: 0
; TotalNumVgprs: 104
; ScratchSize: 0
; MemoryBound: 0
; FloatMode: 240
; IeeeMode: 1
; LDSByteSize: 0 bytes/workgroup (compile time only)
; SGPRBlocks: 7
; VGPRBlocks: 12
; NumSGPRsForWavesPerEU: 58
; NumVGPRsForWavesPerEU: 104
; AccumOffset: 104
; Occupancy: 4
; WaveLimiterHint : 0
; COMPUTE_PGM_RSRC2:SCRATCH_EN: 0
; COMPUTE_PGM_RSRC2:USER_SGPR: 2
; COMPUTE_PGM_RSRC2:TRAP_HANDLER: 0
; COMPUTE_PGM_RSRC2:TGID_X_EN: 1
; COMPUTE_PGM_RSRC2:TGID_Y_EN: 1
; COMPUTE_PGM_RSRC2:TGID_Z_EN: 0
; COMPUTE_PGM_RSRC2:TIDIG_COMP_CNT: 1
; COMPUTE_PGM_RSRC3_GFX90A:ACCUM_OFFSET: 25
; COMPUTE_PGM_RSRC3_GFX90A:TG_SPLIT: 0
	.section	.text._ZN2at6native12_GLOBAL__N_118cuComputeGradInputIN3c104HalfEfLb0EEEvPKT_S7_llPKT0_SA_S7_PS5_,"axG",@progbits,_ZN2at6native12_GLOBAL__N_118cuComputeGradInputIN3c104HalfEfLb0EEEvPKT_S7_llPKT0_SA_S7_PS5_,comdat
	.globl	_ZN2at6native12_GLOBAL__N_118cuComputeGradInputIN3c104HalfEfLb0EEEvPKT_S7_llPKT0_SA_S7_PS5_ ; -- Begin function _ZN2at6native12_GLOBAL__N_118cuComputeGradInputIN3c104HalfEfLb0EEEvPKT_S7_llPKT0_SA_S7_PS5_
	.p2align	8
	.type	_ZN2at6native12_GLOBAL__N_118cuComputeGradInputIN3c104HalfEfLb0EEEvPKT_S7_llPKT0_SA_S7_PS5_,@function
_ZN2at6native12_GLOBAL__N_118cuComputeGradInputIN3c104HalfEfLb0EEEvPKT_S7_llPKT0_SA_S7_PS5_: ; @_ZN2at6native12_GLOBAL__N_118cuComputeGradInputIN3c104HalfEfLb0EEEvPKT_S7_llPKT0_SA_S7_PS5_
; %bb.0:
	s_load_dwordx4 s[24:27], s[0:1], 0x10
	s_mov_b32 s14, s3
	s_ashr_i32 s15, s3, 31
	v_mov_b64_e32 v[2:3], s[14:15]
	s_waitcnt lgkmcnt(0)
	v_cmp_le_i64_e32 vcc, s[24:25], v[2:3]
	s_cbranch_vccnz .LBB70_49
; %bb.1:
	s_load_dword s2, s[0:1], 0x4c
	s_load_dword s33, s[0:1], 0x44
	s_load_dwordx4 s[28:31], s[0:1], 0x0
	s_load_dwordx8 s[16:23], s[0:1], 0x20
	s_flbit_i32 s0, s27
	s_waitcnt lgkmcnt(0)
	s_lshr_b32 s46, s2, 16
	s_and_b32 s47, s2, 0xffff
	v_and_b32_e32 v14, 0x3ff, v0
	s_cmp_lg_u64 s[20:21], 0
	s_cselect_b64 s[6:7], -1, 0
	s_cmp_gt_u32 s47, 1
	s_cselect_b64 s[36:37], -1, 0
	s_cmp_gt_u32 s46, 1
	s_cselect_b64 s[38:39], -1, 0
	s_xor_b32 s1, s26, s27
	s_ashr_i32 s1, s1, 31
	s_add_i32 s0, s0, -1
	s_add_i32 s1, s1, 32
	s_min_u32 s2, s0, s1
	s_lshl_b64 s[0:1], s[26:27], s2
	s_min_u32 s0, s0, 1
	s_or_b32 s0, s1, s0
	v_cvt_f32_i32_e32 v1, s0
	s_sub_i32 s0, 32, s2
	v_bfe_u32 v15, v0, 10, 10
	s_mul_i32 s34, s46, s47
	v_ldexp_f32 v2, v1, s0
	v_div_scale_f32 v1, s[0:1], v2, v2, 1.0
	v_rcp_f32_e32 v4, v1
	v_mad_u32_u24 v0, v15, s47, v14
	s_ashr_i32 s35, s34, 31
	v_lshlrev_b32_e32 v3, 3, v0
	v_fma_f32 v6, -v1, v4, 1.0
	v_fmac_f32_e32 v4, v6, v4
	v_div_scale_f32 v6, vcc, 1.0, v2, 1.0
	v_mul_f32_e32 v7, v6, v4
	v_fma_f32 v8, -v1, v7, v6
	v_fmac_f32_e32 v7, v8, v4
	v_fma_f32 v1, -v1, v7, v6
	v_add_u32_e32 v6, s34, v0
	v_div_fmas_f32 v1, v1, v4, v7
	v_ashrrev_i32_e32 v7, 31, v6
	v_mov_b32_e32 v8, s35
	v_subrev_co_u32_e32 v6, vcc, s34, v6
	v_mov_b32_e32 v4, 0
	s_nop 0
	v_subb_co_u32_e32 v7, vcc, v7, v8, vcc
	v_cndmask_b32_e64 v8, 0, 1, s[6:7]
	v_cmp_gt_i64_e64 s[6:7], s[26:27], 0
	v_lshlrev_b32_e32 v5, 3, v14
	v_div_fixup_f32 v16, v1, v2, 1.0
	v_mov_b32_e32 v1, v4
	v_cndmask_b32_e64 v9, 0, 1, s[6:7]
	v_add_u32_e32 v17, 0, v3
	v_mbcnt_lo_u32_b32 v3, -1, 0
	v_cmp_eq_u32_e64 s[0:1], 0, v15
	v_cmp_ne_u32_e64 s[2:3], 0, v15
	v_cmp_gt_i64_e64 s[4:5], s[26:27], v[0:1]
	v_cmp_ne_u32_e64 s[6:7], 1, v8
	v_cmp_ne_u32_e64 s[8:9], 1, v9
	v_mbcnt_hi_u32_b32 v18, -1, v3
	v_add_u32_e32 v19, 0, v5
	s_branch .LBB70_4
.LBB70_2:                               ;   in Loop: Header=BB70_4 Depth=1
	s_or_b64 exec, exec, s[12:13]
.LBB70_3:                               ;   in Loop: Header=BB70_4 Depth=1
	s_add_i32 s14, s33, s14
	s_ashr_i32 s15, s14, 31
	v_mov_b64_e32 v[8:9], s[14:15]
	v_cmp_le_i64_e32 vcc, s[24:25], v[8:9]
	s_barrier
	s_cbranch_vccnz .LBB70_49
.LBB70_4:                               ; =>This Loop Header: Depth=1
                                        ;     Child Loop BB70_8 Depth 2
                                        ;     Child Loop BB70_20 Depth 2
	;; [unrolled: 1-line block ×6, first 2 shown]
	s_mul_i32 s10, s14, s27
	s_mul_hi_u32 s11, s14, s26
	s_add_i32 s10, s11, s10
	s_mul_i32 s11, s15, s26
	s_add_i32 s11, s10, s11
	s_lshl_b64 s[12:13], s[14:15], 2
	s_add_u32 s40, s16, s12
	s_addc_u32 s41, s17, s13
	s_add_u32 s12, s18, s12
	s_mul_i32 s10, s14, s26
	s_addc_u32 s13, s19, s13
	s_load_dword s15, s[40:41], 0x0
	s_load_dword s48, s[12:13], 0x0
	s_lshl_b64 s[44:45], s[10:11], 1
	s_add_u32 s40, s30, s44
	s_addc_u32 s41, s31, s45
	s_add_u32 s42, s28, s44
	s_addc_u32 s43, s29, s45
	s_and_b64 vcc, exec, s[6:7]
	s_cbranch_vccnz .LBB70_14
; %bb.5:                                ;   in Loop: Header=BB70_4 Depth=1
	s_and_b64 vcc, exec, s[8:9]
	s_cbranch_vccnz .LBB70_15
; %bb.6:                                ;   in Loop: Header=BB70_4 Depth=1
	v_mov_b32_e32 v8, 0
	s_mov_b32 s12, 0
	v_mov_b32_e32 v9, v8
	s_branch .LBB70_8
.LBB70_7:                               ;   in Loop: Header=BB70_8 Depth=2
	s_or_b64 exec, exec, s[10:11]
	s_waitcnt lgkmcnt(0)
	v_subrev_f32_e32 v11, s15, v12
	v_mul_f32_e32 v10, v3, v5
	v_mul_f32_e32 v3, v11, v10
	s_add_i32 s12, s12, s34
	v_mul_f32_e32 v11, s48, v3
	s_ashr_i32 s10, s12, 31
	v_pk_add_f32 v[8:9], v[8:9], v[10:11]
	v_mov_b32_e32 v10, s12
	v_mov_b32_e32 v11, s10
	v_cmp_le_i64_e32 vcc, s[26:27], v[10:11]
	s_cbranch_vccnz .LBB70_16
.LBB70_8:                               ;   Parent Loop BB70_4 Depth=1
                                        ; =>  This Inner Loop Header: Depth=2
	v_add_u32_e32 v10, s12, v0
	v_ashrrev_i32_e32 v11, 31, v10
	v_cmp_gt_i64_e32 vcc, s[26:27], v[10:11]
	v_mov_b32_e32 v3, 0
	s_and_saveexec_b64 s[10:11], vcc
	s_cbranch_execz .LBB70_10
; %bb.9:                                ;   in Loop: Header=BB70_8 Depth=2
	v_lshl_add_u64 v[12:13], v[10:11], 1, s[20:21]
	global_load_ushort v3, v[12:13], off
	s_waitcnt vmcnt(0)
	v_cvt_f32_f16_e32 v3, v3
.LBB70_10:                              ;   in Loop: Header=BB70_8 Depth=2
	s_or_b64 exec, exec, s[10:11]
	v_mov_b32_e32 v5, 0
	v_mov_b32_e32 v12, 0
	s_and_saveexec_b64 s[10:11], vcc
	s_cbranch_execz .LBB70_12
; %bb.11:                               ;   in Loop: Header=BB70_8 Depth=2
	v_lshl_add_u64 v[12:13], v[10:11], 1, s[40:41]
	global_load_ushort v12, v[12:13], off
	s_waitcnt vmcnt(0)
	v_cvt_f32_f16_e32 v12, v12
.LBB70_12:                              ;   in Loop: Header=BB70_8 Depth=2
	s_or_b64 exec, exec, s[10:11]
	s_and_saveexec_b64 s[10:11], vcc
	s_cbranch_execz .LBB70_7
; %bb.13:                               ;   in Loop: Header=BB70_8 Depth=2
	v_lshl_add_u64 v[10:11], v[10:11], 1, s[42:43]
	global_load_ushort v5, v[10:11], off
	s_waitcnt vmcnt(0)
	v_cvt_f32_f16_e32 v5, v5
	s_branch .LBB70_7
.LBB70_14:                              ;   in Loop: Header=BB70_4 Depth=1
                                        ; implicit-def: $vgpr8_vgpr9
	s_branch .LBB70_17
.LBB70_15:                              ;   in Loop: Header=BB70_4 Depth=1
	v_mov_b32_e32 v5, v4
	v_mov_b64_e32 v[8:9], v[4:5]
.LBB70_16:                              ;   in Loop: Header=BB70_4 Depth=1
	s_cbranch_execnz .LBB70_25
.LBB70_17:                              ;   in Loop: Header=BB70_4 Depth=1
	s_and_b64 vcc, exec, s[8:9]
	s_cbranch_vccnz .LBB70_24
; %bb.18:                               ;   in Loop: Header=BB70_4 Depth=1
	v_mov_b32_e32 v8, 0
	s_mov_b32 s12, 0
	v_mov_b32_e32 v9, v8
	s_branch .LBB70_20
.LBB70_19:                              ;   in Loop: Header=BB70_20 Depth=2
	s_or_b64 exec, exec, s[10:11]
	s_add_i32 s12, s12, s34
	s_waitcnt lgkmcnt(0)
	v_subrev_f32_e32 v3, s15, v3
	s_ashr_i32 s10, s12, 31
	v_mul_f32_e32 v3, v3, v12
	v_mov_b32_e32 v10, s12
	v_mov_b32_e32 v11, s10
	v_mul_f32_e32 v13, s48, v3
	v_cmp_le_i64_e32 vcc, s[26:27], v[10:11]
	v_pk_add_f32 v[8:9], v[8:9], v[12:13]
	s_cbranch_vccnz .LBB70_25
.LBB70_20:                              ;   Parent Loop BB70_4 Depth=1
                                        ; =>  This Inner Loop Header: Depth=2
	v_add_u32_e32 v10, s12, v0
	v_ashrrev_i32_e32 v11, 31, v10
	v_cmp_gt_i64_e32 vcc, s[26:27], v[10:11]
	v_mov_b32_e32 v3, 0
	s_and_saveexec_b64 s[10:11], vcc
	s_cbranch_execz .LBB70_22
; %bb.21:                               ;   in Loop: Header=BB70_20 Depth=2
	v_lshl_add_u64 v[12:13], v[10:11], 1, s[40:41]
	global_load_ushort v3, v[12:13], off
	s_waitcnt vmcnt(0)
	v_cvt_f32_f16_e32 v3, v3
.LBB70_22:                              ;   in Loop: Header=BB70_20 Depth=2
	s_or_b64 exec, exec, s[10:11]
	v_mov_b32_e32 v12, 0
	s_and_saveexec_b64 s[10:11], vcc
	s_cbranch_execz .LBB70_19
; %bb.23:                               ;   in Loop: Header=BB70_20 Depth=2
	v_lshl_add_u64 v[10:11], v[10:11], 1, s[42:43]
	global_load_ushort v5, v[10:11], off
	s_waitcnt vmcnt(0)
	v_cvt_f32_f16_e32 v12, v5
	s_branch .LBB70_19
.LBB70_24:                              ;   in Loop: Header=BB70_4 Depth=1
	v_mov_b32_e32 v5, v4
	v_mov_b64_e32 v[8:9], v[4:5]
.LBB70_25:                              ;   in Loop: Header=BB70_4 Depth=1
	s_andn2_b64 vcc, exec, s[36:37]
	s_cbranch_vccnz .LBB70_28
; %bb.26:                               ;   in Loop: Header=BB70_4 Depth=1
	v_and_b32_e32 v3, 64, v18
	v_add_u32_e32 v3, 64, v3
	s_mov_b32 s10, s47
.LBB70_27:                              ;   Parent Loop BB70_4 Depth=1
                                        ; =>  This Inner Loop Header: Depth=2
	s_lshr_b32 s11, s10, 1
	v_xor_b32_e32 v5, s11, v18
	v_cmp_lt_i32_e32 vcc, v5, v3
	s_cmp_lt_u32 s10, 4
	s_mov_b32 s10, s11
	v_cndmask_b32_e32 v5, v18, v5, vcc
	v_lshlrev_b32_e32 v5, 2, v5
	ds_bpermute_b32 v10, v5, v8
	ds_bpermute_b32 v11, v5, v9
	s_waitcnt lgkmcnt(0)
	v_pk_add_f32 v[8:9], v[8:9], v[10:11]
	s_cbranch_scc0 .LBB70_27
.LBB70_28:                              ;   in Loop: Header=BB70_4 Depth=1
	s_andn2_b64 vcc, exec, s[38:39]
	s_mov_b32 s49, s46
	s_cbranch_vccnz .LBB70_40
.LBB70_29:                              ;   Parent Loop BB70_4 Depth=1
                                        ; =>  This Inner Loop Header: Depth=2
	s_lshr_b32 s50, s49, 1
	s_and_b32 s12, s49, 0xfffe
	v_cmp_le_u32_e64 s[10:11], s50, v15
	v_cmp_gt_u32_e64 s[12:13], s12, v15
	v_cmp_gt_u32_e32 vcc, s50, v15
	s_and_b64 s[12:13], s[10:11], s[12:13]
	s_and_saveexec_b64 s[10:11], s[12:13]
; %bb.30:                               ;   in Loop: Header=BB70_29 Depth=2
	v_subrev_u32_e32 v3, s50, v15
	v_mad_u32_u24 v3, v3, s47, v14
	v_lshl_add_u32 v3, v3, 3, 0
	ds_write_b64 v3, v[8:9]
; %bb.31:                               ;   in Loop: Header=BB70_29 Depth=2
	s_or_b64 exec, exec, s[10:11]
	s_waitcnt lgkmcnt(0)
	s_barrier
	s_and_saveexec_b64 s[10:11], vcc
	s_cbranch_execz .LBB70_33
; %bb.32:                               ;   in Loop: Header=BB70_29 Depth=2
	ds_read_b64 v[10:11], v17
	s_waitcnt lgkmcnt(0)
	v_pk_add_f32 v[8:9], v[8:9], v[10:11]
.LBB70_33:                              ;   in Loop: Header=BB70_29 Depth=2
	s_or_b64 exec, exec, s[10:11]
	s_cmp_lt_u32 s49, 4
	s_barrier
	s_cbranch_scc1 .LBB70_35
; %bb.34:                               ;   in Loop: Header=BB70_29 Depth=2
	s_mov_b32 s49, s50
	s_branch .LBB70_29
.LBB70_35:                              ;   in Loop: Header=BB70_4 Depth=1
	s_and_saveexec_b64 s[10:11], s[0:1]
; %bb.36:                               ;   in Loop: Header=BB70_4 Depth=1
	ds_write_b64 v19, v[8:9]
; %bb.37:                               ;   in Loop: Header=BB70_4 Depth=1
	s_or_b64 exec, exec, s[10:11]
	s_waitcnt lgkmcnt(0)
	s_barrier
	s_and_saveexec_b64 s[10:11], s[2:3]
; %bb.38:                               ;   in Loop: Header=BB70_4 Depth=1
	ds_read_b64 v[8:9], v19
; %bb.39:                               ;   in Loop: Header=BB70_4 Depth=1
	s_or_b64 exec, exec, s[10:11]
.LBB70_40:                              ;   in Loop: Header=BB70_4 Depth=1
	s_add_u32 s10, s22, s44
	s_addc_u32 s11, s23, s45
	s_and_b64 vcc, exec, s[6:7]
	s_waitcnt lgkmcnt(0)
	v_mul_f32_e32 v5, s48, v16
	s_cbranch_vccnz .LBB70_45
; %bb.41:                               ;   in Loop: Header=BB70_4 Depth=1
	s_and_saveexec_b64 s[12:13], s[4:5]
	s_cbranch_execz .LBB70_44
; %bb.42:                               ;   in Loop: Header=BB70_4 Depth=1
	s_mov_b64 s[44:45], 0
	v_mov_b64_e32 v[10:11], v[6:7]
	v_mov_b64_e32 v[12:13], v[0:1]
.LBB70_43:                              ;   Parent Loop BB70_4 Depth=1
                                        ; =>  This Inner Loop Header: Depth=2
	v_lshlrev_b64 v[12:13], 1, v[12:13]
	v_lshl_add_u64 v[22:23], s[42:43], 0, v[12:13]
	v_lshl_add_u64 v[20:21], s[40:41], 0, v[12:13]
	global_load_ushort v3, v[22:23], off
	global_load_ushort v24, v[20:21], off
	v_lshl_add_u64 v[20:21], s[20:21], 0, v[12:13]
	global_load_ushort v22, v[20:21], off
	v_lshl_add_u64 v[10:11], v[10:11], 0, s[34:35]
	v_cmp_le_i64_e32 vcc, s[26:27], v[10:11]
	v_lshl_add_u64 v[20:21], s[10:11], 0, v[12:13]
	v_ashrrev_i32_e32 v13, 31, v10
	v_mov_b32_e32 v12, v10
	s_or_b64 s[44:45], vcc, s[44:45]
	s_waitcnt vmcnt(2)
	v_cvt_f32_f16_e32 v3, v3
	s_waitcnt vmcnt(1)
	v_cvt_f32_f16_e32 v23, v24
	v_mul_f32_e32 v3, v2, v3
	v_subrev_f32_e32 v23, s15, v23
	s_waitcnt vmcnt(0)
	v_fma_mix_f32 v3, v3, v22, -v8 op_sel_hi:[0,1,0]
	v_mul_f32_e32 v22, s48, v23
	v_fma_f32 v3, -v9, v22, v3
	v_fma_mixlo_f16 v3, v5, v3, 0
	global_store_short v[20:21], v3, off
	s_andn2_b64 exec, exec, s[44:45]
	s_cbranch_execnz .LBB70_43
.LBB70_44:                              ;   in Loop: Header=BB70_4 Depth=1
	s_or_b64 exec, exec, s[12:13]
	s_cbranch_execnz .LBB70_3
	s_branch .LBB70_46
.LBB70_45:                              ;   in Loop: Header=BB70_4 Depth=1
.LBB70_46:                              ;   in Loop: Header=BB70_4 Depth=1
	s_and_saveexec_b64 s[12:13], s[4:5]
	s_cbranch_execz .LBB70_2
; %bb.47:                               ;   in Loop: Header=BB70_4 Depth=1
	v_mov_b32_e32 v3, s48
	s_mov_b64 s[44:45], 0
	v_mov_b64_e32 v[10:11], v[6:7]
	v_mov_b64_e32 v[12:13], v[0:1]
.LBB70_48:                              ;   Parent Loop BB70_4 Depth=1
                                        ; =>  This Inner Loop Header: Depth=2
	v_lshlrev_b64 v[12:13], 1, v[12:13]
	v_lshl_add_u64 v[20:21], s[40:41], 0, v[12:13]
	v_lshl_add_u64 v[22:23], s[42:43], 0, v[12:13]
	global_load_ushort v24, v[20:21], off
	global_load_ushort v25, v[22:23], off
	v_lshl_add_u64 v[10:11], v[10:11], 0, s[34:35]
	v_cmp_le_i64_e32 vcc, s[26:27], v[10:11]
	v_lshl_add_u64 v[20:21], s[10:11], 0, v[12:13]
	v_ashrrev_i32_e32 v13, 31, v10
	v_mov_b32_e32 v12, v10
	s_or_b64 s[44:45], vcc, s[44:45]
	s_waitcnt vmcnt(1)
	v_cvt_f32_f16_e32 v23, v24
	s_waitcnt vmcnt(0)
	v_cvt_f32_f16_e32 v22, v25
	v_subrev_f32_e32 v23, s15, v23
	v_pk_mul_f32 v[22:23], v[2:3], v[22:23]
	s_nop 0
	v_sub_f32_e32 v22, v22, v8
	v_fma_f32 v22, -v23, v9, v22
	v_fma_mixlo_f16 v22, v5, v22, 0
	global_store_short v[20:21], v22, off
	s_andn2_b64 exec, exec, s[44:45]
	s_cbranch_execnz .LBB70_48
	s_branch .LBB70_2
.LBB70_49:
	s_endpgm
	.section	.rodata,"a",@progbits
	.p2align	6, 0x0
	.amdhsa_kernel _ZN2at6native12_GLOBAL__N_118cuComputeGradInputIN3c104HalfEfLb0EEEvPKT_S7_llPKT0_SA_S7_PS5_
		.amdhsa_group_segment_fixed_size 0
		.amdhsa_private_segment_fixed_size 0
		.amdhsa_kernarg_size 320
		.amdhsa_user_sgpr_count 2
		.amdhsa_user_sgpr_dispatch_ptr 0
		.amdhsa_user_sgpr_queue_ptr 0
		.amdhsa_user_sgpr_kernarg_segment_ptr 1
		.amdhsa_user_sgpr_dispatch_id 0
		.amdhsa_user_sgpr_kernarg_preload_length 0
		.amdhsa_user_sgpr_kernarg_preload_offset 0
		.amdhsa_user_sgpr_private_segment_size 0
		.amdhsa_uses_dynamic_stack 0
		.amdhsa_enable_private_segment 0
		.amdhsa_system_sgpr_workgroup_id_x 1
		.amdhsa_system_sgpr_workgroup_id_y 1
		.amdhsa_system_sgpr_workgroup_id_z 0
		.amdhsa_system_sgpr_workgroup_info 0
		.amdhsa_system_vgpr_workitem_id 1
		.amdhsa_next_free_vgpr 26
		.amdhsa_next_free_sgpr 51
		.amdhsa_accum_offset 28
		.amdhsa_reserve_vcc 1
		.amdhsa_float_round_mode_32 0
		.amdhsa_float_round_mode_16_64 0
		.amdhsa_float_denorm_mode_32 3
		.amdhsa_float_denorm_mode_16_64 3
		.amdhsa_dx10_clamp 1
		.amdhsa_ieee_mode 1
		.amdhsa_fp16_overflow 0
		.amdhsa_tg_split 0
		.amdhsa_exception_fp_ieee_invalid_op 0
		.amdhsa_exception_fp_denorm_src 0
		.amdhsa_exception_fp_ieee_div_zero 0
		.amdhsa_exception_fp_ieee_overflow 0
		.amdhsa_exception_fp_ieee_underflow 0
		.amdhsa_exception_fp_ieee_inexact 0
		.amdhsa_exception_int_div_zero 0
	.end_amdhsa_kernel
	.section	.text._ZN2at6native12_GLOBAL__N_118cuComputeGradInputIN3c104HalfEfLb0EEEvPKT_S7_llPKT0_SA_S7_PS5_,"axG",@progbits,_ZN2at6native12_GLOBAL__N_118cuComputeGradInputIN3c104HalfEfLb0EEEvPKT_S7_llPKT0_SA_S7_PS5_,comdat
.Lfunc_end70:
	.size	_ZN2at6native12_GLOBAL__N_118cuComputeGradInputIN3c104HalfEfLb0EEEvPKT_S7_llPKT0_SA_S7_PS5_, .Lfunc_end70-_ZN2at6native12_GLOBAL__N_118cuComputeGradInputIN3c104HalfEfLb0EEEvPKT_S7_llPKT0_SA_S7_PS5_
                                        ; -- End function
	.set _ZN2at6native12_GLOBAL__N_118cuComputeGradInputIN3c104HalfEfLb0EEEvPKT_S7_llPKT0_SA_S7_PS5_.num_vgpr, 26
	.set _ZN2at6native12_GLOBAL__N_118cuComputeGradInputIN3c104HalfEfLb0EEEvPKT_S7_llPKT0_SA_S7_PS5_.num_agpr, 0
	.set _ZN2at6native12_GLOBAL__N_118cuComputeGradInputIN3c104HalfEfLb0EEEvPKT_S7_llPKT0_SA_S7_PS5_.numbered_sgpr, 51
	.set _ZN2at6native12_GLOBAL__N_118cuComputeGradInputIN3c104HalfEfLb0EEEvPKT_S7_llPKT0_SA_S7_PS5_.num_named_barrier, 0
	.set _ZN2at6native12_GLOBAL__N_118cuComputeGradInputIN3c104HalfEfLb0EEEvPKT_S7_llPKT0_SA_S7_PS5_.private_seg_size, 0
	.set _ZN2at6native12_GLOBAL__N_118cuComputeGradInputIN3c104HalfEfLb0EEEvPKT_S7_llPKT0_SA_S7_PS5_.uses_vcc, 1
	.set _ZN2at6native12_GLOBAL__N_118cuComputeGradInputIN3c104HalfEfLb0EEEvPKT_S7_llPKT0_SA_S7_PS5_.uses_flat_scratch, 0
	.set _ZN2at6native12_GLOBAL__N_118cuComputeGradInputIN3c104HalfEfLb0EEEvPKT_S7_llPKT0_SA_S7_PS5_.has_dyn_sized_stack, 0
	.set _ZN2at6native12_GLOBAL__N_118cuComputeGradInputIN3c104HalfEfLb0EEEvPKT_S7_llPKT0_SA_S7_PS5_.has_recursion, 0
	.set _ZN2at6native12_GLOBAL__N_118cuComputeGradInputIN3c104HalfEfLb0EEEvPKT_S7_llPKT0_SA_S7_PS5_.has_indirect_call, 0
	.section	.AMDGPU.csdata,"",@progbits
; Kernel info:
; codeLenInByte = 1564
; TotalNumSgprs: 57
; NumVgprs: 26
; NumAgprs: 0
; TotalNumVgprs: 26
; ScratchSize: 0
; MemoryBound: 0
; FloatMode: 240
; IeeeMode: 1
; LDSByteSize: 0 bytes/workgroup (compile time only)
; SGPRBlocks: 7
; VGPRBlocks: 3
; NumSGPRsForWavesPerEU: 57
; NumVGPRsForWavesPerEU: 26
; AccumOffset: 28
; Occupancy: 8
; WaveLimiterHint : 0
; COMPUTE_PGM_RSRC2:SCRATCH_EN: 0
; COMPUTE_PGM_RSRC2:USER_SGPR: 2
; COMPUTE_PGM_RSRC2:TRAP_HANDLER: 0
; COMPUTE_PGM_RSRC2:TGID_X_EN: 1
; COMPUTE_PGM_RSRC2:TGID_Y_EN: 1
; COMPUTE_PGM_RSRC2:TGID_Z_EN: 0
; COMPUTE_PGM_RSRC2:TIDIG_COMP_CNT: 1
; COMPUTE_PGM_RSRC3_GFX90A:ACCUM_OFFSET: 6
; COMPUTE_PGM_RSRC3_GFX90A:TG_SPLIT: 0
	.section	.text._ZN2at6native12_GLOBAL__N_128layer_norm_grad_input_kernelIN3c104HalfEfLb0EEEvPKT_S7_PKT0_SA_S7_PS5_i,"axG",@progbits,_ZN2at6native12_GLOBAL__N_128layer_norm_grad_input_kernelIN3c104HalfEfLb0EEEvPKT_S7_PKT0_SA_S7_PS5_i,comdat
	.globl	_ZN2at6native12_GLOBAL__N_128layer_norm_grad_input_kernelIN3c104HalfEfLb0EEEvPKT_S7_PKT0_SA_S7_PS5_i ; -- Begin function _ZN2at6native12_GLOBAL__N_128layer_norm_grad_input_kernelIN3c104HalfEfLb0EEEvPKT_S7_PKT0_SA_S7_PS5_i
	.p2align	8
	.type	_ZN2at6native12_GLOBAL__N_128layer_norm_grad_input_kernelIN3c104HalfEfLb0EEEvPKT_S7_PKT0_SA_S7_PS5_i,@function
_ZN2at6native12_GLOBAL__N_128layer_norm_grad_input_kernelIN3c104HalfEfLb0EEEvPKT_S7_PKT0_SA_S7_PS5_i: ; @_ZN2at6native12_GLOBAL__N_128layer_norm_grad_input_kernelIN3c104HalfEfLb0EEEvPKT_S7_PKT0_SA_S7_PS5_i
; %bb.0:
	s_load_dword s24, s[0:1], 0x30
	s_load_dwordx2 s[12:13], s[0:1], 0x20
	s_load_dwordx8 s[4:11], s[0:1], 0x0
	s_mov_b32 s3, 0
	v_lshlrev_b32_e32 v4, 2, v0
	s_waitcnt lgkmcnt(0)
	s_ashr_i32 s14, s24, 31
	s_mul_hi_u32 s15, s24, s2
	s_mul_i32 s14, s14, s2
	s_add_i32 s17, s15, s14
	s_mul_i32 s16, s24, s2
	s_lshl_b64 s[2:3], s[2:3], 2
	s_add_u32 s8, s8, s2
	s_addc_u32 s9, s9, s3
	s_add_u32 s2, s10, s2
	s_addc_u32 s3, s11, s3
	s_load_dword s25, s[8:9], 0x0
	s_load_dword s26, s[2:3], 0x0
	s_lshl_b64 s[14:15], s[16:17], 1
	s_add_u32 s8, s6, s14
	s_addc_u32 s9, s7, s15
	s_add_u32 s10, s4, s14
	v_or_b32_e32 v1, 3, v4
	v_mov_b32_e32 v5, 0
	s_addc_u32 s11, s5, s15
	v_cmp_gt_u32_e32 vcc, s24, v1
	v_mov_b32_e32 v2, v5
	v_mov_b32_e32 v3, v5
	s_and_saveexec_b64 s[18:19], vcc
	s_cbranch_execz .LBB71_12
; %bb.1:
	s_load_dword s2, s[0:1], 0x44
	s_cmp_lg_u64 s[12:13], 0
	s_cselect_b64 s[22:23], -1, 0
	v_cndmask_b32_e64 v1, 0, 1, s[22:23]
	s_mov_b64 s[20:21], 0
	s_waitcnt lgkmcnt(0)
	s_and_b32 s2, s2, 0xffff
	s_lshl_b32 s27, s2, 2
	v_cmp_ne_u32_e64 s[2:3], 1, v1
	v_mov_b32_e32 v2, v5
	v_mov_b32_e32 v3, v5
	s_branch .LBB71_3
.LBB71_2:                               ;   in Loop: Header=BB71_3 Depth=1
	global_load_ushort v21, v[6:7], off offset:6
	global_load_ushort v22, v[8:9], off offset:6
	s_waitcnt vmcnt(7)
	v_cvt_f32_f16_e32 v6, v15
	s_waitcnt vmcnt(6)
	v_cvt_f32_f16_e32 v7, v16
	;; [unrolled: 2-line block ×5, first 2 shown]
	v_subrev_f32_e32 v6, s25, v6
	v_mul_f32_e32 v7, v12, v7
	v_cvt_f32_f16_e32 v8, v17
	v_mul_f32_e32 v9, v1, v9
	v_subrev_f32_e32 v1, s25, v10
	v_mul_f32_e32 v11, v14, v11
	v_mul_f32_e32 v6, v6, v7
	;; [unrolled: 1-line block ×5, first 2 shown]
	v_pk_add_f32 v[2:3], v[2:3], v[6:7]
	v_subrev_f32_e32 v8, s25, v8
	v_mul_f32_e32 v8, v8, v9
	v_add_u32_e32 v4, s27, v4
	v_mul_f32_e32 v8, s26, v8
	v_add_u32_e32 v15, 3, v4
	v_pk_add_f32 v[2:3], v[2:3], v[8:9]
	v_cmp_le_u32_e32 vcc, s24, v15
	v_pk_add_f32 v[2:3], v[2:3], v[10:11]
	s_or_b64 s[20:21], vcc, s[20:21]
	s_waitcnt vmcnt(1)
	v_cvt_f32_f16_e32 v1, v21
	s_waitcnt vmcnt(0)
	v_cvt_f32_f16_e32 v6, v22
	v_subrev_f32_e32 v1, s25, v1
	v_mul_f32_e32 v7, v13, v6
	v_mul_f32_e32 v1, v1, v7
	;; [unrolled: 1-line block ×3, first 2 shown]
	v_pk_add_f32 v[2:3], v[2:3], v[6:7]
	s_andn2_b64 exec, exec, s[20:21]
	s_cbranch_execz .LBB71_11
.LBB71_3:                               ; =>This Inner Loop Header: Depth=1
	v_mov_b32_e32 v1, 1.0
	s_and_b64 vcc, exec, s[22:23]
	v_lshl_add_u64 v[10:11], v[4:5], 1, s[12:13]
	v_mov_b32_e32 v12, 1.0
	s_cbranch_vccz .LBB71_5
; %bb.4:                                ;   in Loop: Header=BB71_3 Depth=1
	global_load_ushort v6, v[10:11], off
	s_waitcnt vmcnt(0)
	v_cvt_f32_f16_e32 v12, v6
.LBB71_5:                               ;   in Loop: Header=BB71_3 Depth=1
	v_lshlrev_b64 v[8:9], 1, v[4:5]
	v_lshl_add_u64 v[6:7], s[8:9], 0, v[8:9]
	v_lshl_add_u64 v[8:9], s[10:11], 0, v[8:9]
	global_load_ushort v15, v[6:7], off
	global_load_ushort v16, v[8:9], off
	s_and_b64 vcc, exec, s[2:3]
	s_cbranch_vccnz .LBB71_7
; %bb.6:                                ;   in Loop: Header=BB71_3 Depth=1
	global_load_ushort v1, v[10:11], off offset:2
	s_waitcnt vmcnt(0)
	v_cvt_f32_f16_e32 v1, v1
.LBB71_7:                               ;   in Loop: Header=BB71_3 Depth=1
	global_load_ushort v17, v[6:7], off offset:2
	global_load_ushort v18, v[8:9], off offset:2
	v_mov_b32_e32 v13, 1.0
	s_and_b64 vcc, exec, s[2:3]
	v_mov_b32_e32 v14, 1.0
	s_cbranch_vccnz .LBB71_9
; %bb.8:                                ;   in Loop: Header=BB71_3 Depth=1
	global_load_ushort v14, v[10:11], off offset:4
	s_waitcnt vmcnt(0)
	v_cvt_f32_f16_e32 v14, v14
.LBB71_9:                               ;   in Loop: Header=BB71_3 Depth=1
	global_load_ushort v19, v[6:7], off offset:4
	global_load_ushort v20, v[8:9], off offset:4
	s_and_b64 vcc, exec, s[2:3]
	s_cbranch_vccnz .LBB71_2
; %bb.10:                               ;   in Loop: Header=BB71_3 Depth=1
	global_load_ushort v10, v[10:11], off offset:6
	s_waitcnt vmcnt(0)
	v_cvt_f32_f16_e32 v13, v10
	s_branch .LBB71_2
.LBB71_11:
	s_or_b64 exec, exec, s[20:21]
.LBB71_12:
	s_or_b64 exec, exec, s[18:19]
	v_cmp_gt_u32_e32 vcc, s24, v4
	s_and_saveexec_b64 s[18:19], vcc
	s_cbranch_execz .LBB71_19
; %bb.13:
	s_cmp_lg_u64 s[12:13], 0
	v_mov_b32_e32 v5, 0
	v_lshlrev_b64 v[8:9], 1, v[4:5]
	s_cselect_b64 s[2:3], -1, 0
	v_lshl_add_u64 v[10:11], s[16:17], 1, v[8:9]
	v_cndmask_b32_e64 v1, 0, 1, s[2:3]
	s_mov_b64 s[20:21], 0
	v_lshl_add_u64 v[6:7], s[12:13], 0, v[8:9]
	v_lshl_add_u64 v[8:9], s[6:7], 0, v[10:11]
	;; [unrolled: 1-line block ×3, first 2 shown]
	v_cmp_ne_u32_e64 s[2:3], 1, v1
	s_branch .LBB71_16
.LBB71_14:                              ;   in Loop: Header=BB71_16 Depth=1
	global_load_ushort v1, v[6:7], off
	s_waitcnt vmcnt(0)
	v_cvt_f32_f16_e32 v1, v1
.LBB71_15:                              ;   in Loop: Header=BB71_16 Depth=1
	global_load_ushort v5, v[8:9], off
	global_load_ushort v12, v[10:11], off
	v_add_u32_e32 v4, 1, v4
	v_cmp_le_u32_e32 vcc, s24, v4
	v_lshl_add_u64 v[6:7], v[6:7], 0, 2
	v_lshl_add_u64 v[8:9], v[8:9], 0, 2
	s_or_b64 s[20:21], vcc, s[20:21]
	v_lshl_add_u64 v[10:11], v[10:11], 0, 2
	s_waitcnt vmcnt(1)
	v_cvt_f32_f16_e32 v5, v5
	s_waitcnt vmcnt(0)
	v_cvt_f32_f16_e32 v12, v12
	s_waitcnt lgkmcnt(0)
	v_subrev_f32_e32 v5, s25, v5
	v_mul_f32_e32 v13, v1, v12
	v_mul_f32_e32 v1, v5, v13
	;; [unrolled: 1-line block ×3, first 2 shown]
	v_pk_add_f32 v[2:3], v[2:3], v[12:13]
	s_andn2_b64 exec, exec, s[20:21]
	s_cbranch_execz .LBB71_18
.LBB71_16:                              ; =>This Inner Loop Header: Depth=1
	s_and_b64 vcc, exec, s[2:3]
	s_cbranch_vccz .LBB71_14
; %bb.17:                               ;   in Loop: Header=BB71_16 Depth=1
	v_mov_b32_e32 v1, 1.0
	s_branch .LBB71_15
.LBB71_18:
	s_or_b64 exec, exec, s[20:21]
.LBB71_19:
	s_or_b64 exec, exec, s[18:19]
	v_mbcnt_lo_u32_b32 v1, -1, 0
	v_mbcnt_hi_u32_b32 v4, -1, v1
	v_mov_b32_e32 v1, 0x80
	v_lshl_or_b32 v1, v4, 2, v1
	ds_bpermute_b32 v5, v1, v3
	v_and_b32_e32 v9, 63, v4
	v_cmp_gt_u32_e32 vcc, 48, v9
	v_and_b32_e32 v10, 63, v0
	s_waitcnt lgkmcnt(0)
	v_cndmask_b32_e64 v6, 0, 16, vcc
	v_add_f32_e32 v5, v3, v5
	v_add_lshl_u32 v3, v6, v4, 2
	ds_bpermute_b32 v7, v3, v5
	v_cmp_gt_u32_e32 vcc, 56, v9
	s_barrier
	s_waitcnt lgkmcnt(0)
	v_cndmask_b32_e64 v6, 0, 8, vcc
	v_add_lshl_u32 v6, v6, v4, 2
	v_add_f32_e32 v5, v5, v7
	ds_bpermute_b32 v8, v6, v5
	v_cmp_gt_u32_e32 vcc, 60, v9
	s_waitcnt lgkmcnt(0)
	v_add_f32_e32 v5, v5, v8
	v_cndmask_b32_e64 v7, 0, 4, vcc
	v_add_lshl_u32 v7, v7, v4, 2
	ds_bpermute_b32 v11, v7, v5
	v_cmp_gt_u32_e32 vcc, 62, v9
	s_waitcnt lgkmcnt(0)
	v_add_f32_e32 v5, v5, v11
	v_cndmask_b32_e64 v8, 0, 2, vcc
	v_add_lshl_u32 v8, v8, v4, 2
	ds_bpermute_b32 v11, v8, v5
	v_cmp_ne_u32_e32 vcc, 63, v9
	s_nop 1
	v_addc_co_u32_e32 v4, vcc, 0, v4, vcc
	v_lshlrev_b32_e32 v9, 2, v4
	s_waitcnt lgkmcnt(0)
	v_add_f32_e32 v4, v5, v11
	ds_bpermute_b32 v11, v9, v4
	v_cmp_eq_u32_e32 vcc, 0, v10
	v_lshrrev_b32_e32 v5, 4, v0
	s_and_saveexec_b64 s[2:3], vcc
	s_cbranch_execz .LBB71_21
; %bb.20:
	v_add_u32_e32 v12, 0, v5
	s_waitcnt lgkmcnt(0)
	v_add_f32_e32 v4, v4, v11
	ds_write_b32 v12, v4
.LBB71_21:
	s_or_b64 exec, exec, s[2:3]
	s_waitcnt lgkmcnt(0)
	s_barrier
	s_load_dword s16, s[0:1], 0x44
	v_mov_b32_e32 v4, 0
	v_lshl_add_u32 v10, v10, 2, 0
	s_waitcnt lgkmcnt(0)
	s_bfe_u32 s2, s16, 0xa0006
	v_cmp_gt_u32_e64 s[2:3], s2, v0
	s_and_saveexec_b64 s[4:5], s[2:3]
; %bb.22:
	ds_read_b32 v4, v10
; %bb.23:
	s_or_b64 exec, exec, s[4:5]
	v_cmp_gt_u32_e64 s[4:5], 64, v0
	s_and_saveexec_b64 s[6:7], s[4:5]
	s_cbranch_execz .LBB71_25
; %bb.24:
	s_waitcnt lgkmcnt(0)
	ds_bpermute_b32 v11, v1, v4
	s_waitcnt lgkmcnt(0)
	v_add_f32_e32 v4, v4, v11
	ds_bpermute_b32 v11, v3, v4
	s_waitcnt lgkmcnt(0)
	v_add_f32_e32 v4, v4, v11
	;; [unrolled: 3-line block ×6, first 2 shown]
.LBB71_25:
	s_or_b64 exec, exec, s[6:7]
	ds_bpermute_b32 v11, v1, v2
	s_waitcnt lgkmcnt(0)
	s_barrier
	v_add_f32_e32 v2, v2, v11
	ds_bpermute_b32 v11, v3, v2
	s_waitcnt lgkmcnt(0)
	v_add_f32_e32 v2, v2, v11
	ds_bpermute_b32 v11, v6, v2
	s_waitcnt lgkmcnt(0)
	;; [unrolled: 3-line block ×4, first 2 shown]
	v_add_f32_e32 v2, v2, v11
	ds_bpermute_b32 v11, v9, v2
	s_and_saveexec_b64 s[6:7], vcc
	s_cbranch_execz .LBB71_27
; %bb.26:
	v_add_u32_e32 v5, 0, v5
	s_waitcnt lgkmcnt(0)
	v_add_f32_e32 v2, v2, v11
	ds_write_b32 v5, v2
.LBB71_27:
	s_or_b64 exec, exec, s[6:7]
	v_mov_b32_e32 v5, 0
	s_waitcnt lgkmcnt(0)
	s_barrier
	s_and_saveexec_b64 s[6:7], s[2:3]
	s_cbranch_execnz .LBB71_38
; %bb.28:
	s_or_b64 exec, exec, s[6:7]
	s_and_saveexec_b64 s[2:3], s[4:5]
	s_cbranch_execnz .LBB71_39
.LBB71_29:
	s_or_b64 exec, exec, s[2:3]
	v_cmp_eq_u32_e32 vcc, 0, v0
	s_and_saveexec_b64 s[2:3], vcc
	s_cbranch_execz .LBB71_31
.LBB71_30:
	v_mov_b32_e32 v1, 0
	s_waitcnt lgkmcnt(0)
	ds_write_b64 v1, v[4:5]
.LBB71_31:
	s_or_b64 exec, exec, s[2:3]
	v_cmp_gt_i32_e32 vcc, s24, v0
	s_waitcnt lgkmcnt(0)
	s_barrier
	s_and_saveexec_b64 s[2:3], vcc
	s_cbranch_execz .LBB71_37
; %bb.32:
	v_cvt_f32_i32_e32 v2, s24
	s_load_dwordx2 s[0:1], s[0:1], 0x28
	v_mov_b32_e32 v1, 0
	ds_read_b32 v8, v1
	ds_read_b32 v5, v1 offset:4
	v_div_scale_f32 v3, s[2:3], v2, v2, 1.0
	v_rcp_f32_e32 v4, v3
	v_div_scale_f32 v1, vcc, 1.0, v2, 1.0
	s_and_b32 s6, 0xffff, s16
	v_fma_f32 v6, -v3, v4, 1.0
	v_fmac_f32_e32 v4, v6, v4
	v_mul_f32_e32 v6, v1, v4
	v_fma_f32 v7, -v3, v6, v1
	v_fmac_f32_e32 v6, v7, v4
	s_waitcnt lgkmcnt(0)
	s_add_u32 s2, s0, s14
	v_fma_f32 v1, -v3, v6, v1
	s_addc_u32 s3, s1, s15
	v_div_fmas_f32 v1, v1, v4, v6
	s_cmp_lg_u64 s[12:13], 0
	v_div_fixup_f32 v1, v1, v2, 1.0
	s_cselect_b64 s[0:1], -1, 0
	v_mul_f32_e32 v9, s26, v1
	v_cndmask_b32_e64 v1, 0, 1, s[0:1]
	s_mov_b64 s[4:5], 0
	v_cmp_ne_u32_e64 s[0:1], 1, v1
	s_branch .LBB71_35
.LBB71_33:                              ;   in Loop: Header=BB71_35 Depth=1
	v_lshl_add_u64 v[6:7], v[0:1], 1, s[12:13]
	global_load_ushort v6, v[6:7], off
	s_waitcnt vmcnt(0)
	v_cvt_f32_f16_e32 v6, v6
.LBB71_34:                              ;   in Loop: Header=BB71_35 Depth=1
	s_waitcnt vmcnt(1)
	v_cvt_f32_f16_e32 v3, v3
	s_waitcnt vmcnt(0)
	v_cvt_f32_f16_e32 v4, v4
	v_mov_b32_e32 v7, s26
	v_lshl_add_u64 v[10:11], v[0:1], 1, s[2:3]
	v_subrev_f32_e32 v3, s25, v3
	v_pk_mul_f32 v[6:7], v[6:7], v[2:3]
	v_add_u32_e32 v0, s6, v0
	v_pk_mul_f32 v[6:7], v[6:7], v[4:5]
	v_cmp_le_i32_e32 vcc, s24, v0
	v_sub_f32_e32 v1, v6, v7
	v_sub_f32_e32 v1, v1, v8
	v_fma_mixlo_f16 v1, v9, v1, 0
	s_or_b64 s[4:5], vcc, s[4:5]
	global_store_short v[10:11], v1, off
	s_andn2_b64 exec, exec, s[4:5]
	s_cbranch_execz .LBB71_37
.LBB71_35:                              ; =>This Inner Loop Header: Depth=1
	v_ashrrev_i32_e32 v1, 31, v0
	v_lshlrev_b64 v[6:7], 1, v[0:1]
	v_lshl_add_u64 v[10:11], s[8:9], 0, v[6:7]
	v_lshl_add_u64 v[6:7], s[10:11], 0, v[6:7]
	global_load_ushort v3, v[10:11], off
	global_load_ushort v4, v[6:7], off
	s_and_b64 vcc, exec, s[0:1]
	s_cbranch_vccz .LBB71_33
; %bb.36:                               ;   in Loop: Header=BB71_35 Depth=1
	v_mov_b32_e32 v6, 1.0
	s_branch .LBB71_34
.LBB71_37:
	s_endpgm
.LBB71_38:
	ds_read_b32 v5, v10
	s_or_b64 exec, exec, s[6:7]
	s_and_saveexec_b64 s[2:3], s[4:5]
	s_cbranch_execz .LBB71_29
.LBB71_39:
	s_waitcnt lgkmcnt(0)
	ds_bpermute_b32 v1, v1, v5
	s_waitcnt lgkmcnt(0)
	v_add_f32_e32 v1, v5, v1
	ds_bpermute_b32 v2, v3, v1
	s_waitcnt lgkmcnt(0)
	v_add_f32_e32 v1, v1, v2
	;; [unrolled: 3-line block ×6, first 2 shown]
	s_or_b64 exec, exec, s[2:3]
	v_cmp_eq_u32_e32 vcc, 0, v0
	s_and_saveexec_b64 s[2:3], vcc
	s_cbranch_execnz .LBB71_30
	s_branch .LBB71_31
	.section	.rodata,"a",@progbits
	.p2align	6, 0x0
	.amdhsa_kernel _ZN2at6native12_GLOBAL__N_128layer_norm_grad_input_kernelIN3c104HalfEfLb0EEEvPKT_S7_PKT0_SA_S7_PS5_i
		.amdhsa_group_segment_fixed_size 0
		.amdhsa_private_segment_fixed_size 0
		.amdhsa_kernarg_size 312
		.amdhsa_user_sgpr_count 2
		.amdhsa_user_sgpr_dispatch_ptr 0
		.amdhsa_user_sgpr_queue_ptr 0
		.amdhsa_user_sgpr_kernarg_segment_ptr 1
		.amdhsa_user_sgpr_dispatch_id 0
		.amdhsa_user_sgpr_kernarg_preload_length 0
		.amdhsa_user_sgpr_kernarg_preload_offset 0
		.amdhsa_user_sgpr_private_segment_size 0
		.amdhsa_uses_dynamic_stack 0
		.amdhsa_enable_private_segment 0
		.amdhsa_system_sgpr_workgroup_id_x 1
		.amdhsa_system_sgpr_workgroup_id_y 0
		.amdhsa_system_sgpr_workgroup_id_z 0
		.amdhsa_system_sgpr_workgroup_info 0
		.amdhsa_system_vgpr_workitem_id 0
		.amdhsa_next_free_vgpr 23
		.amdhsa_next_free_sgpr 28
		.amdhsa_accum_offset 24
		.amdhsa_reserve_vcc 1
		.amdhsa_float_round_mode_32 0
		.amdhsa_float_round_mode_16_64 0
		.amdhsa_float_denorm_mode_32 3
		.amdhsa_float_denorm_mode_16_64 3
		.amdhsa_dx10_clamp 1
		.amdhsa_ieee_mode 1
		.amdhsa_fp16_overflow 0
		.amdhsa_tg_split 0
		.amdhsa_exception_fp_ieee_invalid_op 0
		.amdhsa_exception_fp_denorm_src 0
		.amdhsa_exception_fp_ieee_div_zero 0
		.amdhsa_exception_fp_ieee_overflow 0
		.amdhsa_exception_fp_ieee_underflow 0
		.amdhsa_exception_fp_ieee_inexact 0
		.amdhsa_exception_int_div_zero 0
	.end_amdhsa_kernel
	.section	.text._ZN2at6native12_GLOBAL__N_128layer_norm_grad_input_kernelIN3c104HalfEfLb0EEEvPKT_S7_PKT0_SA_S7_PS5_i,"axG",@progbits,_ZN2at6native12_GLOBAL__N_128layer_norm_grad_input_kernelIN3c104HalfEfLb0EEEvPKT_S7_PKT0_SA_S7_PS5_i,comdat
.Lfunc_end71:
	.size	_ZN2at6native12_GLOBAL__N_128layer_norm_grad_input_kernelIN3c104HalfEfLb0EEEvPKT_S7_PKT0_SA_S7_PS5_i, .Lfunc_end71-_ZN2at6native12_GLOBAL__N_128layer_norm_grad_input_kernelIN3c104HalfEfLb0EEEvPKT_S7_PKT0_SA_S7_PS5_i
                                        ; -- End function
	.set _ZN2at6native12_GLOBAL__N_128layer_norm_grad_input_kernelIN3c104HalfEfLb0EEEvPKT_S7_PKT0_SA_S7_PS5_i.num_vgpr, 23
	.set _ZN2at6native12_GLOBAL__N_128layer_norm_grad_input_kernelIN3c104HalfEfLb0EEEvPKT_S7_PKT0_SA_S7_PS5_i.num_agpr, 0
	.set _ZN2at6native12_GLOBAL__N_128layer_norm_grad_input_kernelIN3c104HalfEfLb0EEEvPKT_S7_PKT0_SA_S7_PS5_i.numbered_sgpr, 28
	.set _ZN2at6native12_GLOBAL__N_128layer_norm_grad_input_kernelIN3c104HalfEfLb0EEEvPKT_S7_PKT0_SA_S7_PS5_i.num_named_barrier, 0
	.set _ZN2at6native12_GLOBAL__N_128layer_norm_grad_input_kernelIN3c104HalfEfLb0EEEvPKT_S7_PKT0_SA_S7_PS5_i.private_seg_size, 0
	.set _ZN2at6native12_GLOBAL__N_128layer_norm_grad_input_kernelIN3c104HalfEfLb0EEEvPKT_S7_PKT0_SA_S7_PS5_i.uses_vcc, 1
	.set _ZN2at6native12_GLOBAL__N_128layer_norm_grad_input_kernelIN3c104HalfEfLb0EEEvPKT_S7_PKT0_SA_S7_PS5_i.uses_flat_scratch, 0
	.set _ZN2at6native12_GLOBAL__N_128layer_norm_grad_input_kernelIN3c104HalfEfLb0EEEvPKT_S7_PKT0_SA_S7_PS5_i.has_dyn_sized_stack, 0
	.set _ZN2at6native12_GLOBAL__N_128layer_norm_grad_input_kernelIN3c104HalfEfLb0EEEvPKT_S7_PKT0_SA_S7_PS5_i.has_recursion, 0
	.set _ZN2at6native12_GLOBAL__N_128layer_norm_grad_input_kernelIN3c104HalfEfLb0EEEvPKT_S7_PKT0_SA_S7_PS5_i.has_indirect_call, 0
	.section	.AMDGPU.csdata,"",@progbits
; Kernel info:
; codeLenInByte = 1980
; TotalNumSgprs: 34
; NumVgprs: 23
; NumAgprs: 0
; TotalNumVgprs: 23
; ScratchSize: 0
; MemoryBound: 0
; FloatMode: 240
; IeeeMode: 1
; LDSByteSize: 0 bytes/workgroup (compile time only)
; SGPRBlocks: 4
; VGPRBlocks: 2
; NumSGPRsForWavesPerEU: 34
; NumVGPRsForWavesPerEU: 23
; AccumOffset: 24
; Occupancy: 8
; WaveLimiterHint : 0
; COMPUTE_PGM_RSRC2:SCRATCH_EN: 0
; COMPUTE_PGM_RSRC2:USER_SGPR: 2
; COMPUTE_PGM_RSRC2:TRAP_HANDLER: 0
; COMPUTE_PGM_RSRC2:TGID_X_EN: 1
; COMPUTE_PGM_RSRC2:TGID_Y_EN: 0
; COMPUTE_PGM_RSRC2:TGID_Z_EN: 0
; COMPUTE_PGM_RSRC2:TIDIG_COMP_CNT: 0
; COMPUTE_PGM_RSRC3_GFX90A:ACCUM_OFFSET: 5
; COMPUTE_PGM_RSRC3_GFX90A:TG_SPLIT: 0
	.section	.text._ZN2at6native12_GLOBAL__N_133GammaBetaBackwardSimpleCUDAKernelIN3c104HalfEfLb0EEEvllPKT_S7_PKT0_SA_PS5_SB_,"axG",@progbits,_ZN2at6native12_GLOBAL__N_133GammaBetaBackwardSimpleCUDAKernelIN3c104HalfEfLb0EEEvllPKT_S7_PKT0_SA_PS5_SB_,comdat
	.globl	_ZN2at6native12_GLOBAL__N_133GammaBetaBackwardSimpleCUDAKernelIN3c104HalfEfLb0EEEvllPKT_S7_PKT0_SA_PS5_SB_ ; -- Begin function _ZN2at6native12_GLOBAL__N_133GammaBetaBackwardSimpleCUDAKernelIN3c104HalfEfLb0EEEvllPKT_S7_PKT0_SA_PS5_SB_
	.p2align	8
	.type	_ZN2at6native12_GLOBAL__N_133GammaBetaBackwardSimpleCUDAKernelIN3c104HalfEfLb0EEEvllPKT_S7_PKT0_SA_PS5_SB_,@function
_ZN2at6native12_GLOBAL__N_133GammaBetaBackwardSimpleCUDAKernelIN3c104HalfEfLb0EEEvllPKT_S7_PKT0_SA_PS5_SB_: ; @_ZN2at6native12_GLOBAL__N_133GammaBetaBackwardSimpleCUDAKernelIN3c104HalfEfLb0EEEvllPKT_S7_PKT0_SA_PS5_SB_
; %bb.0:
	s_load_dword s3, s[0:1], 0x4c
	s_load_dwordx16 s[4:19], s[0:1], 0x0
	v_mov_b32_e32 v1, 0
	v_mov_b32_e32 v2, s2
	s_waitcnt lgkmcnt(0)
	s_and_b32 s0, s3, 0xffff
	v_mad_u64_u32 v[2:3], s[0:1], s0, v2, v[0:1]
	v_cmp_gt_i64_e32 vcc, s[6:7], v[2:3]
	s_and_saveexec_b64 s[0:1], vcc
	s_cbranch_execz .LBB72_14
; %bb.1:
	v_cmp_lt_i64_e64 s[0:1], s[4:5], 1
	s_and_b64 vcc, exec, s[0:1]
	v_mov_b32_e32 v0, 0
	s_cbranch_vccnz .LBB72_10
; %bb.2:
	s_cmp_lg_u64 s[16:17], 0
	s_cselect_b64 s[0:1], -1, 0
	s_cmp_lg_u64 s[18:19], 0
	s_cselect_b64 s[2:3], -1, 0
	v_cndmask_b32_e64 v4, 0, 1, s[0:1]
	v_cmp_ne_u32_e64 s[0:1], 1, v4
	v_cndmask_b32_e64 v4, 0, 1, s[2:3]
	v_lshlrev_b64 v[0:1], 1, v[2:3]
	s_lshl_b64 s[6:7], s[6:7], 1
	v_mov_b32_e32 v6, 0
	v_cmp_ne_u32_e64 s[2:3], 1, v4
	v_mov_b32_e32 v7, 0
	s_branch .LBB72_5
.LBB72_3:                               ;   in Loop: Header=BB72_5 Depth=1
	global_load_ushort v4, v[4:5], off
	s_waitcnt vmcnt(0)
	v_cvt_f32_f16_e32 v4, v4
.LBB72_4:                               ;   in Loop: Header=BB72_5 Depth=1
	s_add_u32 s4, s4, -1
	s_addc_u32 s5, s5, -1
	s_add_u32 s14, s14, 4
	s_addc_u32 s15, s15, 0
	s_add_u32 s12, s12, 4
	s_addc_u32 s13, s13, 0
	v_add_f32_e32 v6, v6, v8
	v_add_f32_e32 v7, v7, v4
	s_cmp_eq_u64 s[4:5], 0
	v_lshl_add_u64 v[0:1], v[0:1], 0, s[6:7]
	s_cbranch_scc1 .LBB72_9
.LBB72_5:                               ; =>This Inner Loop Header: Depth=1
	s_and_b64 vcc, exec, s[0:1]
	v_lshl_add_u64 v[4:5], s[8:9], 0, v[0:1]
	v_mov_b32_e32 v8, 0
	s_cbranch_vccnz .LBB72_7
; %bb.6:                                ;   in Loop: Header=BB72_5 Depth=1
	v_lshl_add_u64 v[8:9], s[10:11], 0, v[0:1]
	global_load_ushort v8, v[8:9], off
	s_load_dword s20, s[12:13], 0x0
	global_load_ushort v10, v[4:5], off
	s_load_dword s21, s[14:15], 0x0
	s_waitcnt vmcnt(1)
	v_cvt_f32_f16_e32 v8, v8
	s_waitcnt vmcnt(0)
	v_cvt_f32_f16_e32 v9, v10
	s_waitcnt lgkmcnt(0)
	v_subrev_f32_e32 v8, s20, v8
	v_mul_f32_e32 v8, v8, v9
	v_mul_f32_e32 v8, s21, v8
.LBB72_7:                               ;   in Loop: Header=BB72_5 Depth=1
	s_and_b64 vcc, exec, s[2:3]
	s_cbranch_vccz .LBB72_3
; %bb.8:                                ;   in Loop: Header=BB72_5 Depth=1
	v_mov_b32_e32 v4, 0
	s_branch .LBB72_4
.LBB72_9:
	v_cvt_f16_f32_e32 v1, v6
	v_cvt_f16_f32_e32 v0, v7
.LBB72_10:
	s_cmp_lg_u64 s[16:17], 0
	s_cbranch_scc0 .LBB72_12
; %bb.11:
	v_lshl_add_u64 v[4:5], v[2:3], 1, s[16:17]
	global_store_short v[4:5], v1, off
.LBB72_12:
	s_cmp_eq_u64 s[18:19], 0
	s_cbranch_scc1 .LBB72_14
; %bb.13:
	v_lshl_add_u64 v[2:3], v[2:3], 1, s[18:19]
	global_store_short v[2:3], v0, off
.LBB72_14:
	s_endpgm
	.section	.rodata,"a",@progbits
	.p2align	6, 0x0
	.amdhsa_kernel _ZN2at6native12_GLOBAL__N_133GammaBetaBackwardSimpleCUDAKernelIN3c104HalfEfLb0EEEvllPKT_S7_PKT0_SA_PS5_SB_
		.amdhsa_group_segment_fixed_size 0
		.amdhsa_private_segment_fixed_size 0
		.amdhsa_kernarg_size 320
		.amdhsa_user_sgpr_count 2
		.amdhsa_user_sgpr_dispatch_ptr 0
		.amdhsa_user_sgpr_queue_ptr 0
		.amdhsa_user_sgpr_kernarg_segment_ptr 1
		.amdhsa_user_sgpr_dispatch_id 0
		.amdhsa_user_sgpr_kernarg_preload_length 0
		.amdhsa_user_sgpr_kernarg_preload_offset 0
		.amdhsa_user_sgpr_private_segment_size 0
		.amdhsa_uses_dynamic_stack 0
		.amdhsa_enable_private_segment 0
		.amdhsa_system_sgpr_workgroup_id_x 1
		.amdhsa_system_sgpr_workgroup_id_y 0
		.amdhsa_system_sgpr_workgroup_id_z 0
		.amdhsa_system_sgpr_workgroup_info 0
		.amdhsa_system_vgpr_workitem_id 0
		.amdhsa_next_free_vgpr 11
		.amdhsa_next_free_sgpr 22
		.amdhsa_accum_offset 12
		.amdhsa_reserve_vcc 1
		.amdhsa_float_round_mode_32 0
		.amdhsa_float_round_mode_16_64 0
		.amdhsa_float_denorm_mode_32 3
		.amdhsa_float_denorm_mode_16_64 3
		.amdhsa_dx10_clamp 1
		.amdhsa_ieee_mode 1
		.amdhsa_fp16_overflow 0
		.amdhsa_tg_split 0
		.amdhsa_exception_fp_ieee_invalid_op 0
		.amdhsa_exception_fp_denorm_src 0
		.amdhsa_exception_fp_ieee_div_zero 0
		.amdhsa_exception_fp_ieee_overflow 0
		.amdhsa_exception_fp_ieee_underflow 0
		.amdhsa_exception_fp_ieee_inexact 0
		.amdhsa_exception_int_div_zero 0
	.end_amdhsa_kernel
	.section	.text._ZN2at6native12_GLOBAL__N_133GammaBetaBackwardSimpleCUDAKernelIN3c104HalfEfLb0EEEvllPKT_S7_PKT0_SA_PS5_SB_,"axG",@progbits,_ZN2at6native12_GLOBAL__N_133GammaBetaBackwardSimpleCUDAKernelIN3c104HalfEfLb0EEEvllPKT_S7_PKT0_SA_PS5_SB_,comdat
.Lfunc_end72:
	.size	_ZN2at6native12_GLOBAL__N_133GammaBetaBackwardSimpleCUDAKernelIN3c104HalfEfLb0EEEvllPKT_S7_PKT0_SA_PS5_SB_, .Lfunc_end72-_ZN2at6native12_GLOBAL__N_133GammaBetaBackwardSimpleCUDAKernelIN3c104HalfEfLb0EEEvllPKT_S7_PKT0_SA_PS5_SB_
                                        ; -- End function
	.set _ZN2at6native12_GLOBAL__N_133GammaBetaBackwardSimpleCUDAKernelIN3c104HalfEfLb0EEEvllPKT_S7_PKT0_SA_PS5_SB_.num_vgpr, 11
	.set _ZN2at6native12_GLOBAL__N_133GammaBetaBackwardSimpleCUDAKernelIN3c104HalfEfLb0EEEvllPKT_S7_PKT0_SA_PS5_SB_.num_agpr, 0
	.set _ZN2at6native12_GLOBAL__N_133GammaBetaBackwardSimpleCUDAKernelIN3c104HalfEfLb0EEEvllPKT_S7_PKT0_SA_PS5_SB_.numbered_sgpr, 22
	.set _ZN2at6native12_GLOBAL__N_133GammaBetaBackwardSimpleCUDAKernelIN3c104HalfEfLb0EEEvllPKT_S7_PKT0_SA_PS5_SB_.num_named_barrier, 0
	.set _ZN2at6native12_GLOBAL__N_133GammaBetaBackwardSimpleCUDAKernelIN3c104HalfEfLb0EEEvllPKT_S7_PKT0_SA_PS5_SB_.private_seg_size, 0
	.set _ZN2at6native12_GLOBAL__N_133GammaBetaBackwardSimpleCUDAKernelIN3c104HalfEfLb0EEEvllPKT_S7_PKT0_SA_PS5_SB_.uses_vcc, 1
	.set _ZN2at6native12_GLOBAL__N_133GammaBetaBackwardSimpleCUDAKernelIN3c104HalfEfLb0EEEvllPKT_S7_PKT0_SA_PS5_SB_.uses_flat_scratch, 0
	.set _ZN2at6native12_GLOBAL__N_133GammaBetaBackwardSimpleCUDAKernelIN3c104HalfEfLb0EEEvllPKT_S7_PKT0_SA_PS5_SB_.has_dyn_sized_stack, 0
	.set _ZN2at6native12_GLOBAL__N_133GammaBetaBackwardSimpleCUDAKernelIN3c104HalfEfLb0EEEvllPKT_S7_PKT0_SA_PS5_SB_.has_recursion, 0
	.set _ZN2at6native12_GLOBAL__N_133GammaBetaBackwardSimpleCUDAKernelIN3c104HalfEfLb0EEEvllPKT_S7_PKT0_SA_PS5_SB_.has_indirect_call, 0
	.section	.AMDGPU.csdata,"",@progbits
; Kernel info:
; codeLenInByte = 380
; TotalNumSgprs: 28
; NumVgprs: 11
; NumAgprs: 0
; TotalNumVgprs: 11
; ScratchSize: 0
; MemoryBound: 0
; FloatMode: 240
; IeeeMode: 1
; LDSByteSize: 0 bytes/workgroup (compile time only)
; SGPRBlocks: 3
; VGPRBlocks: 1
; NumSGPRsForWavesPerEU: 28
; NumVGPRsForWavesPerEU: 11
; AccumOffset: 12
; Occupancy: 8
; WaveLimiterHint : 0
; COMPUTE_PGM_RSRC2:SCRATCH_EN: 0
; COMPUTE_PGM_RSRC2:USER_SGPR: 2
; COMPUTE_PGM_RSRC2:TRAP_HANDLER: 0
; COMPUTE_PGM_RSRC2:TGID_X_EN: 1
; COMPUTE_PGM_RSRC2:TGID_Y_EN: 0
; COMPUTE_PGM_RSRC2:TGID_Z_EN: 0
; COMPUTE_PGM_RSRC2:TIDIG_COMP_CNT: 0
; COMPUTE_PGM_RSRC3_GFX90A:ACCUM_OFFSET: 2
; COMPUTE_PGM_RSRC3_GFX90A:TG_SPLIT: 0
	.section	.text._ZN2at6native12_GLOBAL__N_135GammaBetaBackwardCUDAKernelTemplateIN3c104HalfEfLj64ELj1ELj32ELb1ELb1ELb0EEEvllPKT_S7_PKT0_SA_PS5_SB_,"axG",@progbits,_ZN2at6native12_GLOBAL__N_135GammaBetaBackwardCUDAKernelTemplateIN3c104HalfEfLj64ELj1ELj32ELb1ELb1ELb0EEEvllPKT_S7_PKT0_SA_PS5_SB_,comdat
	.globl	_ZN2at6native12_GLOBAL__N_135GammaBetaBackwardCUDAKernelTemplateIN3c104HalfEfLj64ELj1ELj32ELb1ELb1ELb0EEEvllPKT_S7_PKT0_SA_PS5_SB_ ; -- Begin function _ZN2at6native12_GLOBAL__N_135GammaBetaBackwardCUDAKernelTemplateIN3c104HalfEfLj64ELj1ELj32ELb1ELb1ELb0EEEvllPKT_S7_PKT0_SA_PS5_SB_
	.p2align	8
	.type	_ZN2at6native12_GLOBAL__N_135GammaBetaBackwardCUDAKernelTemplateIN3c104HalfEfLj64ELj1ELj32ELb1ELb1ELb0EEEvllPKT_S7_PKT0_SA_PS5_SB_,@function
_ZN2at6native12_GLOBAL__N_135GammaBetaBackwardCUDAKernelTemplateIN3c104HalfEfLj64ELj1ELj32ELb1ELb1ELb0EEEvllPKT_S7_PKT0_SA_PS5_SB_: ; @_ZN2at6native12_GLOBAL__N_135GammaBetaBackwardCUDAKernelTemplateIN3c104HalfEfLj64ELj1ELj32ELb1ELb1ELb0EEEvllPKT_S7_PKT0_SA_PS5_SB_
; %bb.0:
	s_load_dwordx4 s[16:19], s[0:1], 0x0
	s_lshl_b32 s6, s3, 5
	s_mov_b32 s7, 0
	v_mov_b64_e32 v[2:3], s[6:7]
	s_mov_b32 s4, s3
	s_waitcnt lgkmcnt(0)
	v_cmp_gt_i64_e32 vcc, s[16:17], v[2:3]
	v_bfe_u32 v1, v0, 10, 10
	s_cbranch_vccnz .LBB73_2
; %bb.1:
	s_add_u32 s24, s0, 64
	s_addc_u32 s25, s1, 0
	s_mov_b64 s[8:9], 0
	v_bfe_u32 v2, v0, 10, 10
	s_branch .LBB73_3
.LBB73_2:
	s_mov_b64 s[8:9], -1
                                        ; implicit-def: $sgpr24_sgpr25
                                        ; implicit-def: $vgpr2
.LBB73_3:
	s_load_dwordx4 s[20:23], s[0:1], 0x30
	v_and_b32_e32 v0, 0x3ff, v0
	s_mov_b32 s27, 0
	s_andn2_b64 vcc, exec, s[8:9]
	v_mov_b32_e32 v6, 0
	s_cbranch_vccnz .LBB73_11
; %bb.4:
	s_load_dword s3, s[0:1], 0x4c
	s_load_dword s5, s[0:1], 0x44
	s_load_dwordx8 s[8:15], s[0:1], 0x10
	s_add_u32 s24, s0, 64
	s_addc_u32 s25, s1, 0
	s_waitcnt lgkmcnt(0)
	s_and_b32 s0, s3, 0xffff
	v_mad_u32_u24 v2, v1, s0, v0
	v_lshlrev_b32_e32 v8, 5, v1
	v_mov_b32_e32 v9, 0
	v_mbcnt_lo_u32_b32 v4, -1, 0
	v_and_b32_e32 v2, 63, v2
	v_mov_b32_e32 v3, v9
	v_mbcnt_hi_u32_b32 v4, -1, v4
	s_lshl_b32 s26, s5, 5
	v_lshl_add_u64 v[10:11], v[8:9], 0, s[6:7]
	v_cmp_gt_u32_e64 s[0:1], 32, v2
	v_lshl_add_u32 v6, s2, 6, v0
	v_mov_b32_e32 v7, v9
	v_lshlrev_b32_e32 v4, 2, v4
	v_lshl_add_u64 v[2:3], v[10:11], 0, v[2:3]
	v_mul_lo_u32 v8, s19, v10
	v_mul_lo_u32 v12, s18, v11
	v_mad_u64_u32 v[10:11], s[30:31], s18, v10, 0
	s_mul_i32 s3, s19, s26
	s_mul_hi_u32 s5, s18, s26
	v_and_b32_e32 v14, 0x100, v4
	v_add3_u32 v11, v11, v12, v8
	v_lshlrev_b64 v[6:7], 1, v[6:7]
	s_add_i32 s31, s5, s3
	s_mul_i32 s30, s18, s26
	v_or_b32_e32 v15, 4, v14
	v_or_b32_e32 v16, 8, v14
	;; [unrolled: 1-line block ×31, first 2 shown]
	v_lshlrev_b64 v[4:5], 2, v[2:3]
	s_lshl_b64 s[28:29], s[26:27], 2
	v_lshl_add_u64 v[6:7], v[10:11], 1, v[6:7]
	s_lshl_b64 s[30:31], s[30:31], 1
	s_lshl_b64 s[34:35], s[18:19], 1
	v_mov_b32_e32 v8, v9
	s_branch .LBB73_7
.LBB73_5:                               ;   in Loop: Header=BB73_7 Depth=1
	s_or_b64 exec, exec, s[38:39]
.LBB73_6:                               ;   in Loop: Header=BB73_7 Depth=1
	s_or_b64 exec, exec, s[36:37]
	v_lshl_add_u64 v[10:11], s[10:11], 0, v[6:7]
	global_load_ushort v50, v[10:11], off
	v_lshl_add_u64 v[12:13], s[8:9], 0, v[6:7]
	global_load_ushort v51, v[12:13], off
	v_lshl_add_u64 v[48:49], v[10:11], 0, s[34:35]
	v_lshl_add_u64 v[12:13], v[12:13], 0, s[34:35]
	global_load_ushort v11, v[48:49], off
	global_load_ushort v52, v[12:13], off
	s_waitcnt vmcnt(5)
	ds_bpermute_b32 v53, v14, v47
	v_lshl_add_u64 v[48:49], v[48:49], 0, s[34:35]
	v_lshl_add_u64 v[12:13], v[12:13], 0, s[34:35]
	s_waitcnt vmcnt(4)
	ds_bpermute_b32 v54, v14, v46
	ds_bpermute_b32 v55, v17, v47
	ds_bpermute_b32 v56, v17, v46
	ds_bpermute_b32 v57, v18, v47
	ds_bpermute_b32 v58, v18, v46
	ds_bpermute_b32 v59, v19, v47
	ds_bpermute_b32 v60, v19, v46
	ds_bpermute_b32 v61, v20, v47
	ds_bpermute_b32 v62, v20, v46
	ds_bpermute_b32 v63, v21, v47
	ds_bpermute_b32 v64, v21, v46
	ds_bpermute_b32 v65, v22, v47
	ds_bpermute_b32 v66, v22, v46
	ds_bpermute_b32 v67, v23, v47
	ds_bpermute_b32 v68, v23, v46
	ds_bpermute_b32 v69, v24, v47
	ds_bpermute_b32 v70, v24, v46
	s_add_u32 s6, s6, s26
	s_addc_u32 s7, s7, 0
	v_lshl_add_u64 v[4:5], v[4:5], 0, s[28:29]
	v_lshl_add_u64 v[2:3], v[2:3], 0, s[26:27]
	;; [unrolled: 1-line block ×3, first 2 shown]
	s_waitcnt vmcnt(3)
	v_cvt_f32_f16_e32 v50, v50
	s_waitcnt vmcnt(2)
	v_cvt_f32_f16_e32 v10, v51
	ds_bpermute_b32 v51, v15, v47
	s_waitcnt lgkmcnt(14)
	v_sub_f32_e32 v50, v50, v53
	s_waitcnt vmcnt(1)
	v_cvt_f32_f16_e32 v53, v11
	v_mul_f32_e32 v11, v50, v10
	s_waitcnt vmcnt(0)
	v_cvt_f32_f16_e32 v50, v52
	global_load_ushort v52, v[48:49], off
	s_waitcnt lgkmcnt(0)
	v_sub_f32_e32 v51, v53, v51
	global_load_ushort v53, v[12:13], off
	v_mul_f32_e32 v11, v11, v54
	ds_bpermute_b32 v54, v15, v46
	v_mul_f32_e32 v51, v51, v50
	v_lshl_add_u64 v[48:49], v[48:49], 0, s[34:35]
	v_lshl_add_u64 v[12:13], v[12:13], 0, s[34:35]
	v_pk_add_f32 v[8:9], v[8:9], v[10:11]
	s_waitcnt lgkmcnt(0)
	v_mul_f32_e32 v51, v51, v54
	ds_bpermute_b32 v54, v16, v47
	v_pk_add_f32 v[8:9], v[8:9], v[50:51]
	s_waitcnt vmcnt(1)
	v_cvt_f32_f16_e32 v52, v52
	s_waitcnt lgkmcnt(0)
	v_sub_f32_e32 v54, v52, v54
	s_waitcnt vmcnt(0)
	v_cvt_f32_f16_e32 v52, v53
	v_mul_f32_e32 v53, v54, v52
	ds_bpermute_b32 v54, v16, v46
	s_waitcnt lgkmcnt(0)
	v_mul_f32_e32 v53, v53, v54
	global_load_ushort v54, v[48:49], off
	v_lshl_add_u64 v[48:49], v[48:49], 0, s[34:35]
	v_pk_add_f32 v[8:9], v[8:9], v[52:53]
	s_waitcnt vmcnt(0)
	v_cvt_f32_f16_e32 v54, v54
	v_sub_f32_e32 v55, v54, v55
	global_load_ushort v54, v[12:13], off
	v_lshl_add_u64 v[12:13], v[12:13], 0, s[34:35]
	s_waitcnt vmcnt(0)
	v_cvt_f32_f16_e32 v54, v54
	v_mul_f32_e32 v55, v55, v54
	v_mul_f32_e32 v55, v55, v56
	global_load_ushort v56, v[48:49], off
	v_lshl_add_u64 v[48:49], v[48:49], 0, s[34:35]
	v_pk_add_f32 v[8:9], v[8:9], v[54:55]
	ds_bpermute_b32 v55, v28, v47
	s_waitcnt vmcnt(0)
	v_cvt_f32_f16_e32 v56, v56
	v_sub_f32_e32 v57, v56, v57
	global_load_ushort v56, v[12:13], off
	v_lshl_add_u64 v[12:13], v[12:13], 0, s[34:35]
	s_waitcnt vmcnt(0)
	v_cvt_f32_f16_e32 v56, v56
	v_mul_f32_e32 v57, v57, v56
	v_mul_f32_e32 v57, v57, v58
	global_load_ushort v58, v[48:49], off
	v_lshl_add_u64 v[48:49], v[48:49], 0, s[34:35]
	v_pk_add_f32 v[8:9], v[8:9], v[56:57]
	ds_bpermute_b32 v56, v28, v46
	ds_bpermute_b32 v57, v29, v47
	s_waitcnt vmcnt(0)
	v_cvt_f32_f16_e32 v58, v58
	v_sub_f32_e32 v59, v58, v59
	global_load_ushort v58, v[12:13], off
	v_lshl_add_u64 v[12:13], v[12:13], 0, s[34:35]
	s_waitcnt vmcnt(0)
	v_cvt_f32_f16_e32 v58, v58
	v_mul_f32_e32 v59, v59, v58
	v_mul_f32_e32 v59, v59, v60
	global_load_ushort v60, v[48:49], off
	v_lshl_add_u64 v[48:49], v[48:49], 0, s[34:35]
	v_pk_add_f32 v[8:9], v[8:9], v[58:59]
	ds_bpermute_b32 v58, v29, v46
	;; [unrolled: 14-line block ×4, first 2 shown]
	ds_bpermute_b32 v63, v32, v47
	s_waitcnt vmcnt(0)
	v_cvt_f32_f16_e32 v64, v64
	v_sub_f32_e32 v65, v64, v65
	global_load_ushort v64, v[12:13], off
	v_lshl_add_u64 v[12:13], v[12:13], 0, s[34:35]
	s_waitcnt vmcnt(0)
	v_cvt_f32_f16_e32 v64, v64
	v_mul_f32_e32 v65, v65, v64
	v_mul_f32_e32 v65, v65, v66
	global_load_ushort v66, v[48:49], off
	v_lshl_add_u64 v[48:49], v[48:49], 0, s[34:35]
	v_lshl_add_u64 v[10:11], v[48:49], 0, s[34:35]
	global_load_ushort v52, v[10:11], off
	v_lshl_add_u64 v[10:11], v[10:11], 0, s[34:35]
	global_load_ushort v54, v[10:11], off
	v_lshl_add_u64 v[50:51], v[10:11], 0, s[34:35]
	ds_bpermute_b32 v11, v25, v47
	v_pk_add_f32 v[8:9], v[8:9], v[64:65]
	ds_bpermute_b32 v64, v32, v46
	ds_bpermute_b32 v65, v33, v47
	s_waitcnt vmcnt(2)
	v_cvt_f32_f16_e32 v66, v66
	v_sub_f32_e32 v67, v66, v67
	global_load_ushort v66, v[12:13], off
	v_lshl_add_u64 v[12:13], v[12:13], 0, s[34:35]
	s_waitcnt vmcnt(0)
	v_cvt_f32_f16_e32 v66, v66
	v_mul_f32_e32 v67, v67, v66
	v_mul_f32_e32 v67, v67, v68
	global_load_ushort v68, v[48:49], off
	v_pk_add_f32 v[8:9], v[8:9], v[66:67]
	ds_bpermute_b32 v66, v33, v46
	ds_bpermute_b32 v67, v34, v47
	s_waitcnt vmcnt(0)
	v_cvt_f32_f16_e32 v68, v68
	v_sub_f32_e32 v69, v68, v69
	global_load_ushort v68, v[12:13], off
	v_lshl_add_u64 v[12:13], v[12:13], 0, s[34:35]
	global_load_ushort v53, v[12:13], off
	v_lshl_add_u64 v[48:49], v[12:13], 0, s[34:35]
	global_load_ushort v12, v[48:49], off
	v_cvt_f32_f16_e32 v13, v52
	ds_bpermute_b32 v52, v25, v46
	v_lshl_add_u64 v[48:49], v[48:49], 0, s[34:35]
	s_waitcnt lgkmcnt(5)
	v_sub_f32_e32 v11, v13, v11
	ds_bpermute_b32 v13, v26, v47
	s_waitcnt vmcnt(2)
	v_cvt_f32_f16_e32 v68, v68
	s_waitcnt vmcnt(1)
	v_cvt_f32_f16_e32 v10, v53
	v_cvt_f32_f16_e32 v53, v54
	s_waitcnt vmcnt(0)
	v_cvt_f32_f16_e32 v12, v12
	ds_bpermute_b32 v54, v27, v47
	v_mul_f32_e32 v11, v11, v10
	s_waitcnt lgkmcnt(2)
	v_mul_f32_e32 v11, v11, v52
	ds_bpermute_b32 v52, v26, v46
	s_waitcnt lgkmcnt(2)
	v_sub_f32_e32 v13, v53, v13
	global_load_ushort v53, v[50:51], off
	v_mul_f32_e32 v13, v13, v12
	v_lshl_add_u64 v[50:51], v[50:51], 0, s[34:35]
	s_waitcnt lgkmcnt(0)
	v_mul_f32_e32 v13, v13, v52
	global_load_ushort v52, v[48:49], off
	v_lshl_add_u64 v[48:49], v[48:49], 0, s[34:35]
	v_mul_f32_e32 v69, v69, v68
	v_mul_f32_e32 v69, v69, v70
	v_pk_add_f32 v[8:9], v[8:9], v[68:69]
	ds_bpermute_b32 v68, v34, v46
	v_pk_add_f32 v[8:9], v[8:9], v[10:11]
	ds_bpermute_b32 v69, v35, v47
	;; [unrolled: 2-line block ×3, first 2 shown]
	s_waitcnt vmcnt(1)
	v_cvt_f32_f16_e32 v53, v53
	v_sub_f32_e32 v53, v53, v54
	s_waitcnt vmcnt(0)
	v_cvt_f32_f16_e32 v52, v52
	ds_bpermute_b32 v54, v27, v46
	v_mul_f32_e32 v53, v53, v52
	s_waitcnt lgkmcnt(0)
	v_mul_f32_e32 v53, v53, v54
	global_load_ushort v54, v[50:51], off
	v_lshl_add_u64 v[50:51], v[50:51], 0, s[34:35]
	v_pk_add_f32 v[8:9], v[8:9], v[52:53]
	ds_bpermute_b32 v52, v36, v47
	ds_bpermute_b32 v53, v36, v46
	s_waitcnt vmcnt(0)
	v_cvt_f32_f16_e32 v54, v54
	v_sub_f32_e32 v55, v54, v55
	global_load_ushort v54, v[48:49], off
	v_lshl_add_u64 v[48:49], v[48:49], 0, s[34:35]
	s_waitcnt vmcnt(0)
	v_cvt_f32_f16_e32 v54, v54
	v_mul_f32_e32 v55, v55, v54
	v_mul_f32_e32 v55, v55, v56
	global_load_ushort v56, v[50:51], off
	v_lshl_add_u64 v[50:51], v[50:51], 0, s[34:35]
	v_pk_add_f32 v[8:9], v[8:9], v[54:55]
	ds_bpermute_b32 v55, v39, v47
	s_waitcnt vmcnt(0)
	v_cvt_f32_f16_e32 v56, v56
	v_sub_f32_e32 v57, v56, v57
	global_load_ushort v56, v[48:49], off
	v_lshl_add_u64 v[48:49], v[48:49], 0, s[34:35]
	s_waitcnt vmcnt(0)
	v_cvt_f32_f16_e32 v56, v56
	v_mul_f32_e32 v57, v57, v56
	v_mul_f32_e32 v57, v57, v58
	global_load_ushort v58, v[50:51], off
	v_lshl_add_u64 v[50:51], v[50:51], 0, s[34:35]
	v_pk_add_f32 v[8:9], v[8:9], v[56:57]
	ds_bpermute_b32 v56, v39, v46
	ds_bpermute_b32 v57, v40, v47
	s_waitcnt vmcnt(0)
	v_cvt_f32_f16_e32 v58, v58
	v_sub_f32_e32 v59, v58, v59
	global_load_ushort v58, v[48:49], off
	v_lshl_add_u64 v[48:49], v[48:49], 0, s[34:35]
	s_waitcnt vmcnt(0)
	v_cvt_f32_f16_e32 v58, v58
	v_mul_f32_e32 v59, v59, v58
	v_mul_f32_e32 v59, v59, v60
	global_load_ushort v60, v[50:51], off
	v_lshl_add_u64 v[50:51], v[50:51], 0, s[34:35]
	v_pk_add_f32 v[8:9], v[8:9], v[58:59]
	ds_bpermute_b32 v58, v40, v46
	ds_bpermute_b32 v59, v41, v47
	s_waitcnt vmcnt(0)
	v_cvt_f32_f16_e32 v60, v60
	v_sub_f32_e32 v61, v60, v61
	global_load_ushort v60, v[48:49], off
	v_lshl_add_u64 v[48:49], v[48:49], 0, s[34:35]
	s_waitcnt vmcnt(0)
	v_cvt_f32_f16_e32 v60, v60
	v_mul_f32_e32 v61, v61, v60
	v_mul_f32_e32 v61, v61, v62
	global_load_ushort v62, v[50:51], off
	v_lshl_add_u64 v[50:51], v[50:51], 0, s[34:35]
	v_pk_add_f32 v[8:9], v[8:9], v[60:61]
	ds_bpermute_b32 v60, v41, v46
	ds_bpermute_b32 v61, v42, v47
	s_waitcnt vmcnt(0)
	v_cvt_f32_f16_e32 v62, v62
	v_sub_f32_e32 v63, v62, v63
	global_load_ushort v62, v[48:49], off
	v_lshl_add_u64 v[48:49], v[48:49], 0, s[34:35]
	s_waitcnt vmcnt(0)
	v_cvt_f32_f16_e32 v62, v62
	v_mul_f32_e32 v63, v63, v62
	v_mul_f32_e32 v63, v63, v64
	global_load_ushort v64, v[50:51], off
	v_lshl_add_u64 v[50:51], v[50:51], 0, s[34:35]
	v_pk_add_f32 v[8:9], v[8:9], v[62:63]
	ds_bpermute_b32 v62, v42, v46
	ds_bpermute_b32 v63, v43, v47
	s_waitcnt vmcnt(0)
	v_cvt_f32_f16_e32 v64, v64
	v_sub_f32_e32 v65, v64, v65
	global_load_ushort v64, v[48:49], off
	v_lshl_add_u64 v[48:49], v[48:49], 0, s[34:35]
	s_waitcnt vmcnt(0)
	v_cvt_f32_f16_e32 v64, v64
	v_mul_f32_e32 v65, v65, v64
	v_mul_f32_e32 v65, v65, v66
	global_load_ushort v66, v[50:51], off
	v_lshl_add_u64 v[50:51], v[50:51], 0, s[34:35]
	v_lshl_add_u64 v[10:11], v[50:51], 0, s[34:35]
	v_pk_add_f32 v[8:9], v[8:9], v[64:65]
	ds_bpermute_b32 v64, v43, v46
	ds_bpermute_b32 v65, v44, v47
	s_waitcnt vmcnt(0)
	v_cvt_f32_f16_e32 v66, v66
	v_sub_f32_e32 v67, v66, v67
	global_load_ushort v66, v[48:49], off
	v_lshl_add_u64 v[48:49], v[48:49], 0, s[34:35]
	v_lshl_add_u64 v[12:13], v[48:49], 0, s[34:35]
	s_waitcnt vmcnt(0)
	v_cvt_f32_f16_e32 v66, v66
	v_mul_f32_e32 v67, v67, v66
	v_mul_f32_e32 v67, v67, v68
	global_load_ushort v68, v[50:51], off
	v_pk_add_f32 v[8:9], v[8:9], v[66:67]
	global_load_ushort v50, v[10:11], off
	v_lshl_add_u64 v[10:11], v[10:11], 0, s[34:35]
	ds_bpermute_b32 v66, v44, v46
	s_waitcnt vmcnt(1)
	v_cvt_f32_f16_e32 v68, v68
	s_waitcnt vmcnt(0)
	v_cvt_f32_f16_e32 v50, v50
	v_sub_f32_e32 v69, v68, v69
	global_load_ushort v68, v[48:49], off
	s_waitcnt lgkmcnt(13)
	v_sub_f32_e32 v50, v50, v52
	global_load_ushort v48, v[12:13], off
	global_load_ushort v49, v[10:11], off
	v_lshl_add_u64 v[12:13], v[12:13], 0, s[34:35]
	global_load_ushort v51, v[12:13], off
	ds_bpermute_b32 v52, v37, v47
	v_lshl_add_u64 v[10:11], v[10:11], 0, s[34:35]
	v_lshl_add_u64 v[12:13], v[12:13], 0, s[34:35]
	s_waitcnt vmcnt(3)
	v_cvt_f32_f16_e32 v68, v68
	s_waitcnt vmcnt(2)
	v_cvt_f32_f16_e32 v48, v48
	;; [unrolled: 2-line block ×3, first 2 shown]
	v_mul_f32_e32 v69, v69, v68
	v_mul_f32_e32 v69, v69, v70
	;; [unrolled: 1-line block ×3, first 2 shown]
	s_waitcnt vmcnt(0)
	v_cvt_f32_f16_e32 v50, v51
	s_waitcnt lgkmcnt(0)
	v_sub_f32_e32 v51, v54, v52
	ds_bpermute_b32 v52, v37, v46
	v_mul_f32_e32 v49, v49, v53
	global_load_ushort v53, v[10:11], off
	v_mul_f32_e32 v51, v51, v50
	ds_bpermute_b32 v54, v38, v47
	s_waitcnt lgkmcnt(1)
	v_mul_f32_e32 v51, v51, v52
	global_load_ushort v52, v[12:13], off
	v_lshl_add_u64 v[10:11], v[10:11], 0, s[34:35]
	v_lshl_add_u64 v[12:13], v[12:13], 0, s[34:35]
	v_pk_add_f32 v[8:9], v[8:9], v[68:69]
	s_waitcnt vmcnt(1)
	v_cvt_f32_f16_e32 v53, v53
	v_pk_add_f32 v[8:9], v[8:9], v[48:49]
	s_waitcnt lgkmcnt(0)
	v_sub_f32_e32 v53, v53, v54
	s_waitcnt vmcnt(0)
	v_cvt_f32_f16_e32 v52, v52
	ds_bpermute_b32 v54, v38, v46
	v_pk_add_f32 v[8:9], v[8:9], v[50:51]
	v_mul_f32_e32 v53, v53, v52
	s_waitcnt lgkmcnt(0)
	v_mul_f32_e32 v53, v53, v54
	global_load_ushort v54, v[10:11], off
	v_lshl_add_u64 v[10:11], v[10:11], 0, s[34:35]
	v_pk_add_f32 v[8:9], v[8:9], v[52:53]
	s_waitcnt vmcnt(0)
	v_cvt_f32_f16_e32 v54, v54
	v_sub_f32_e32 v55, v54, v55
	global_load_ushort v54, v[12:13], off
	v_lshl_add_u64 v[12:13], v[12:13], 0, s[34:35]
	s_waitcnt vmcnt(0)
	v_cvt_f32_f16_e32 v54, v54
	v_mul_f32_e32 v55, v55, v54
	v_mul_f32_e32 v55, v55, v56
	global_load_ushort v56, v[10:11], off
	v_lshl_add_u64 v[10:11], v[10:11], 0, s[34:35]
	v_pk_add_f32 v[8:9], v[8:9], v[54:55]
	s_waitcnt vmcnt(0)
	v_cvt_f32_f16_e32 v56, v56
	v_sub_f32_e32 v57, v56, v57
	global_load_ushort v56, v[12:13], off
	v_lshl_add_u64 v[12:13], v[12:13], 0, s[34:35]
	s_waitcnt vmcnt(0)
	v_cvt_f32_f16_e32 v56, v56
	v_mul_f32_e32 v57, v57, v56
	;; [unrolled: 12-line block ×5, first 2 shown]
	v_mul_f32_e32 v63, v63, v64
	global_load_ushort v64, v[10:11], off
	v_lshl_add_u64 v[10:11], v[10:11], 0, s[34:35]
	global_load_ushort v11, v[10:11], off
	v_pk_add_f32 v[8:9], v[8:9], v[62:63]
	s_waitcnt vmcnt(1)
	v_cvt_f32_f16_e32 v64, v64
	s_waitcnt vmcnt(0)
	v_cvt_f32_f16_e32 v11, v11
	v_sub_f32_e32 v65, v64, v65
	global_load_ushort v64, v[12:13], off
	v_lshl_add_u64 v[12:13], v[12:13], 0, s[34:35]
	global_load_ushort v12, v[12:13], off
	ds_bpermute_b32 v13, v45, v46
	s_waitcnt vmcnt(1)
	v_cvt_f32_f16_e32 v64, v64
	s_waitcnt vmcnt(0)
	v_cvt_f32_f16_e32 v10, v12
	ds_bpermute_b32 v12, v45, v47
	v_mul_f32_e32 v65, v65, v64
	v_mul_f32_e32 v65, v65, v66
	v_pk_add_f32 v[8:9], v[8:9], v[64:65]
	s_waitcnt lgkmcnt(0)
	v_sub_f32_e32 v11, v11, v12
	v_mul_f32_e32 v11, v11, v10
	v_mul_f32_e32 v11, v11, v13
	v_pk_add_f32 v[8:9], v[8:9], v[10:11]
	v_mov_b64_e32 v[10:11], s[16:17]
	v_cmp_lt_i64_e32 vcc, s[6:7], v[10:11]
	s_cbranch_vccz .LBB73_10
.LBB73_7:                               ; =>This Inner Loop Header: Depth=1
	v_mov_b32_e32 v46, 0
	v_mov_b32_e32 v47, 0
	s_and_saveexec_b64 s[36:37], s[0:1]
	s_cbranch_execz .LBB73_6
; %bb.8:                                ;   in Loop: Header=BB73_7 Depth=1
	v_cmp_gt_i64_e32 vcc, s[16:17], v[2:3]
	v_mov_b32_e32 v47, 0
	v_mov_b32_e32 v46, 0
	s_and_saveexec_b64 s[38:39], vcc
	s_cbranch_execz .LBB73_5
; %bb.9:                                ;   in Loop: Header=BB73_7 Depth=1
	v_lshl_add_u64 v[12:13], s[12:13], 0, v[4:5]
	v_lshl_add_u64 v[10:11], s[14:15], 0, v[4:5]
	global_load_dword v47, v[12:13], off
	global_load_dword v46, v[10:11], off
	s_branch .LBB73_5
.LBB73_10:
	v_cvt_pk_f16_f32 v6, v8, v9
	v_mov_b32_e32 v2, v1
.LBB73_11:
	s_load_dword s5, s[24:25], 0xc
	s_mov_b32 s3, 0
	v_mov_b32_e32 v1, 0
	s_lshl_b64 s[0:1], s[2:3], 6
	v_lshl_add_u64 v[4:5], s[0:1], 0, v[0:1]
	s_waitcnt lgkmcnt(0)
	s_lshr_b32 s0, s5, 16
	v_mov_b32_e32 v3, v1
	v_mov_b32_e32 v0, s4
	v_mad_u64_u32 v[0:1], s[0:1], s0, v0, v[2:3]
	s_cmp_eq_u64 s[20:21], 0
	v_mul_lo_u32 v1, v1, s18
	v_mul_lo_u32 v2, v0, s19
	s_cbranch_scc1 .LBB73_13
; %bb.12:
	v_mad_u64_u32 v[8:9], s[0:1], v0, s18, 0
	v_add3_u32 v9, v9, v2, v1
	v_lshl_add_u64 v[8:9], v[8:9], 1, s[20:21]
	v_lshl_add_u64 v[8:9], v[4:5], 1, v[8:9]
	global_store_short_d16_hi v[8:9], v6, off
.LBB73_13:
	s_cmp_eq_u64 s[22:23], 0
	s_cbranch_scc1 .LBB73_15
; %bb.14:
	v_mad_u64_u32 v[8:9], s[0:1], v0, s18, 0
	v_add3_u32 v9, v9, v2, v1
	v_lshl_add_u64 v[0:1], v[8:9], 1, s[22:23]
	v_lshl_add_u64 v[0:1], v[4:5], 1, v[0:1]
	global_store_short v[0:1], v6, off
.LBB73_15:
	s_endpgm
	.section	.rodata,"a",@progbits
	.p2align	6, 0x0
	.amdhsa_kernel _ZN2at6native12_GLOBAL__N_135GammaBetaBackwardCUDAKernelTemplateIN3c104HalfEfLj64ELj1ELj32ELb1ELb1ELb0EEEvllPKT_S7_PKT0_SA_PS5_SB_
		.amdhsa_group_segment_fixed_size 0
		.amdhsa_private_segment_fixed_size 0
		.amdhsa_kernarg_size 320
		.amdhsa_user_sgpr_count 2
		.amdhsa_user_sgpr_dispatch_ptr 0
		.amdhsa_user_sgpr_queue_ptr 0
		.amdhsa_user_sgpr_kernarg_segment_ptr 1
		.amdhsa_user_sgpr_dispatch_id 0
		.amdhsa_user_sgpr_kernarg_preload_length 0
		.amdhsa_user_sgpr_kernarg_preload_offset 0
		.amdhsa_user_sgpr_private_segment_size 0
		.amdhsa_uses_dynamic_stack 0
		.amdhsa_enable_private_segment 0
		.amdhsa_system_sgpr_workgroup_id_x 1
		.amdhsa_system_sgpr_workgroup_id_y 1
		.amdhsa_system_sgpr_workgroup_id_z 0
		.amdhsa_system_sgpr_workgroup_info 0
		.amdhsa_system_vgpr_workitem_id 1
		.amdhsa_next_free_vgpr 71
		.amdhsa_next_free_sgpr 40
		.amdhsa_accum_offset 72
		.amdhsa_reserve_vcc 1
		.amdhsa_float_round_mode_32 0
		.amdhsa_float_round_mode_16_64 0
		.amdhsa_float_denorm_mode_32 3
		.amdhsa_float_denorm_mode_16_64 3
		.amdhsa_dx10_clamp 1
		.amdhsa_ieee_mode 1
		.amdhsa_fp16_overflow 0
		.amdhsa_tg_split 0
		.amdhsa_exception_fp_ieee_invalid_op 0
		.amdhsa_exception_fp_denorm_src 0
		.amdhsa_exception_fp_ieee_div_zero 0
		.amdhsa_exception_fp_ieee_overflow 0
		.amdhsa_exception_fp_ieee_underflow 0
		.amdhsa_exception_fp_ieee_inexact 0
		.amdhsa_exception_int_div_zero 0
	.end_amdhsa_kernel
	.section	.text._ZN2at6native12_GLOBAL__N_135GammaBetaBackwardCUDAKernelTemplateIN3c104HalfEfLj64ELj1ELj32ELb1ELb1ELb0EEEvllPKT_S7_PKT0_SA_PS5_SB_,"axG",@progbits,_ZN2at6native12_GLOBAL__N_135GammaBetaBackwardCUDAKernelTemplateIN3c104HalfEfLj64ELj1ELj32ELb1ELb1ELb0EEEvllPKT_S7_PKT0_SA_PS5_SB_,comdat
.Lfunc_end73:
	.size	_ZN2at6native12_GLOBAL__N_135GammaBetaBackwardCUDAKernelTemplateIN3c104HalfEfLj64ELj1ELj32ELb1ELb1ELb0EEEvllPKT_S7_PKT0_SA_PS5_SB_, .Lfunc_end73-_ZN2at6native12_GLOBAL__N_135GammaBetaBackwardCUDAKernelTemplateIN3c104HalfEfLj64ELj1ELj32ELb1ELb1ELb0EEEvllPKT_S7_PKT0_SA_PS5_SB_
                                        ; -- End function
	.set _ZN2at6native12_GLOBAL__N_135GammaBetaBackwardCUDAKernelTemplateIN3c104HalfEfLj64ELj1ELj32ELb1ELb1ELb0EEEvllPKT_S7_PKT0_SA_PS5_SB_.num_vgpr, 71
	.set _ZN2at6native12_GLOBAL__N_135GammaBetaBackwardCUDAKernelTemplateIN3c104HalfEfLj64ELj1ELj32ELb1ELb1ELb0EEEvllPKT_S7_PKT0_SA_PS5_SB_.num_agpr, 0
	.set _ZN2at6native12_GLOBAL__N_135GammaBetaBackwardCUDAKernelTemplateIN3c104HalfEfLj64ELj1ELj32ELb1ELb1ELb0EEEvllPKT_S7_PKT0_SA_PS5_SB_.numbered_sgpr, 40
	.set _ZN2at6native12_GLOBAL__N_135GammaBetaBackwardCUDAKernelTemplateIN3c104HalfEfLj64ELj1ELj32ELb1ELb1ELb0EEEvllPKT_S7_PKT0_SA_PS5_SB_.num_named_barrier, 0
	.set _ZN2at6native12_GLOBAL__N_135GammaBetaBackwardCUDAKernelTemplateIN3c104HalfEfLj64ELj1ELj32ELb1ELb1ELb0EEEvllPKT_S7_PKT0_SA_PS5_SB_.private_seg_size, 0
	.set _ZN2at6native12_GLOBAL__N_135GammaBetaBackwardCUDAKernelTemplateIN3c104HalfEfLj64ELj1ELj32ELb1ELb1ELb0EEEvllPKT_S7_PKT0_SA_PS5_SB_.uses_vcc, 1
	.set _ZN2at6native12_GLOBAL__N_135GammaBetaBackwardCUDAKernelTemplateIN3c104HalfEfLj64ELj1ELj32ELb1ELb1ELb0EEEvllPKT_S7_PKT0_SA_PS5_SB_.uses_flat_scratch, 0
	.set _ZN2at6native12_GLOBAL__N_135GammaBetaBackwardCUDAKernelTemplateIN3c104HalfEfLj64ELj1ELj32ELb1ELb1ELb0EEEvllPKT_S7_PKT0_SA_PS5_SB_.has_dyn_sized_stack, 0
	.set _ZN2at6native12_GLOBAL__N_135GammaBetaBackwardCUDAKernelTemplateIN3c104HalfEfLj64ELj1ELj32ELb1ELb1ELb0EEEvllPKT_S7_PKT0_SA_PS5_SB_.has_recursion, 0
	.set _ZN2at6native12_GLOBAL__N_135GammaBetaBackwardCUDAKernelTemplateIN3c104HalfEfLj64ELj1ELj32ELb1ELb1ELb0EEEvllPKT_S7_PKT0_SA_PS5_SB_.has_indirect_call, 0
	.section	.AMDGPU.csdata,"",@progbits
; Kernel info:
; codeLenInByte = 3572
; TotalNumSgprs: 46
; NumVgprs: 71
; NumAgprs: 0
; TotalNumVgprs: 71
; ScratchSize: 0
; MemoryBound: 0
; FloatMode: 240
; IeeeMode: 1
; LDSByteSize: 0 bytes/workgroup (compile time only)
; SGPRBlocks: 5
; VGPRBlocks: 8
; NumSGPRsForWavesPerEU: 46
; NumVGPRsForWavesPerEU: 71
; AccumOffset: 72
; Occupancy: 7
; WaveLimiterHint : 0
; COMPUTE_PGM_RSRC2:SCRATCH_EN: 0
; COMPUTE_PGM_RSRC2:USER_SGPR: 2
; COMPUTE_PGM_RSRC2:TRAP_HANDLER: 0
; COMPUTE_PGM_RSRC2:TGID_X_EN: 1
; COMPUTE_PGM_RSRC2:TGID_Y_EN: 1
; COMPUTE_PGM_RSRC2:TGID_Z_EN: 0
; COMPUTE_PGM_RSRC2:TIDIG_COMP_CNT: 1
; COMPUTE_PGM_RSRC3_GFX90A:ACCUM_OFFSET: 17
; COMPUTE_PGM_RSRC3_GFX90A:TG_SPLIT: 0
	.section	.text._ZN2at6native12_GLOBAL__N_135GammaBetaBackwardCUDAKernelTemplateIN3c104HalfEfLj64ELj1ELj32ELb1ELb0ELb0EEEvllPKT_S7_PKT0_SA_PS5_SB_,"axG",@progbits,_ZN2at6native12_GLOBAL__N_135GammaBetaBackwardCUDAKernelTemplateIN3c104HalfEfLj64ELj1ELj32ELb1ELb0ELb0EEEvllPKT_S7_PKT0_SA_PS5_SB_,comdat
	.globl	_ZN2at6native12_GLOBAL__N_135GammaBetaBackwardCUDAKernelTemplateIN3c104HalfEfLj64ELj1ELj32ELb1ELb0ELb0EEEvllPKT_S7_PKT0_SA_PS5_SB_ ; -- Begin function _ZN2at6native12_GLOBAL__N_135GammaBetaBackwardCUDAKernelTemplateIN3c104HalfEfLj64ELj1ELj32ELb1ELb0ELb0EEEvllPKT_S7_PKT0_SA_PS5_SB_
	.p2align	8
	.type	_ZN2at6native12_GLOBAL__N_135GammaBetaBackwardCUDAKernelTemplateIN3c104HalfEfLj64ELj1ELj32ELb1ELb0ELb0EEEvllPKT_S7_PKT0_SA_PS5_SB_,@function
_ZN2at6native12_GLOBAL__N_135GammaBetaBackwardCUDAKernelTemplateIN3c104HalfEfLj64ELj1ELj32ELb1ELb0ELb0EEEvllPKT_S7_PKT0_SA_PS5_SB_: ; @_ZN2at6native12_GLOBAL__N_135GammaBetaBackwardCUDAKernelTemplateIN3c104HalfEfLj64ELj1ELj32ELb1ELb0ELb0EEEvllPKT_S7_PKT0_SA_PS5_SB_
; %bb.0:
	s_load_dwordx8 s[12:19], s[0:1], 0x0
	s_load_dwordx4 s[20:23], s[0:1], 0x20
	s_mov_b32 s8, s3
	s_lshl_b32 s3, s2, 6
	s_or_b32 s4, s3, 63
	s_mov_b32 s11, 0
	v_mov_b32_e32 v2, s4
	v_mov_b32_e32 v3, 0
	s_lshl_b32 s10, s8, 5
	s_waitcnt lgkmcnt(0)
	v_cmp_le_i64_e32 vcc, s[14:15], v[2:3]
	v_mov_b64_e32 v[2:3], s[10:11]
	v_cmp_gt_i64_e64 s[4:5], s[12:13], v[2:3]
	s_nop 1
	v_cndmask_b32_e64 v1, 0, 1, s[4:5]
	v_cmp_ne_u32_e64 s[4:5], 1, v1
	s_cbranch_vccz .LBB74_144
; %bb.1:
	s_and_b64 vcc, exec, s[4:5]
	s_cbranch_vccnz .LBB74_145
; %bb.2:
	v_and_b32_e32 v172, 0x3ff, v0
	v_mov_b32_e32 v2, 0
	v_bfe_u32 v173, v0, 10, 10
	v_add_u32_e32 v4, s3, v172
	v_mov_b32_e32 v5, v2
	v_lshlrev_b32_e32 v222, 5, v173
	v_mov_b32_e32 v223, v2
	v_cmp_gt_i64_e64 s[6:7], s[14:15], v[4:5]
	v_lshlrev_b64 v[36:37], 1, v[4:5]
	v_lshl_add_u64 v[4:5], v[222:223], 0, s[10:11]
	v_mul_lo_u32 v3, s15, v4
	v_mul_lo_u32 v8, s14, v5
	v_mad_u64_u32 v[6:7], s[28:29], s14, v4, 0
	v_add3_u32 v7, v7, v8, v3
	v_lshlrev_b64 v[6:7], 1, v[6:7]
	v_lshl_add_u64 v[38:39], s[16:17], 0, v[6:7]
	v_lshl_add_u64 v[40:41], s[18:19], 0, v[6:7]
	v_lshl_add_u64 v[6:7], v[4:5], 0, 31
	v_mul_lo_u32 v9, s15, v6
	v_mul_lo_u32 v10, s14, v7
	v_mad_u64_u32 v[6:7], s[34:35], s14, v6, 0
	v_add3_u32 v7, v7, v10, v9
	v_lshlrev_b64 v[6:7], 1, v[6:7]
	v_lshl_add_u64 v[42:43], s[16:17], 0, v[6:7]
	v_lshl_add_u64 v[44:45], s[18:19], 0, v[6:7]
	v_lshl_add_u64 v[6:7], v[4:5], 0, 30
	v_mul_lo_u32 v9, s15, v6
	v_mul_lo_u32 v10, s14, v7
	v_mad_u64_u32 v[6:7], s[34:35], s14, v6, 0
	v_add3_u32 v7, v7, v10, v9
	v_lshlrev_b64 v[6:7], 1, v[6:7]
	v_lshl_add_u64 v[46:47], s[16:17], 0, v[6:7]
	v_lshl_add_u64 v[48:49], s[18:19], 0, v[6:7]
	v_lshl_add_u64 v[6:7], v[4:5], 0, 29
	v_mul_lo_u32 v9, s15, v6
	v_mul_lo_u32 v10, s14, v7
	v_mad_u64_u32 v[6:7], s[34:35], s14, v6, 0
	v_add3_u32 v7, v7, v10, v9
	v_lshlrev_b64 v[6:7], 1, v[6:7]
	v_lshl_add_u64 v[50:51], s[16:17], 0, v[6:7]
	v_lshl_add_u64 v[52:53], s[18:19], 0, v[6:7]
	v_lshl_add_u64 v[6:7], v[4:5], 0, 28
	v_mul_lo_u32 v9, s15, v6
	v_mul_lo_u32 v10, s14, v7
	v_mad_u64_u32 v[6:7], s[34:35], s14, v6, 0
	v_add3_u32 v7, v7, v10, v9
	v_lshlrev_b64 v[6:7], 1, v[6:7]
	v_lshl_add_u64 v[54:55], s[16:17], 0, v[6:7]
	v_lshl_add_u64 v[56:57], s[18:19], 0, v[6:7]
	v_lshl_add_u64 v[6:7], v[4:5], 0, 27
	v_mul_lo_u32 v9, s15, v6
	v_mul_lo_u32 v10, s14, v7
	v_mad_u64_u32 v[6:7], s[34:35], s14, v6, 0
	v_add3_u32 v7, v7, v10, v9
	v_lshlrev_b64 v[6:7], 1, v[6:7]
	v_lshl_add_u64 v[58:59], s[16:17], 0, v[6:7]
	v_lshl_add_u64 v[60:61], s[18:19], 0, v[6:7]
	v_lshl_add_u64 v[6:7], v[4:5], 0, 26
	v_mul_lo_u32 v9, s15, v6
	v_mul_lo_u32 v10, s14, v7
	v_mad_u64_u32 v[6:7], s[34:35], s14, v6, 0
	v_add3_u32 v7, v7, v10, v9
	v_lshlrev_b64 v[6:7], 1, v[6:7]
	v_lshl_add_u64 v[62:63], s[16:17], 0, v[6:7]
	v_lshl_add_u64 v[64:65], s[18:19], 0, v[6:7]
	v_lshl_add_u64 v[6:7], v[4:5], 0, 25
	v_mul_lo_u32 v9, s15, v6
	v_mul_lo_u32 v10, s14, v7
	v_mad_u64_u32 v[6:7], s[34:35], s14, v6, 0
	v_add3_u32 v7, v7, v10, v9
	v_lshlrev_b64 v[6:7], 1, v[6:7]
	v_lshl_add_u64 v[66:67], s[16:17], 0, v[6:7]
	v_lshl_add_u64 v[68:69], s[18:19], 0, v[6:7]
	v_lshl_add_u64 v[6:7], v[4:5], 0, 24
	v_mul_lo_u32 v9, s15, v6
	v_mul_lo_u32 v10, s14, v7
	v_mad_u64_u32 v[6:7], s[34:35], s14, v6, 0
	v_add3_u32 v7, v7, v10, v9
	v_lshlrev_b64 v[6:7], 1, v[6:7]
	v_lshl_add_u64 v[70:71], s[16:17], 0, v[6:7]
	v_lshl_add_u64 v[72:73], s[18:19], 0, v[6:7]
	v_lshl_add_u64 v[6:7], v[4:5], 0, 23
	v_mul_lo_u32 v9, s15, v6
	v_mul_lo_u32 v10, s14, v7
	v_mad_u64_u32 v[6:7], s[34:35], s14, v6, 0
	v_add3_u32 v7, v7, v10, v9
	v_lshlrev_b64 v[6:7], 1, v[6:7]
	v_lshl_add_u64 v[74:75], s[16:17], 0, v[6:7]
	v_lshl_add_u64 v[76:77], s[18:19], 0, v[6:7]
	v_lshl_add_u64 v[6:7], v[4:5], 0, 22
	v_mul_lo_u32 v9, s15, v6
	v_mul_lo_u32 v10, s14, v7
	v_mad_u64_u32 v[6:7], s[34:35], s14, v6, 0
	v_add3_u32 v7, v7, v10, v9
	v_lshlrev_b64 v[6:7], 1, v[6:7]
	v_lshl_add_u64 v[78:79], s[16:17], 0, v[6:7]
	v_lshl_add_u64 v[80:81], s[18:19], 0, v[6:7]
	v_lshl_add_u64 v[6:7], v[4:5], 0, 21
	v_mul_lo_u32 v9, s15, v6
	v_mul_lo_u32 v10, s14, v7
	v_mad_u64_u32 v[6:7], s[34:35], s14, v6, 0
	v_add3_u32 v7, v7, v10, v9
	v_lshlrev_b64 v[6:7], 1, v[6:7]
	v_lshl_add_u64 v[82:83], s[16:17], 0, v[6:7]
	v_lshl_add_u64 v[84:85], s[18:19], 0, v[6:7]
	v_lshl_add_u64 v[6:7], v[4:5], 0, 20
	v_mul_lo_u32 v9, s15, v6
	v_mul_lo_u32 v10, s14, v7
	v_mad_u64_u32 v[6:7], s[34:35], s14, v6, 0
	v_add3_u32 v7, v7, v10, v9
	v_lshlrev_b64 v[6:7], 1, v[6:7]
	v_lshl_add_u64 v[86:87], s[16:17], 0, v[6:7]
	v_lshl_add_u64 v[88:89], s[18:19], 0, v[6:7]
	v_lshl_add_u64 v[6:7], v[4:5], 0, 19
	v_mul_lo_u32 v9, s15, v6
	v_mul_lo_u32 v10, s14, v7
	v_mad_u64_u32 v[6:7], s[34:35], s14, v6, 0
	v_add3_u32 v7, v7, v10, v9
	v_lshlrev_b64 v[6:7], 1, v[6:7]
	v_lshl_add_u64 v[90:91], s[16:17], 0, v[6:7]
	v_lshl_add_u64 v[92:93], s[18:19], 0, v[6:7]
	v_lshl_add_u64 v[6:7], v[4:5], 0, 18
	v_mul_lo_u32 v9, s15, v6
	v_mul_lo_u32 v10, s14, v7
	v_mad_u64_u32 v[6:7], s[34:35], s14, v6, 0
	v_add3_u32 v7, v7, v10, v9
	v_lshlrev_b64 v[6:7], 1, v[6:7]
	v_lshl_add_u64 v[94:95], s[16:17], 0, v[6:7]
	v_lshl_add_u64 v[96:97], s[18:19], 0, v[6:7]
	v_lshl_add_u64 v[6:7], v[4:5], 0, 17
	v_mul_lo_u32 v9, s15, v6
	v_mul_lo_u32 v10, s14, v7
	v_mad_u64_u32 v[6:7], s[34:35], s14, v6, 0
	v_add3_u32 v7, v7, v10, v9
	v_lshlrev_b64 v[6:7], 1, v[6:7]
	v_lshl_add_u64 v[98:99], s[16:17], 0, v[6:7]
	v_lshl_add_u64 v[100:101], s[18:19], 0, v[6:7]
	v_lshl_add_u64 v[6:7], v[4:5], 0, 16
	v_mul_lo_u32 v9, s15, v6
	v_mul_lo_u32 v10, s14, v7
	v_mad_u64_u32 v[6:7], s[34:35], s14, v6, 0
	v_add3_u32 v7, v7, v10, v9
	v_lshlrev_b64 v[6:7], 1, v[6:7]
	v_lshl_add_u64 v[102:103], s[16:17], 0, v[6:7]
	v_lshl_add_u64 v[104:105], s[18:19], 0, v[6:7]
	v_lshl_add_u64 v[6:7], v[4:5], 0, 15
	v_mul_lo_u32 v9, s15, v6
	v_mul_lo_u32 v10, s14, v7
	v_mad_u64_u32 v[6:7], s[34:35], s14, v6, 0
	v_add3_u32 v7, v7, v10, v9
	v_lshlrev_b64 v[6:7], 1, v[6:7]
	v_lshl_add_u64 v[108:109], s[16:17], 0, v[6:7]
	v_lshl_add_u64 v[110:111], s[18:19], 0, v[6:7]
	v_lshl_add_u64 v[6:7], v[4:5], 0, 14
	v_mul_lo_u32 v9, s15, v6
	v_mul_lo_u32 v10, s14, v7
	v_mad_u64_u32 v[6:7], s[34:35], s14, v6, 0
	v_add3_u32 v7, v7, v10, v9
	v_lshlrev_b64 v[6:7], 1, v[6:7]
	v_lshl_add_u64 v[112:113], s[16:17], 0, v[6:7]
	v_lshl_add_u64 v[114:115], s[18:19], 0, v[6:7]
	v_lshl_add_u64 v[6:7], v[4:5], 0, 13
	v_mul_lo_u32 v9, s15, v6
	v_mul_lo_u32 v10, s14, v7
	v_mad_u64_u32 v[6:7], s[34:35], s14, v6, 0
	v_add3_u32 v7, v7, v10, v9
	v_lshlrev_b64 v[6:7], 1, v[6:7]
	v_lshl_add_u64 v[116:117], s[16:17], 0, v[6:7]
	v_lshl_add_u64 v[118:119], s[18:19], 0, v[6:7]
	v_lshl_add_u64 v[6:7], v[4:5], 0, 12
	v_mul_lo_u32 v9, s15, v6
	v_mul_lo_u32 v10, s14, v7
	v_mad_u64_u32 v[6:7], s[34:35], s14, v6, 0
	v_add3_u32 v7, v7, v10, v9
	v_lshlrev_b64 v[6:7], 1, v[6:7]
	v_lshl_add_u64 v[120:121], s[16:17], 0, v[6:7]
	v_lshl_add_u64 v[122:123], s[18:19], 0, v[6:7]
	v_lshl_add_u64 v[6:7], v[4:5], 0, 11
	v_mul_lo_u32 v9, s15, v6
	v_mul_lo_u32 v10, s14, v7
	v_mad_u64_u32 v[6:7], s[34:35], s14, v6, 0
	v_add3_u32 v7, v7, v10, v9
	v_lshlrev_b64 v[6:7], 1, v[6:7]
	v_lshl_add_u64 v[124:125], s[16:17], 0, v[6:7]
	v_lshl_add_u64 v[126:127], s[18:19], 0, v[6:7]
	v_lshl_add_u64 v[6:7], v[4:5], 0, 10
	v_mul_lo_u32 v9, s15, v6
	v_mul_lo_u32 v10, s14, v7
	v_mad_u64_u32 v[6:7], s[34:35], s14, v6, 0
	v_add3_u32 v7, v7, v10, v9
	v_lshlrev_b64 v[6:7], 1, v[6:7]
	v_lshl_add_u64 v[128:129], s[16:17], 0, v[6:7]
	v_lshl_add_u64 v[130:131], s[18:19], 0, v[6:7]
	v_lshl_add_u64 v[6:7], v[4:5], 0, 9
	v_mul_lo_u32 v9, s15, v6
	v_mul_lo_u32 v10, s14, v7
	v_mad_u64_u32 v[6:7], s[34:35], s14, v6, 0
	v_add3_u32 v7, v7, v10, v9
	v_lshlrev_b64 v[6:7], 1, v[6:7]
	v_lshl_add_u64 v[132:133], s[16:17], 0, v[6:7]
	v_lshl_add_u64 v[134:135], s[18:19], 0, v[6:7]
	v_lshl_add_u64 v[6:7], v[4:5], 0, 8
	v_mul_lo_u32 v9, s15, v6
	v_mul_lo_u32 v10, s14, v7
	v_mad_u64_u32 v[6:7], s[34:35], s14, v6, 0
	v_add3_u32 v7, v7, v10, v9
	v_lshlrev_b64 v[6:7], 1, v[6:7]
	v_lshl_add_u64 v[136:137], s[16:17], 0, v[6:7]
	v_lshl_add_u64 v[138:139], s[18:19], 0, v[6:7]
	v_lshl_add_u64 v[6:7], v[4:5], 0, 7
	v_mul_lo_u32 v9, s15, v6
	v_mul_lo_u32 v10, s14, v7
	v_mad_u64_u32 v[6:7], s[34:35], s14, v6, 0
	v_add3_u32 v7, v7, v10, v9
	v_lshlrev_b64 v[6:7], 1, v[6:7]
	v_lshl_add_u64 v[140:141], s[16:17], 0, v[6:7]
	v_lshl_add_u64 v[142:143], s[18:19], 0, v[6:7]
	v_lshl_add_u64 v[6:7], v[4:5], 0, 6
	v_mul_lo_u32 v9, s15, v6
	v_mul_lo_u32 v10, s14, v7
	v_mad_u64_u32 v[6:7], s[34:35], s14, v6, 0
	v_add3_u32 v7, v7, v10, v9
	v_lshlrev_b64 v[6:7], 1, v[6:7]
	v_lshl_add_u64 v[144:145], s[16:17], 0, v[6:7]
	v_lshl_add_u64 v[146:147], s[18:19], 0, v[6:7]
	v_lshl_add_u64 v[6:7], v[4:5], 0, 5
	v_mul_lo_u32 v9, s15, v6
	v_mul_lo_u32 v10, s14, v7
	v_mad_u64_u32 v[6:7], s[34:35], s14, v6, 0
	v_add3_u32 v7, v7, v10, v9
	v_lshlrev_b64 v[6:7], 1, v[6:7]
	v_lshl_add_u64 v[148:149], s[16:17], 0, v[6:7]
	v_lshl_add_u64 v[150:151], s[18:19], 0, v[6:7]
	v_lshl_add_u64 v[6:7], v[4:5], 0, 4
	v_mul_lo_u32 v9, s15, v6
	v_mul_lo_u32 v10, s14, v7
	v_mad_u64_u32 v[6:7], s[34:35], s14, v6, 0
	v_add3_u32 v7, v7, v10, v9
	v_lshlrev_b64 v[6:7], 1, v[6:7]
	v_lshl_add_u64 v[152:153], s[16:17], 0, v[6:7]
	v_lshl_add_u64 v[154:155], s[18:19], 0, v[6:7]
	v_lshl_add_u64 v[6:7], v[4:5], 0, 3
	v_mul_lo_u32 v9, s15, v6
	v_mul_lo_u32 v10, s14, v7
	v_mad_u64_u32 v[6:7], s[34:35], s14, v6, 0
	v_add3_u32 v7, v7, v10, v9
	v_lshlrev_b64 v[6:7], 1, v[6:7]
	v_lshl_add_u64 v[156:157], s[16:17], 0, v[6:7]
	v_lshl_add_u64 v[158:159], s[18:19], 0, v[6:7]
	v_lshl_add_u64 v[6:7], v[4:5], 0, 2
	s_load_dword s9, s[0:1], 0x44
	v_mul_lo_u32 v5, s15, v6
	v_mul_lo_u32 v9, s14, v7
	v_mad_u64_u32 v[6:7], s[34:35], s14, v6, 0
	v_add3_u32 v7, v7, v9, v5
	v_lshlrev_b64 v[6:7], 1, v[6:7]
	v_lshl_add_u64 v[160:161], s[16:17], 0, v[6:7]
	v_lshl_add_u64 v[162:163], s[18:19], 0, v[6:7]
	v_mov_b64_e32 v[6:7], s[14:15]
	s_add_u32 s24, s0, 64
	v_mad_u64_u32 v[4:5], s[34:35], s14, v4, v[6:7]
	s_addc_u32 s25, s1, 0
	s_waitcnt lgkmcnt(0)
	s_lshl_b32 s26, s9, 5
	v_add3_u32 v5, v3, v5, v8
	v_mbcnt_lo_u32_b32 v3, -1, 0
	s_mul_i32 s9, s15, s26
	s_mul_hi_u32 s28, s14, s26
	v_mbcnt_hi_u32_b32 v3, -1, v3
	s_add_i32 s29, s28, s9
	s_mul_i32 s28, s14, s26
	v_lshlrev_b64 v[4:5], 1, v[4:5]
	v_lshlrev_b32_e32 v3, 2, v3
	s_mov_b32 s27, s11
	s_lshl_b64 s[28:29], s[28:29], 1
	s_mov_b64 s[30:31], 31
	v_lshl_add_u64 v[164:165], s[16:17], 0, v[4:5]
	v_lshl_add_u64 v[166:167], s[18:19], 0, v[4:5]
	v_and_b32_e32 v174, 0x100, v3
	v_mov_b32_e32 v168, 0
	v_mov_b32_e32 v169, v2
	s_mov_b64 s[34:35], s[10:11]
	s_branch .LBB74_5
.LBB74_3:                               ;   in Loop: Header=BB74_5 Depth=1
	s_or_b64 exec, exec, s[36:37]
	s_waitcnt vmcnt(1)
	ds_bpermute_b32 v204, v174, v171
	s_waitcnt vmcnt(0)
	ds_bpermute_b32 v205, v174, v170
	ds_bpermute_b32 v207, v174, v171 offset:4
	ds_bpermute_b32 v206, v174, v170 offset:4
	;; [unrolled: 1-line block ×3, first 2 shown]
	s_waitcnt lgkmcnt(4)
	v_sub_f32_e32 v175, v175, v204
	v_mul_f32_e32 v175, v4, v175
	s_waitcnt lgkmcnt(3)
	v_mul_f32_e32 v205, v175, v205
	s_waitcnt lgkmcnt(2)
	v_sub_f32_e32 v106, v106, v207
	ds_bpermute_b32 v175, v174, v170 offset:8
	v_mul_f32_e32 v106, v5, v106
	s_waitcnt lgkmcnt(2)
	v_mul_f32_e32 v207, v106, v206
	ds_bpermute_b32 v106, v174, v171 offset:12
	s_waitcnt lgkmcnt(2)
	v_sub_f32_e32 v3, v3, v208
	v_mul_f32_e32 v3, v6, v3
	s_waitcnt lgkmcnt(1)
	v_mul_f32_e32 v209, v3, v175
	ds_bpermute_b32 v3, v174, v170 offset:12
	ds_bpermute_b32 v175, v174, v171 offset:16
	s_waitcnt lgkmcnt(2)
	v_sub_f32_e32 v106, v177, v106
	ds_bpermute_b32 v177, v174, v170 offset:16
	v_mul_f32_e32 v106, v7, v106
	s_waitcnt lgkmcnt(2)
	v_mul_f32_e32 v211, v106, v3
	s_waitcnt lgkmcnt(1)
	v_sub_f32_e32 v3, v107, v175
	ds_bpermute_b32 v106, v174, v171 offset:20
	v_mul_f32_e32 v3, v8, v3
	s_waitcnt lgkmcnt(1)
	v_mul_f32_e32 v107, v3, v177
	ds_bpermute_b32 v3, v174, v170 offset:20
	ds_bpermute_b32 v175, v174, v171 offset:24
	ds_bpermute_b32 v177, v174, v170 offset:24
	s_waitcnt lgkmcnt(3)
	v_sub_f32_e32 v106, v179, v106
	v_mul_f32_e32 v106, v9, v106
	s_waitcnt lgkmcnt(2)
	v_mul_f32_e32 v179, v106, v3
	s_waitcnt lgkmcnt(1)
	v_sub_f32_e32 v3, v178, v175
	ds_bpermute_b32 v106, v174, v171 offset:28
	v_mul_f32_e32 v3, v10, v3
	s_waitcnt lgkmcnt(1)
	v_mul_f32_e32 v213, v3, v177
	ds_bpermute_b32 v3, v174, v170 offset:28
	ds_bpermute_b32 v175, v174, v171 offset:32
	ds_bpermute_b32 v177, v174, v170 offset:32
	s_waitcnt lgkmcnt(3)
	v_sub_f32_e32 v106, v181, v106
	;; [unrolled: 14-line block ×3, first 2 shown]
	v_mul_f32_e32 v106, v13, v106
	s_waitcnt lgkmcnt(2)
	v_mul_f32_e32 v217, v106, v3
	s_waitcnt lgkmcnt(1)
	v_sub_f32_e32 v3, v183, v175
	v_mul_f32_e32 v3, v14, v3
	s_waitcnt lgkmcnt(0)
	v_mul_f32_e32 v219, v3, v177
	ds_bpermute_b32 v3, v174, v171 offset:44
	v_mov_b32_e32 v208, v6
	ds_bpermute_b32 v6, v174, v170 offset:44
	v_mov_b32_e32 v106, v8
	ds_bpermute_b32 v8, v174, v171 offset:48
	s_waitcnt lgkmcnt(2)
	v_sub_f32_e32 v3, v184, v3
	v_mul_f32_e32 v3, v15, v3
	v_mov_b32_e32 v210, v7
	s_waitcnt lgkmcnt(1)
	v_mul_f32_e32 v7, v3, v6
	ds_bpermute_b32 v3, v174, v170 offset:48
	ds_bpermute_b32 v6, v174, v171 offset:52
	v_mov_b32_e32 v212, v10
	ds_bpermute_b32 v10, v174, v170 offset:52
	s_waitcnt lgkmcnt(3)
	v_sub_f32_e32 v8, v182, v8
	v_mul_f32_e32 v8, v16, v8
	v_mov_b32_e32 v178, v9
	s_waitcnt lgkmcnt(2)
	v_mul_f32_e32 v9, v8, v3
	s_waitcnt lgkmcnt(1)
	v_sub_f32_e32 v3, v187, v6
	ds_bpermute_b32 v6, v174, v171 offset:56
	v_mul_f32_e32 v3, v17, v3
	v_mov_b32_e32 v180, v11
	s_waitcnt lgkmcnt(1)
	v_mul_f32_e32 v11, v3, v10
	ds_bpermute_b32 v3, v174, v170 offset:56
	ds_bpermute_b32 v8, v174, v171 offset:60
	v_mov_b32_e32 v204, v4
	ds_bpermute_b32 v10, v174, v170 offset:60
	v_pk_add_f32 v[168:169], v[168:169], v[204:205]
	v_mov_b32_e32 v206, v5
	s_waitcnt lgkmcnt(3)
	v_sub_f32_e32 v6, v186, v6
	v_pk_add_f32 v[4:5], v[206:207], v[168:169]
	v_mul_f32_e32 v6, v18, v6
	v_pk_add_f32 v[4:5], v[208:209], v[4:5]
	v_mov_b32_e32 v216, v13
	s_waitcnt lgkmcnt(2)
	v_mul_f32_e32 v13, v6, v3
	s_waitcnt lgkmcnt(1)
	v_sub_f32_e32 v3, v189, v8
	ds_bpermute_b32 v6, v174, v171 offset:64
	v_pk_add_f32 v[4:5], v[210:211], v[4:5]
	v_mul_f32_e32 v3, v19, v3
	v_pk_add_f32 v[4:5], v[106:107], v[4:5]
	s_waitcnt lgkmcnt(1)
	v_mul_f32_e32 v107, v3, v10
	ds_bpermute_b32 v3, v174, v170 offset:64
	ds_bpermute_b32 v8, v174, v171 offset:68
	;; [unrolled: 1-line block ×3, first 2 shown]
	s_waitcnt lgkmcnt(3)
	v_sub_f32_e32 v6, v188, v6
	v_mul_f32_e32 v6, v20, v6
	s_waitcnt lgkmcnt(2)
	v_mul_f32_e32 v169, v6, v3
	s_waitcnt lgkmcnt(1)
	v_sub_f32_e32 v3, v191, v8
	ds_bpermute_b32 v6, v174, v171 offset:72
	v_mul_f32_e32 v3, v21, v3
	v_pk_add_f32 v[4:5], v[178:179], v[4:5]
	s_waitcnt lgkmcnt(1)
	v_mul_f32_e32 v179, v3, v10
	ds_bpermute_b32 v3, v174, v170 offset:72
	ds_bpermute_b32 v8, v174, v171 offset:76
	;; [unrolled: 1-line block ×3, first 2 shown]
	s_waitcnt lgkmcnt(3)
	v_sub_f32_e32 v6, v190, v6
	v_pk_add_f32 v[4:5], v[212:213], v[4:5]
	v_mul_f32_e32 v6, v22, v6
	v_pk_add_f32 v[4:5], v[180:181], v[4:5]
	s_waitcnt lgkmcnt(2)
	v_mul_f32_e32 v181, v6, v3
	s_waitcnt lgkmcnt(1)
	v_sub_f32_e32 v3, v194, v8
	ds_bpermute_b32 v6, v174, v171 offset:80
	v_mul_f32_e32 v3, v23, v3
	s_waitcnt lgkmcnt(1)
	v_mul_f32_e32 v183, v3, v10
	ds_bpermute_b32 v3, v174, v170 offset:80
	ds_bpermute_b32 v8, v174, v171 offset:84
	;; [unrolled: 1-line block ×3, first 2 shown]
	s_waitcnt lgkmcnt(3)
	v_sub_f32_e32 v6, v193, v6
	v_mov_b32_e32 v214, v12
	v_mul_f32_e32 v6, v24, v6
	v_pk_add_f32 v[4:5], v[214:215], v[4:5]
	s_waitcnt lgkmcnt(2)
	v_mul_f32_e32 v185, v6, v3
	s_waitcnt lgkmcnt(1)
	v_sub_f32_e32 v3, v197, v8
	v_pk_add_f32 v[4:5], v[216:217], v[4:5]
	v_mov_b32_e32 v218, v14
	v_mul_f32_e32 v3, v25, v3
	v_pk_add_f32 v[4:5], v[218:219], v[4:5]
	s_waitcnt lgkmcnt(0)
	v_mul_f32_e32 v187, v3, v10
	v_mov_b32_e32 v6, v15
	ds_bpermute_b32 v3, v174, v171 offset:88
	v_pk_add_f32 v[4:5], v[6:7], v[4:5]
	v_mov_b32_e32 v8, v16
	v_pk_add_f32 v[4:5], v[8:9], v[4:5]
	ds_bpermute_b32 v6, v174, v170 offset:88
	ds_bpermute_b32 v8, v174, v171 offset:92
	ds_bpermute_b32 v9, v174, v170 offset:92
	s_waitcnt lgkmcnt(3)
	v_sub_f32_e32 v3, v192, v3
	v_mul_f32_e32 v3, v26, v3
	s_waitcnt lgkmcnt(2)
	v_mul_f32_e32 v7, v3, v6
	s_waitcnt lgkmcnt(1)
	v_sub_f32_e32 v3, v196, v8
	ds_bpermute_b32 v6, v174, v171 offset:96
	v_mul_f32_e32 v3, v27, v3
	s_waitcnt lgkmcnt(1)
	v_mul_f32_e32 v9, v3, v9
	ds_bpermute_b32 v3, v174, v170 offset:96
	ds_bpermute_b32 v8, v174, v171 offset:100
	v_mov_b32_e32 v10, v17
	v_pk_add_f32 v[4:5], v[10:11], v[4:5]
	ds_bpermute_b32 v10, v174, v170 offset:100
	s_waitcnt lgkmcnt(3)
	v_sub_f32_e32 v6, v195, v6
	v_mul_f32_e32 v6, v28, v6
	s_waitcnt lgkmcnt(2)
	v_mul_f32_e32 v11, v6, v3
	s_waitcnt lgkmcnt(1)
	v_sub_f32_e32 v3, v199, v8
	ds_bpermute_b32 v6, v174, v171 offset:104
	v_mov_b32_e32 v12, v18
	v_mul_f32_e32 v3, v29, v3
	v_pk_add_f32 v[4:5], v[12:13], v[4:5]
	s_waitcnt lgkmcnt(1)
	v_mul_f32_e32 v13, v3, v10
	ds_bpermute_b32 v3, v174, v170 offset:104
	ds_bpermute_b32 v8, v174, v171 offset:108
	;; [unrolled: 1-line block ×3, first 2 shown]
	s_waitcnt lgkmcnt(3)
	v_sub_f32_e32 v6, v198, v6
	v_mul_f32_e32 v6, v30, v6
	v_mov_b32_e32 v106, v19
	s_waitcnt lgkmcnt(2)
	v_mul_f32_e32 v15, v6, v3
	s_waitcnt lgkmcnt(1)
	v_sub_f32_e32 v3, v202, v8
	ds_bpermute_b32 v6, v174, v171 offset:112
	v_pk_add_f32 v[4:5], v[106:107], v[4:5]
	v_mov_b32_e32 v168, v20
	v_mul_f32_e32 v3, v31, v3
	v_pk_add_f32 v[4:5], v[168:169], v[4:5]
	v_mov_b32_e32 v178, v21
	s_waitcnt lgkmcnt(1)
	v_mul_f32_e32 v17, v3, v10
	ds_bpermute_b32 v3, v174, v170 offset:112
	ds_bpermute_b32 v8, v174, v171 offset:116
	v_pk_add_f32 v[4:5], v[178:179], v[4:5]
	v_mov_b32_e32 v180, v22
	v_pk_add_f32 v[4:5], v[180:181], v[4:5]
	v_mov_b32_e32 v182, v23
	ds_bpermute_b32 v10, v174, v170 offset:116
	v_pk_add_f32 v[4:5], v[182:183], v[4:5]
	v_mov_b32_e32 v184, v24
	s_waitcnt lgkmcnt(3)
	v_sub_f32_e32 v6, v200, v6
	v_pk_add_f32 v[4:5], v[184:185], v[4:5]
	v_mov_b32_e32 v186, v25
	v_mul_f32_e32 v6, v32, v6
	v_pk_add_f32 v[4:5], v[186:187], v[4:5]
	s_waitcnt lgkmcnt(2)
	v_mul_f32_e32 v19, v6, v3
	s_waitcnt lgkmcnt(1)
	v_sub_f32_e32 v3, v203, v8
	v_mov_b32_e32 v6, v26
	v_mul_f32_e32 v3, v33, v3
	v_pk_add_f32 v[4:5], v[6:7], v[4:5]
	v_mov_b32_e32 v8, v27
	s_waitcnt lgkmcnt(0)
	v_mul_f32_e32 v21, v3, v10
	v_pk_add_f32 v[4:5], v[8:9], v[4:5]
	v_mov_b32_e32 v10, v28
	v_pk_add_f32 v[4:5], v[10:11], v[4:5]
	v_mov_b32_e32 v12, v29
	;; [unrolled: 2-line block ×4, first 2 shown]
	ds_bpermute_b32 v3, v174, v171 offset:120
	v_pk_add_f32 v[4:5], v[16:17], v[4:5]
	v_mov_b32_e32 v18, v32
	v_pk_add_f32 v[4:5], v[18:19], v[4:5]
	v_mov_b32_e32 v20, v33
	v_pk_add_f32 v[6:7], v[20:21], v[4:5]
	ds_bpermute_b32 v5, v174, v170 offset:120
	s_waitcnt lgkmcnt(1)
	v_sub_f32_e32 v8, v201, v3
	ds_bpermute_b32 v3, v174, v170 offset:124
	ds_bpermute_b32 v4, v174, v171 offset:124
	v_mul_f32_e32 v8, v34, v8
	s_waitcnt lgkmcnt(2)
	v_mul_f32_e32 v9, v8, v5
	v_mov_b32_e32 v8, v34
	v_pk_add_f32 v[170:171], v[8:9], v[6:7]
.LBB74_4:                               ;   in Loop: Header=BB74_5 Depth=1
	s_waitcnt lgkmcnt(0)
	v_sub_f32_e32 v4, v176, v4
	v_mul_f32_e32 v4, v35, v4
	v_mul_f32_e32 v5, v4, v3
	v_mov_b32_e32 v4, v35
	s_add_u32 s34, s34, s26
	v_pk_add_f32 v[168:169], v[170:171], v[4:5]
	s_addc_u32 s35, s35, 0
	v_mov_b64_e32 v[4:5], s[12:13]
	s_add_u32 s30, s30, s26
	v_cmp_lt_i64_e32 vcc, s[34:35], v[4:5]
	v_lshl_add_u64 v[38:39], v[38:39], 0, s[28:29]
	v_lshl_add_u64 v[40:41], v[40:41], 0, s[28:29]
	;; [unrolled: 1-line block ×65, first 2 shown]
	s_addc_u32 s31, 0, s31
	s_cbranch_vccz .LBB74_146
.LBB74_5:                               ; =>This Inner Loop Header: Depth=1
	s_add_u32 s36, s10, s30
	s_addc_u32 s37, 0, s31
	v_mov_b64_e32 v[4:5], s[12:13]
	v_cmp_ge_i64_e32 vcc, s[36:37], v[4:5]
	v_lshl_add_u64 v[106:107], s[10:11], 0, v[222:223]
	s_mov_b64 s[36:37], -1
	s_and_b64 vcc, exec, vcc
                                        ; implicit-def: $vgpr4_vgpr5_vgpr6_vgpr7_vgpr8_vgpr9_vgpr10_vgpr11_vgpr12_vgpr13_vgpr14_vgpr15_vgpr16_vgpr17_vgpr18_vgpr19_vgpr20_vgpr21_vgpr22_vgpr23_vgpr24_vgpr25_vgpr26_vgpr27_vgpr28_vgpr29_vgpr30_vgpr31_vgpr32_vgpr33_vgpr34_vgpr35
                                        ; implicit-def: $vgpr170_vgpr171
                                        ; implicit-def: $vgpr3
                                        ; implicit-def: $vgpr176
                                        ; implicit-def: $vgpr4
	s_cbranch_vccz .LBB74_75
; %bb.6:                                ;   in Loop: Header=BB74_5 Depth=1
	s_load_dword s9, s[24:25], 0xc
	v_mov_b32_e32 v175, 0
	v_mov_b32_e32 v170, 0
	;; [unrolled: 1-line block ×3, first 2 shown]
	s_waitcnt lgkmcnt(0)
	s_and_b32 s9, s9, 0xffff
	v_mad_u32_u24 v3, v173, s9, v172
	v_and_b32_e32 v4, 63, v3
	v_cmp_gt_u32_e32 vcc, 32, v4
	s_and_saveexec_b64 s[36:37], vcc
	s_cbranch_execz .LBB74_10
; %bb.7:                                ;   in Loop: Header=BB74_5 Depth=1
	v_mov_b32_e32 v5, v2
	v_lshl_add_u64 v[4:5], v[106:107], 0, v[4:5]
	v_cmp_gt_i64_e32 vcc, s[12:13], v[4:5]
	v_mov_b32_e32 v171, 0
	v_mov_b32_e32 v170, 0
	s_and_saveexec_b64 s[38:39], vcc
	s_cbranch_execz .LBB74_9
; %bb.8:                                ;   in Loop: Header=BB74_5 Depth=1
	v_lshlrev_b64 v[4:5], 2, v[4:5]
	v_lshl_add_u64 v[6:7], s[22:23], 0, v[4:5]
	v_lshl_add_u64 v[4:5], s[20:21], 0, v[4:5]
	global_load_dword v171, v[4:5], off
	global_load_dword v170, v[6:7], off
.LBB74_9:                               ;   in Loop: Header=BB74_5 Depth=1
	s_or_b64 exec, exec, s[38:39]
.LBB74_10:                              ;   in Loop: Header=BB74_5 Depth=1
	s_or_b64 exec, exec, s[36:37]
	v_mov_b32_e32 v4, v2
	v_mov_b32_e32 v5, v2
	;; [unrolled: 1-line block ×30, first 2 shown]
	v_cmp_gt_i64_e32 vcc, s[12:13], v[106:107]
	v_mov_b32_e32 v3, v2
	v_mov_b64_e32 v[34:35], v[32:33]
	s_and_b64 s[38:39], s[6:7], vcc
	v_mov_b64_e32 v[32:33], v[30:31]
	v_mov_b64_e32 v[30:31], v[28:29]
	;; [unrolled: 1-line block ×15, first 2 shown]
	s_and_saveexec_b64 s[36:37], s[38:39]
	s_cbranch_execz .LBB74_12
; %bb.11:                               ;   in Loop: Header=BB74_5 Depth=1
	v_lshl_add_u64 v[4:5], v[38:39], 0, v[36:37]
	global_load_ushort v3, v[4:5], off
	v_lshl_add_u64 v[4:5], v[40:41], 0, v[36:37]
	global_load_ushort v33, v[4:5], off
	v_mov_b32_e32 v5, v2
	v_mov_b32_e32 v6, v2
	;; [unrolled: 1-line block ×30, first 2 shown]
	s_waitcnt vmcnt(1)
	v_cvt_f32_f16_e32 v4, v3
	s_waitcnt vmcnt(0)
	v_cvt_f32_f16_e32 v175, v33
	v_mov_b32_e32 v33, v2
.LBB74_12:                              ;   in Loop: Header=BB74_5 Depth=1
	s_or_b64 exec, exec, s[36:37]
	v_lshl_add_u64 v[176:177], v[106:107], 0, 1
	v_cmp_gt_i64_e32 vcc, s[12:13], v[176:177]
	s_and_b64 s[38:39], s[6:7], vcc
	v_mov_b32_e32 v3, 0
	v_mov_b32_e32 v177, 0
	s_and_saveexec_b64 s[36:37], s[38:39]
	s_cbranch_execz .LBB74_14
; %bb.13:                               ;   in Loop: Header=BB74_5 Depth=1
	v_lshl_add_u64 v[176:177], v[164:165], 0, v[36:37]
	global_load_ushort v5, v[176:177], off
	v_lshl_add_u64 v[176:177], v[166:167], 0, v[36:37]
	global_load_ushort v176, v[176:177], off
	s_waitcnt vmcnt(1)
	v_cvt_f32_f16_e32 v5, v5
	s_waitcnt vmcnt(0)
	v_cvt_f32_f16_e32 v177, v176
.LBB74_14:                              ;   in Loop: Header=BB74_5 Depth=1
	s_or_b64 exec, exec, s[36:37]
	v_lshl_add_u64 v[178:179], v[106:107], 0, 2
	v_cmp_gt_i64_e32 vcc, s[12:13], v[178:179]
	s_and_b64 s[38:39], s[6:7], vcc
	s_and_saveexec_b64 s[36:37], s[38:39]
	s_cbranch_execz .LBB74_16
; %bb.15:                               ;   in Loop: Header=BB74_5 Depth=1
	v_lshl_add_u64 v[178:179], v[160:161], 0, v[36:37]
	global_load_ushort v3, v[178:179], off
	v_lshl_add_u64 v[178:179], v[162:163], 0, v[36:37]
	global_load_ushort v176, v[178:179], off
	s_waitcnt vmcnt(1)
	v_cvt_f32_f16_e32 v6, v3
	s_waitcnt vmcnt(0)
	v_cvt_f32_f16_e32 v3, v176
.LBB74_16:                              ;   in Loop: Header=BB74_5 Depth=1
	s_or_b64 exec, exec, s[36:37]
	v_lshl_add_u64 v[178:179], v[106:107], 0, 3
	v_cmp_gt_i64_e32 vcc, s[12:13], v[178:179]
	s_and_b64 s[38:39], s[6:7], vcc
	v_mov_b32_e32 v178, 0
	v_mov_b32_e32 v179, 0
	s_and_saveexec_b64 s[36:37], s[38:39]
	s_cbranch_execz .LBB74_18
; %bb.17:                               ;   in Loop: Header=BB74_5 Depth=1
	v_lshl_add_u64 v[180:181], v[156:157], 0, v[36:37]
	global_load_ushort v7, v[180:181], off
	v_lshl_add_u64 v[180:181], v[158:159], 0, v[36:37]
	global_load_ushort v176, v[180:181], off
	s_waitcnt vmcnt(1)
	v_cvt_f32_f16_e32 v7, v7
	s_waitcnt vmcnt(0)
	v_cvt_f32_f16_e32 v179, v176
.LBB74_18:                              ;   in Loop: Header=BB74_5 Depth=1
	s_or_b64 exec, exec, s[36:37]
	v_lshl_add_u64 v[180:181], v[106:107], 0, 4
	v_cmp_gt_i64_e32 vcc, s[12:13], v[180:181]
	s_and_b64 s[38:39], s[6:7], vcc
	s_and_saveexec_b64 s[36:37], s[38:39]
	s_cbranch_execz .LBB74_20
; %bb.19:                               ;   in Loop: Header=BB74_5 Depth=1
	v_lshl_add_u64 v[180:181], v[152:153], 0, v[36:37]
	global_load_ushort v8, v[180:181], off
	v_lshl_add_u64 v[180:181], v[154:155], 0, v[36:37]
	global_load_ushort v176, v[180:181], off
	s_waitcnt vmcnt(1)
	v_cvt_f32_f16_e32 v8, v8
	s_waitcnt vmcnt(0)
	v_cvt_f32_f16_e32 v178, v176
.LBB74_20:                              ;   in Loop: Header=BB74_5 Depth=1
	s_or_b64 exec, exec, s[36:37]
	v_lshl_add_u64 v[180:181], v[106:107], 0, 5
	v_cmp_gt_i64_e32 vcc, s[12:13], v[180:181]
	s_and_b64 s[38:39], s[6:7], vcc
	v_mov_b32_e32 v180, 0
	v_mov_b32_e32 v181, 0
	s_and_saveexec_b64 s[36:37], s[38:39]
	s_cbranch_execz .LBB74_22
; %bb.21:                               ;   in Loop: Header=BB74_5 Depth=1
	v_lshl_add_u64 v[182:183], v[148:149], 0, v[36:37]
	global_load_ushort v9, v[182:183], off
	v_lshl_add_u64 v[182:183], v[150:151], 0, v[36:37]
	global_load_ushort v176, v[182:183], off
	s_waitcnt vmcnt(1)
	v_cvt_f32_f16_e32 v9, v9
	s_waitcnt vmcnt(0)
	v_cvt_f32_f16_e32 v181, v176
.LBB74_22:                              ;   in Loop: Header=BB74_5 Depth=1
	s_or_b64 exec, exec, s[36:37]
	v_lshl_add_u64 v[182:183], v[106:107], 0, 6
	v_cmp_gt_i64_e32 vcc, s[12:13], v[182:183]
	s_and_b64 s[38:39], s[6:7], vcc
	s_and_saveexec_b64 s[36:37], s[38:39]
	s_cbranch_execz .LBB74_24
; %bb.23:                               ;   in Loop: Header=BB74_5 Depth=1
	v_lshl_add_u64 v[182:183], v[144:145], 0, v[36:37]
	global_load_ushort v10, v[182:183], off
	v_lshl_add_u64 v[182:183], v[146:147], 0, v[36:37]
	global_load_ushort v176, v[182:183], off
	s_waitcnt vmcnt(1)
	v_cvt_f32_f16_e32 v10, v10
	s_waitcnt vmcnt(0)
	v_cvt_f32_f16_e32 v180, v176
.LBB74_24:                              ;   in Loop: Header=BB74_5 Depth=1
	s_or_b64 exec, exec, s[36:37]
	v_lshl_add_u64 v[182:183], v[106:107], 0, 7
	v_cmp_gt_i64_e32 vcc, s[12:13], v[182:183]
	s_and_b64 s[38:39], s[6:7], vcc
	v_mov_b32_e32 v182, 0
	v_mov_b32_e32 v183, 0
	s_and_saveexec_b64 s[36:37], s[38:39]
	s_cbranch_execz .LBB74_26
; %bb.25:                               ;   in Loop: Header=BB74_5 Depth=1
	v_lshl_add_u64 v[184:185], v[140:141], 0, v[36:37]
	global_load_ushort v11, v[184:185], off
	v_lshl_add_u64 v[184:185], v[142:143], 0, v[36:37]
	global_load_ushort v176, v[184:185], off
	s_waitcnt vmcnt(1)
	v_cvt_f32_f16_e32 v11, v11
	s_waitcnt vmcnt(0)
	v_cvt_f32_f16_e32 v183, v176
.LBB74_26:                              ;   in Loop: Header=BB74_5 Depth=1
	s_or_b64 exec, exec, s[36:37]
	v_lshl_add_u64 v[184:185], v[106:107], 0, 8
	v_cmp_gt_i64_e32 vcc, s[12:13], v[184:185]
	s_and_b64 s[38:39], s[6:7], vcc
	s_and_saveexec_b64 s[36:37], s[38:39]
	s_cbranch_execz .LBB74_28
; %bb.27:                               ;   in Loop: Header=BB74_5 Depth=1
	v_lshl_add_u64 v[184:185], v[136:137], 0, v[36:37]
	global_load_ushort v12, v[184:185], off
	v_lshl_add_u64 v[184:185], v[138:139], 0, v[36:37]
	global_load_ushort v176, v[184:185], off
	s_waitcnt vmcnt(1)
	v_cvt_f32_f16_e32 v12, v12
	s_waitcnt vmcnt(0)
	v_cvt_f32_f16_e32 v182, v176
.LBB74_28:                              ;   in Loop: Header=BB74_5 Depth=1
	s_or_b64 exec, exec, s[36:37]
	v_lshl_add_u64 v[184:185], v[106:107], 0, 9
	v_cmp_gt_i64_e32 vcc, s[12:13], v[184:185]
	s_and_b64 s[38:39], s[6:7], vcc
	v_mov_b32_e32 v185, 0
	v_mov_b32_e32 v186, 0
	s_and_saveexec_b64 s[36:37], s[38:39]
	s_cbranch_execz .LBB74_30
; %bb.29:                               ;   in Loop: Header=BB74_5 Depth=1
	v_lshl_add_u64 v[186:187], v[132:133], 0, v[36:37]
	global_load_ushort v13, v[186:187], off
	v_lshl_add_u64 v[186:187], v[134:135], 0, v[36:37]
	global_load_ushort v176, v[186:187], off
	s_waitcnt vmcnt(1)
	v_cvt_f32_f16_e32 v13, v13
	s_waitcnt vmcnt(0)
	v_cvt_f32_f16_e32 v186, v176
.LBB74_30:                              ;   in Loop: Header=BB74_5 Depth=1
	s_or_b64 exec, exec, s[36:37]
	v_lshl_add_u64 v[188:189], v[106:107], 0, 10
	v_cmp_gt_i64_e32 vcc, s[12:13], v[188:189]
	s_and_b64 s[38:39], s[6:7], vcc
	s_and_saveexec_b64 s[36:37], s[38:39]
	s_cbranch_execz .LBB74_32
; %bb.31:                               ;   in Loop: Header=BB74_5 Depth=1
	v_lshl_add_u64 v[184:185], v[128:129], 0, v[36:37]
	global_load_ushort v14, v[184:185], off
	v_lshl_add_u64 v[184:185], v[130:131], 0, v[36:37]
	global_load_ushort v176, v[184:185], off
	s_waitcnt vmcnt(1)
	v_cvt_f32_f16_e32 v14, v14
	s_waitcnt vmcnt(0)
	v_cvt_f32_f16_e32 v185, v176
.LBB74_32:                              ;   in Loop: Header=BB74_5 Depth=1
	s_or_b64 exec, exec, s[36:37]
	v_lshl_add_u64 v[188:189], v[106:107], 0, 11
	v_cmp_gt_i64_e32 vcc, s[12:13], v[188:189]
	s_and_b64 s[38:39], s[6:7], vcc
	v_mov_b32_e32 v184, 0
	v_mov_b32_e32 v187, 0
	s_and_saveexec_b64 s[36:37], s[38:39]
	s_cbranch_execz .LBB74_34
; %bb.33:                               ;   in Loop: Header=BB74_5 Depth=1
	v_lshl_add_u64 v[188:189], v[124:125], 0, v[36:37]
	global_load_ushort v15, v[188:189], off
	v_lshl_add_u64 v[188:189], v[126:127], 0, v[36:37]
	global_load_ushort v176, v[188:189], off
	s_waitcnt vmcnt(1)
	v_cvt_f32_f16_e32 v15, v15
	s_waitcnt vmcnt(0)
	v_cvt_f32_f16_e32 v187, v176
.LBB74_34:                              ;   in Loop: Header=BB74_5 Depth=1
	s_or_b64 exec, exec, s[36:37]
	v_lshl_add_u64 v[188:189], v[106:107], 0, 12
	v_cmp_gt_i64_e32 vcc, s[12:13], v[188:189]
	s_and_b64 s[38:39], s[6:7], vcc
	s_and_saveexec_b64 s[36:37], s[38:39]
	s_cbranch_execz .LBB74_36
; %bb.35:                               ;   in Loop: Header=BB74_5 Depth=1
	v_lshl_add_u64 v[188:189], v[120:121], 0, v[36:37]
	global_load_ushort v16, v[188:189], off
	v_lshl_add_u64 v[188:189], v[122:123], 0, v[36:37]
	global_load_ushort v176, v[188:189], off
	s_waitcnt vmcnt(1)
	v_cvt_f32_f16_e32 v16, v16
	s_waitcnt vmcnt(0)
	v_cvt_f32_f16_e32 v184, v176
.LBB74_36:                              ;   in Loop: Header=BB74_5 Depth=1
	s_or_b64 exec, exec, s[36:37]
	v_lshl_add_u64 v[188:189], v[106:107], 0, 13
	v_cmp_gt_i64_e32 vcc, s[12:13], v[188:189]
	s_and_b64 s[38:39], s[6:7], vcc
	v_mov_b32_e32 v188, 0
	v_mov_b32_e32 v189, 0
	s_and_saveexec_b64 s[36:37], s[38:39]
	s_cbranch_execz .LBB74_38
; %bb.37:                               ;   in Loop: Header=BB74_5 Depth=1
	v_lshl_add_u64 v[190:191], v[116:117], 0, v[36:37]
	global_load_ushort v17, v[190:191], off
	v_lshl_add_u64 v[190:191], v[118:119], 0, v[36:37]
	global_load_ushort v176, v[190:191], off
	s_waitcnt vmcnt(1)
	v_cvt_f32_f16_e32 v17, v17
	s_waitcnt vmcnt(0)
	v_cvt_f32_f16_e32 v189, v176
.LBB74_38:                              ;   in Loop: Header=BB74_5 Depth=1
	s_or_b64 exec, exec, s[36:37]
	v_lshl_add_u64 v[190:191], v[106:107], 0, 14
	v_cmp_gt_i64_e32 vcc, s[12:13], v[190:191]
	s_and_b64 s[38:39], s[6:7], vcc
	s_and_saveexec_b64 s[36:37], s[38:39]
	s_cbranch_execz .LBB74_40
; %bb.39:                               ;   in Loop: Header=BB74_5 Depth=1
	v_lshl_add_u64 v[190:191], v[112:113], 0, v[36:37]
	global_load_ushort v18, v[190:191], off
	v_lshl_add_u64 v[190:191], v[114:115], 0, v[36:37]
	global_load_ushort v176, v[190:191], off
	s_waitcnt vmcnt(1)
	v_cvt_f32_f16_e32 v18, v18
	s_waitcnt vmcnt(0)
	v_cvt_f32_f16_e32 v188, v176
.LBB74_40:                              ;   in Loop: Header=BB74_5 Depth=1
	s_or_b64 exec, exec, s[36:37]
	v_lshl_add_u64 v[190:191], v[106:107], 0, 15
	v_cmp_gt_i64_e32 vcc, s[12:13], v[190:191]
	s_and_b64 s[38:39], s[6:7], vcc
	v_mov_b32_e32 v190, 0
	v_mov_b32_e32 v191, 0
	s_and_saveexec_b64 s[36:37], s[38:39]
	s_cbranch_execz .LBB74_42
; %bb.41:                               ;   in Loop: Header=BB74_5 Depth=1
	v_lshl_add_u64 v[192:193], v[108:109], 0, v[36:37]
	global_load_ushort v19, v[192:193], off
	v_lshl_add_u64 v[192:193], v[110:111], 0, v[36:37]
	global_load_ushort v176, v[192:193], off
	s_waitcnt vmcnt(1)
	v_cvt_f32_f16_e32 v19, v19
	s_waitcnt vmcnt(0)
	v_cvt_f32_f16_e32 v191, v176
.LBB74_42:                              ;   in Loop: Header=BB74_5 Depth=1
	s_or_b64 exec, exec, s[36:37]
	v_lshl_add_u64 v[192:193], v[106:107], 0, 16
	v_cmp_gt_i64_e32 vcc, s[12:13], v[192:193]
	s_and_b64 s[38:39], s[6:7], vcc
	s_and_saveexec_b64 s[36:37], s[38:39]
	s_cbranch_execz .LBB74_44
; %bb.43:                               ;   in Loop: Header=BB74_5 Depth=1
	v_lshl_add_u64 v[192:193], v[102:103], 0, v[36:37]
	global_load_ushort v20, v[192:193], off
	v_lshl_add_u64 v[192:193], v[104:105], 0, v[36:37]
	global_load_ushort v176, v[192:193], off
	s_waitcnt vmcnt(1)
	v_cvt_f32_f16_e32 v20, v20
	s_waitcnt vmcnt(0)
	v_cvt_f32_f16_e32 v190, v176
.LBB74_44:                              ;   in Loop: Header=BB74_5 Depth=1
	s_or_b64 exec, exec, s[36:37]
	v_lshl_add_u64 v[192:193], v[106:107], 0, 17
	v_cmp_gt_i64_e32 vcc, s[12:13], v[192:193]
	s_and_b64 s[38:39], s[6:7], vcc
	v_mov_b32_e32 v192, 0
	v_mov_b32_e32 v193, 0
	s_and_saveexec_b64 s[36:37], s[38:39]
	s_cbranch_execz .LBB74_46
; %bb.45:                               ;   in Loop: Header=BB74_5 Depth=1
	v_lshl_add_u64 v[194:195], v[98:99], 0, v[36:37]
	global_load_ushort v21, v[194:195], off
	v_lshl_add_u64 v[194:195], v[100:101], 0, v[36:37]
	global_load_ushort v176, v[194:195], off
	s_waitcnt vmcnt(1)
	v_cvt_f32_f16_e32 v21, v21
	s_waitcnt vmcnt(0)
	v_cvt_f32_f16_e32 v193, v176
.LBB74_46:                              ;   in Loop: Header=BB74_5 Depth=1
	s_or_b64 exec, exec, s[36:37]
	v_lshl_add_u64 v[194:195], v[106:107], 0, 18
	v_cmp_gt_i64_e32 vcc, s[12:13], v[194:195]
	s_and_b64 s[38:39], s[6:7], vcc
	s_and_saveexec_b64 s[36:37], s[38:39]
	s_cbranch_execz .LBB74_48
; %bb.47:                               ;   in Loop: Header=BB74_5 Depth=1
	v_lshl_add_u64 v[194:195], v[94:95], 0, v[36:37]
	global_load_ushort v22, v[194:195], off
	v_lshl_add_u64 v[194:195], v[96:97], 0, v[36:37]
	global_load_ushort v176, v[194:195], off
	s_waitcnt vmcnt(1)
	v_cvt_f32_f16_e32 v22, v22
	s_waitcnt vmcnt(0)
	v_cvt_f32_f16_e32 v192, v176
.LBB74_48:                              ;   in Loop: Header=BB74_5 Depth=1
	s_or_b64 exec, exec, s[36:37]
	v_lshl_add_u64 v[194:195], v[106:107], 0, 19
	v_cmp_gt_i64_e32 vcc, s[12:13], v[194:195]
	s_and_b64 s[38:39], s[6:7], vcc
	v_mov_b32_e32 v194, 0
	v_mov_b32_e32 v196, 0
	s_and_saveexec_b64 s[36:37], s[38:39]
	s_cbranch_execz .LBB74_50
; %bb.49:                               ;   in Loop: Header=BB74_5 Depth=1
	v_lshl_add_u64 v[196:197], v[90:91], 0, v[36:37]
	global_load_ushort v23, v[196:197], off
	v_lshl_add_u64 v[196:197], v[92:93], 0, v[36:37]
	global_load_ushort v176, v[196:197], off
	s_waitcnt vmcnt(1)
	v_cvt_f32_f16_e32 v23, v23
	s_waitcnt vmcnt(0)
	v_cvt_f32_f16_e32 v196, v176
.LBB74_50:                              ;   in Loop: Header=BB74_5 Depth=1
	s_or_b64 exec, exec, s[36:37]
	v_lshl_add_u64 v[198:199], v[106:107], 0, 20
	v_cmp_gt_i64_e32 vcc, s[12:13], v[198:199]
	s_and_b64 s[38:39], s[6:7], vcc
	s_and_saveexec_b64 s[36:37], s[38:39]
	s_cbranch_execz .LBB74_52
; %bb.51:                               ;   in Loop: Header=BB74_5 Depth=1
	v_lshl_add_u64 v[194:195], v[86:87], 0, v[36:37]
	global_load_ushort v24, v[194:195], off
	v_lshl_add_u64 v[194:195], v[88:89], 0, v[36:37]
	global_load_ushort v176, v[194:195], off
	s_waitcnt vmcnt(1)
	v_cvt_f32_f16_e32 v24, v24
	s_waitcnt vmcnt(0)
	v_cvt_f32_f16_e32 v194, v176
.LBB74_52:                              ;   in Loop: Header=BB74_5 Depth=1
	s_or_b64 exec, exec, s[36:37]
	v_lshl_add_u64 v[198:199], v[106:107], 0, 21
	v_cmp_gt_i64_e32 vcc, s[12:13], v[198:199]
	s_and_b64 s[38:39], s[6:7], vcc
	v_mov_b32_e32 v195, 0
	v_mov_b32_e32 v198, 0
	s_and_saveexec_b64 s[36:37], s[38:39]
	s_cbranch_execz .LBB74_54
; %bb.53:                               ;   in Loop: Header=BB74_5 Depth=1
	v_lshl_add_u64 v[198:199], v[82:83], 0, v[36:37]
	global_load_ushort v25, v[198:199], off
	v_lshl_add_u64 v[198:199], v[84:85], 0, v[36:37]
	global_load_ushort v176, v[198:199], off
	s_waitcnt vmcnt(1)
	v_cvt_f32_f16_e32 v25, v25
	s_waitcnt vmcnt(0)
	v_cvt_f32_f16_e32 v198, v176
.LBB74_54:                              ;   in Loop: Header=BB74_5 Depth=1
	s_or_b64 exec, exec, s[36:37]
	v_lshl_add_u64 v[200:201], v[106:107], 0, 22
	v_cmp_gt_i64_e32 vcc, s[12:13], v[200:201]
	s_and_b64 s[38:39], s[6:7], vcc
	s_and_saveexec_b64 s[36:37], s[38:39]
	s_cbranch_execz .LBB74_56
; %bb.55:                               ;   in Loop: Header=BB74_5 Depth=1
	v_lshl_add_u64 v[200:201], v[78:79], 0, v[36:37]
	global_load_ushort v26, v[200:201], off
	v_lshl_add_u64 v[200:201], v[80:81], 0, v[36:37]
	global_load_ushort v176, v[200:201], off
	s_waitcnt vmcnt(1)
	v_cvt_f32_f16_e32 v26, v26
	s_waitcnt vmcnt(0)
	v_cvt_f32_f16_e32 v195, v176
.LBB74_56:                              ;   in Loop: Header=BB74_5 Depth=1
	s_or_b64 exec, exec, s[36:37]
	v_lshl_add_u64 v[200:201], v[106:107], 0, 23
	v_cmp_gt_i64_e32 vcc, s[12:13], v[200:201]
	s_and_b64 s[38:39], s[6:7], vcc
	v_mov_b32_e32 v197, 0
	v_mov_b32_e32 v199, 0
	s_and_saveexec_b64 s[36:37], s[38:39]
	s_cbranch_execz .LBB74_58
; %bb.57:                               ;   in Loop: Header=BB74_5 Depth=1
	v_lshl_add_u64 v[200:201], v[74:75], 0, v[36:37]
	global_load_ushort v27, v[200:201], off
	v_lshl_add_u64 v[200:201], v[76:77], 0, v[36:37]
	global_load_ushort v176, v[200:201], off
	s_waitcnt vmcnt(1)
	v_cvt_f32_f16_e32 v27, v27
	s_waitcnt vmcnt(0)
	v_cvt_f32_f16_e32 v199, v176
.LBB74_58:                              ;   in Loop: Header=BB74_5 Depth=1
	s_or_b64 exec, exec, s[36:37]
	v_lshl_add_u64 v[200:201], v[106:107], 0, 24
	v_cmp_gt_i64_e32 vcc, s[12:13], v[200:201]
	s_and_b64 s[38:39], s[6:7], vcc
	s_and_saveexec_b64 s[36:37], s[38:39]
	s_cbranch_execz .LBB74_60
; %bb.59:                               ;   in Loop: Header=BB74_5 Depth=1
	v_lshl_add_u64 v[200:201], v[70:71], 0, v[36:37]
	global_load_ushort v28, v[200:201], off
	v_lshl_add_u64 v[200:201], v[72:73], 0, v[36:37]
	global_load_ushort v176, v[200:201], off
	s_waitcnt vmcnt(1)
	v_cvt_f32_f16_e32 v28, v28
	s_waitcnt vmcnt(0)
	v_cvt_f32_f16_e32 v197, v176
.LBB74_60:                              ;   in Loop: Header=BB74_5 Depth=1
	s_or_b64 exec, exec, s[36:37]
	v_lshl_add_u64 v[200:201], v[106:107], 0, 25
	v_cmp_gt_i64_e32 vcc, s[12:13], v[200:201]
	s_and_b64 s[38:39], s[6:7], vcc
	v_mov_b32_e32 v200, 0
	v_mov_b32_e32 v201, 0
	s_and_saveexec_b64 s[36:37], s[38:39]
	s_cbranch_execz .LBB74_62
; %bb.61:                               ;   in Loop: Header=BB74_5 Depth=1
	v_lshl_add_u64 v[202:203], v[66:67], 0, v[36:37]
	global_load_ushort v29, v[202:203], off
	v_lshl_add_u64 v[202:203], v[68:69], 0, v[36:37]
	global_load_ushort v176, v[202:203], off
	s_waitcnt vmcnt(1)
	v_cvt_f32_f16_e32 v29, v29
	s_waitcnt vmcnt(0)
	v_cvt_f32_f16_e32 v201, v176
.LBB74_62:                              ;   in Loop: Header=BB74_5 Depth=1
	s_or_b64 exec, exec, s[36:37]
	v_lshl_add_u64 v[202:203], v[106:107], 0, 26
	v_cmp_gt_i64_e32 vcc, s[12:13], v[202:203]
	s_and_b64 s[38:39], s[6:7], vcc
	s_and_saveexec_b64 s[36:37], s[38:39]
	s_cbranch_execz .LBB74_64
; %bb.63:                               ;   in Loop: Header=BB74_5 Depth=1
	v_lshl_add_u64 v[202:203], v[62:63], 0, v[36:37]
	global_load_ushort v30, v[202:203], off
	v_lshl_add_u64 v[202:203], v[64:65], 0, v[36:37]
	global_load_ushort v176, v[202:203], off
	s_waitcnt vmcnt(1)
	v_cvt_f32_f16_e32 v30, v30
	s_waitcnt vmcnt(0)
	v_cvt_f32_f16_e32 v200, v176
.LBB74_64:                              ;   in Loop: Header=BB74_5 Depth=1
	s_or_b64 exec, exec, s[36:37]
	v_lshl_add_u64 v[202:203], v[106:107], 0, 27
	v_cmp_gt_i64_e32 vcc, s[12:13], v[202:203]
	s_and_b64 s[38:39], s[6:7], vcc
	v_mov_b32_e32 v202, 0
	v_mov_b32_e32 v203, 0
	s_and_saveexec_b64 s[36:37], s[38:39]
	s_cbranch_execz .LBB74_66
; %bb.65:                               ;   in Loop: Header=BB74_5 Depth=1
	v_lshl_add_u64 v[204:205], v[58:59], 0, v[36:37]
	global_load_ushort v31, v[204:205], off
	v_lshl_add_u64 v[204:205], v[60:61], 0, v[36:37]
	global_load_ushort v176, v[204:205], off
	s_waitcnt vmcnt(1)
	v_cvt_f32_f16_e32 v31, v31
	s_waitcnt vmcnt(0)
	v_cvt_f32_f16_e32 v203, v176
.LBB74_66:                              ;   in Loop: Header=BB74_5 Depth=1
	s_or_b64 exec, exec, s[36:37]
	v_lshl_add_u64 v[204:205], v[106:107], 0, 28
	v_cmp_gt_i64_e32 vcc, s[12:13], v[204:205]
	s_and_b64 s[38:39], s[6:7], vcc
	s_and_saveexec_b64 s[36:37], s[38:39]
	s_cbranch_execz .LBB74_68
; %bb.67:                               ;   in Loop: Header=BB74_5 Depth=1
	v_lshl_add_u64 v[204:205], v[54:55], 0, v[36:37]
	global_load_ushort v32, v[204:205], off
	v_lshl_add_u64 v[204:205], v[56:57], 0, v[36:37]
	global_load_ushort v176, v[204:205], off
	s_waitcnt vmcnt(1)
	v_cvt_f32_f16_e32 v32, v32
	s_waitcnt vmcnt(0)
	v_cvt_f32_f16_e32 v202, v176
.LBB74_68:                              ;   in Loop: Header=BB74_5 Depth=1
	s_or_b64 exec, exec, s[36:37]
	v_lshl_add_u64 v[204:205], v[106:107], 0, 29
	v_cmp_gt_i64_e32 vcc, s[12:13], v[204:205]
	s_and_b64 s[38:39], s[6:7], vcc
	v_mov_b32_e32 v204, 0
	v_mov_b32_e32 v205, 0
	s_and_saveexec_b64 s[36:37], s[38:39]
	s_cbranch_execz .LBB74_70
; %bb.69:                               ;   in Loop: Header=BB74_5 Depth=1
	v_lshl_add_u64 v[206:207], v[50:51], 0, v[36:37]
	global_load_ushort v33, v[206:207], off
	v_lshl_add_u64 v[206:207], v[52:53], 0, v[36:37]
	global_load_ushort v176, v[206:207], off
	s_waitcnt vmcnt(1)
	v_cvt_f32_f16_e32 v33, v33
	s_waitcnt vmcnt(0)
	v_cvt_f32_f16_e32 v205, v176
.LBB74_70:                              ;   in Loop: Header=BB74_5 Depth=1
	s_or_b64 exec, exec, s[36:37]
	v_lshl_add_u64 v[206:207], v[106:107], 0, 30
	v_cmp_gt_i64_e32 vcc, s[12:13], v[206:207]
	s_and_b64 s[38:39], s[6:7], vcc
	s_and_saveexec_b64 s[36:37], s[38:39]
	s_cbranch_execz .LBB74_72
; %bb.71:                               ;   in Loop: Header=BB74_5 Depth=1
	v_lshl_add_u64 v[206:207], v[46:47], 0, v[36:37]
	global_load_ushort v34, v[206:207], off
	v_lshl_add_u64 v[206:207], v[48:49], 0, v[36:37]
	global_load_ushort v176, v[206:207], off
	s_waitcnt vmcnt(1)
	v_cvt_f32_f16_e32 v34, v34
	s_waitcnt vmcnt(0)
	v_cvt_f32_f16_e32 v204, v176
.LBB74_72:                              ;   in Loop: Header=BB74_5 Depth=1
	s_or_b64 exec, exec, s[36:37]
	v_lshl_add_u64 v[206:207], v[106:107], 0, 31
	v_cmp_gt_i64_e32 vcc, s[12:13], v[206:207]
	s_and_b64 s[38:39], s[6:7], vcc
	v_mov_b32_e32 v176, 0
	s_and_saveexec_b64 s[36:37], s[38:39]
	s_cbranch_execz .LBB74_74
; %bb.73:                               ;   in Loop: Header=BB74_5 Depth=1
	v_lshl_add_u64 v[206:207], v[42:43], 0, v[36:37]
	global_load_ushort v35, v[206:207], off
	v_lshl_add_u64 v[206:207], v[44:45], 0, v[36:37]
	global_load_ushort v176, v[206:207], off
	s_waitcnt vmcnt(1)
	v_cvt_f32_f16_e32 v35, v35
	s_waitcnt vmcnt(0)
	v_cvt_f32_f16_e32 v176, v176
.LBB74_74:                              ;   in Loop: Header=BB74_5 Depth=1
	s_or_b64 exec, exec, s[36:37]
	s_waitcnt vmcnt(1)
	ds_bpermute_b32 v206, v174, v171
	s_waitcnt vmcnt(0)
	ds_bpermute_b32 v207, v174, v170
	ds_bpermute_b32 v209, v174, v171 offset:4
	ds_bpermute_b32 v208, v174, v170 offset:4
	;; [unrolled: 1-line block ×3, first 2 shown]
	s_waitcnt lgkmcnt(4)
	v_sub_f32_e32 v175, v175, v206
	v_mul_f32_e32 v175, v4, v175
	s_waitcnt lgkmcnt(3)
	v_mul_f32_e32 v207, v175, v207
	s_waitcnt lgkmcnt(2)
	v_sub_f32_e32 v175, v177, v209
	ds_bpermute_b32 v177, v174, v170 offset:8
	v_mul_f32_e32 v175, v5, v175
	s_waitcnt lgkmcnt(2)
	v_mul_f32_e32 v209, v175, v208
	s_waitcnt lgkmcnt(1)
	v_sub_f32_e32 v3, v3, v210
	ds_bpermute_b32 v175, v174, v171 offset:12
	v_mul_f32_e32 v3, v6, v3
	s_waitcnt lgkmcnt(1)
	v_mul_f32_e32 v211, v3, v177
	ds_bpermute_b32 v3, v174, v170 offset:12
	ds_bpermute_b32 v177, v174, v171 offset:16
	ds_bpermute_b32 v206, v174, v170 offset:16
	s_waitcnt lgkmcnt(3)
	v_sub_f32_e32 v175, v179, v175
	v_mul_f32_e32 v175, v7, v175
	s_waitcnt lgkmcnt(2)
	v_mul_f32_e32 v179, v175, v3
	s_waitcnt lgkmcnt(1)
	v_sub_f32_e32 v3, v178, v177
	ds_bpermute_b32 v175, v174, v171 offset:20
	v_mul_f32_e32 v3, v8, v3
	s_waitcnt lgkmcnt(1)
	v_mul_f32_e32 v213, v3, v206
	ds_bpermute_b32 v3, v174, v170 offset:20
	ds_bpermute_b32 v177, v174, v171 offset:24
	ds_bpermute_b32 v178, v174, v170 offset:24
	s_waitcnt lgkmcnt(3)
	v_sub_f32_e32 v175, v181, v175
	;; [unrolled: 14-line block ×4, first 2 shown]
	v_mul_f32_e32 v175, v13, v175
	s_waitcnt lgkmcnt(2)
	v_mul_f32_e32 v219, v175, v3
	s_waitcnt lgkmcnt(1)
	v_sub_f32_e32 v3, v185, v177
	v_mul_f32_e32 v3, v14, v3
	s_waitcnt lgkmcnt(0)
	v_mul_f32_e32 v221, v3, v178
	ds_bpermute_b32 v3, v174, v171 offset:44
	v_mov_b32_e32 v210, v6
	ds_bpermute_b32 v6, v174, v170 offset:44
	v_mov_b32_e32 v212, v8
	ds_bpermute_b32 v8, v174, v171 offset:48
	s_waitcnt lgkmcnt(2)
	v_sub_f32_e32 v3, v187, v3
	v_mul_f32_e32 v3, v15, v3
	v_mov_b32_e32 v178, v7
	s_waitcnt lgkmcnt(1)
	v_mul_f32_e32 v7, v3, v6
	ds_bpermute_b32 v3, v174, v170 offset:48
	ds_bpermute_b32 v6, v174, v171 offset:52
	v_mov_b32_e32 v214, v10
	ds_bpermute_b32 v10, v174, v170 offset:52
	s_waitcnt lgkmcnt(3)
	v_sub_f32_e32 v8, v184, v8
	v_mul_f32_e32 v8, v16, v8
	v_mov_b32_e32 v180, v9
	s_waitcnt lgkmcnt(2)
	v_mul_f32_e32 v9, v8, v3
	s_waitcnt lgkmcnt(1)
	v_sub_f32_e32 v3, v189, v6
	ds_bpermute_b32 v6, v174, v171 offset:56
	v_mul_f32_e32 v3, v17, v3
	v_mov_b32_e32 v182, v11
	s_waitcnt lgkmcnt(1)
	v_mul_f32_e32 v11, v3, v10
	ds_bpermute_b32 v3, v174, v170 offset:56
	ds_bpermute_b32 v8, v174, v171 offset:60
	;; [unrolled: 1-line block ×3, first 2 shown]
	v_mov_b32_e32 v206, v4
	s_waitcnt lgkmcnt(3)
	v_sub_f32_e32 v6, v188, v6
	v_pk_add_f32 v[206:207], v[168:169], v[206:207]
	v_mov_b32_e32 v208, v5
	v_mul_f32_e32 v6, v18, v6
	v_pk_add_f32 v[4:5], v[208:209], v[206:207]
	v_mov_b32_e32 v218, v13
	s_waitcnt lgkmcnt(2)
	v_mul_f32_e32 v13, v6, v3
	s_waitcnt lgkmcnt(1)
	v_sub_f32_e32 v3, v191, v8
	ds_bpermute_b32 v6, v174, v171 offset:64
	v_pk_add_f32 v[4:5], v[210:211], v[4:5]
	v_mul_f32_e32 v3, v19, v3
	v_pk_add_f32 v[4:5], v[178:179], v[4:5]
	s_waitcnt lgkmcnt(1)
	v_mul_f32_e32 v179, v3, v10
	ds_bpermute_b32 v3, v174, v170 offset:64
	ds_bpermute_b32 v8, v174, v171 offset:68
	;; [unrolled: 1-line block ×3, first 2 shown]
	s_waitcnt lgkmcnt(3)
	v_sub_f32_e32 v6, v190, v6
	v_pk_add_f32 v[4:5], v[212:213], v[4:5]
	v_mul_f32_e32 v6, v20, v6
	v_pk_add_f32 v[4:5], v[180:181], v[4:5]
	s_waitcnt lgkmcnt(2)
	v_mul_f32_e32 v181, v6, v3
	s_waitcnt lgkmcnt(1)
	v_sub_f32_e32 v3, v193, v8
	ds_bpermute_b32 v6, v174, v171 offset:72
	v_pk_add_f32 v[4:5], v[214:215], v[4:5]
	v_mul_f32_e32 v3, v21, v3
	v_pk_add_f32 v[4:5], v[182:183], v[4:5]
	s_waitcnt lgkmcnt(1)
	v_mul_f32_e32 v183, v3, v10
	ds_bpermute_b32 v3, v174, v170 offset:72
	ds_bpermute_b32 v8, v174, v171 offset:76
	;; [unrolled: 1-line block ×3, first 2 shown]
	s_waitcnt lgkmcnt(3)
	v_sub_f32_e32 v6, v192, v6
	v_mul_f32_e32 v6, v22, v6
	s_waitcnt lgkmcnt(2)
	v_mul_f32_e32 v185, v6, v3
	s_waitcnt lgkmcnt(1)
	v_sub_f32_e32 v3, v196, v8
	ds_bpermute_b32 v6, v174, v171 offset:80
	v_mul_f32_e32 v3, v23, v3
	s_waitcnt lgkmcnt(1)
	v_mul_f32_e32 v187, v3, v10
	ds_bpermute_b32 v3, v174, v170 offset:80
	ds_bpermute_b32 v8, v174, v171 offset:84
	;; [unrolled: 1-line block ×3, first 2 shown]
	s_waitcnt lgkmcnt(3)
	v_sub_f32_e32 v6, v194, v6
	v_mov_b32_e32 v216, v12
	v_mul_f32_e32 v6, v24, v6
	v_pk_add_f32 v[4:5], v[216:217], v[4:5]
	s_waitcnt lgkmcnt(2)
	v_mul_f32_e32 v189, v6, v3
	s_waitcnt lgkmcnt(1)
	v_sub_f32_e32 v3, v198, v8
	v_pk_add_f32 v[4:5], v[218:219], v[4:5]
	v_mov_b32_e32 v220, v14
	v_mul_f32_e32 v3, v25, v3
	v_pk_add_f32 v[4:5], v[220:221], v[4:5]
	s_waitcnt lgkmcnt(0)
	v_mul_f32_e32 v191, v3, v10
	v_mov_b32_e32 v6, v15
	ds_bpermute_b32 v3, v174, v171 offset:88
	v_pk_add_f32 v[4:5], v[6:7], v[4:5]
	v_mov_b32_e32 v8, v16
	v_pk_add_f32 v[4:5], v[8:9], v[4:5]
	ds_bpermute_b32 v6, v174, v170 offset:88
	ds_bpermute_b32 v8, v174, v171 offset:92
	;; [unrolled: 1-line block ×3, first 2 shown]
	s_waitcnt lgkmcnt(3)
	v_sub_f32_e32 v3, v195, v3
	v_mul_f32_e32 v3, v26, v3
	s_waitcnt lgkmcnt(2)
	v_mul_f32_e32 v7, v3, v6
	s_waitcnt lgkmcnt(1)
	v_sub_f32_e32 v3, v199, v8
	ds_bpermute_b32 v6, v174, v171 offset:96
	v_mul_f32_e32 v3, v27, v3
	s_waitcnt lgkmcnt(1)
	v_mul_f32_e32 v9, v3, v9
	ds_bpermute_b32 v3, v174, v170 offset:96
	ds_bpermute_b32 v8, v174, v171 offset:100
	v_mov_b32_e32 v10, v17
	v_pk_add_f32 v[4:5], v[10:11], v[4:5]
	ds_bpermute_b32 v10, v174, v170 offset:100
	s_waitcnt lgkmcnt(3)
	v_sub_f32_e32 v6, v197, v6
	v_mul_f32_e32 v6, v28, v6
	s_waitcnt lgkmcnt(2)
	v_mul_f32_e32 v11, v6, v3
	s_waitcnt lgkmcnt(1)
	v_sub_f32_e32 v3, v201, v8
	ds_bpermute_b32 v6, v174, v171 offset:104
	v_mov_b32_e32 v12, v18
	v_mul_f32_e32 v3, v29, v3
	v_pk_add_f32 v[4:5], v[12:13], v[4:5]
	s_waitcnt lgkmcnt(1)
	v_mul_f32_e32 v13, v3, v10
	ds_bpermute_b32 v3, v174, v170 offset:104
	ds_bpermute_b32 v8, v174, v171 offset:108
	ds_bpermute_b32 v10, v174, v170 offset:108
	s_waitcnt lgkmcnt(3)
	v_sub_f32_e32 v6, v200, v6
	v_mul_f32_e32 v6, v30, v6
	v_mov_b32_e32 v178, v19
	s_waitcnt lgkmcnt(2)
	v_mul_f32_e32 v15, v6, v3
	s_waitcnt lgkmcnt(1)
	v_sub_f32_e32 v3, v203, v8
	ds_bpermute_b32 v6, v174, v171 offset:112
	v_pk_add_f32 v[4:5], v[178:179], v[4:5]
	v_mov_b32_e32 v180, v20
	v_mul_f32_e32 v3, v31, v3
	v_pk_add_f32 v[4:5], v[180:181], v[4:5]
	v_mov_b32_e32 v182, v21
	s_waitcnt lgkmcnt(1)
	v_mul_f32_e32 v17, v3, v10
	ds_bpermute_b32 v3, v174, v170 offset:112
	ds_bpermute_b32 v8, v174, v171 offset:116
	v_pk_add_f32 v[4:5], v[182:183], v[4:5]
	v_mov_b32_e32 v184, v22
	v_pk_add_f32 v[4:5], v[184:185], v[4:5]
	v_mov_b32_e32 v186, v23
	ds_bpermute_b32 v10, v174, v170 offset:116
	v_pk_add_f32 v[4:5], v[186:187], v[4:5]
	v_mov_b32_e32 v188, v24
	s_waitcnt lgkmcnt(3)
	v_sub_f32_e32 v6, v202, v6
	v_pk_add_f32 v[4:5], v[188:189], v[4:5]
	v_mov_b32_e32 v190, v25
	v_mul_f32_e32 v6, v32, v6
	v_pk_add_f32 v[4:5], v[190:191], v[4:5]
	s_waitcnt lgkmcnt(2)
	v_mul_f32_e32 v19, v6, v3
	s_waitcnt lgkmcnt(1)
	v_sub_f32_e32 v3, v205, v8
	v_mov_b32_e32 v6, v26
	v_mul_f32_e32 v3, v33, v3
	v_pk_add_f32 v[4:5], v[6:7], v[4:5]
	v_mov_b32_e32 v8, v27
	s_waitcnt lgkmcnt(0)
	v_mul_f32_e32 v21, v3, v10
	v_pk_add_f32 v[4:5], v[8:9], v[4:5]
	v_mov_b32_e32 v10, v28
	v_pk_add_f32 v[4:5], v[10:11], v[4:5]
	v_mov_b32_e32 v12, v29
	;; [unrolled: 2-line block ×3, first 2 shown]
	ds_bpermute_b32 v3, v174, v171 offset:120
	v_pk_add_f32 v[4:5], v[14:15], v[4:5]
	v_mov_b32_e32 v16, v31
	v_pk_add_f32 v[4:5], v[16:17], v[4:5]
	v_mov_b32_e32 v18, v32
	;; [unrolled: 2-line block ×3, first 2 shown]
	v_pk_add_f32 v[6:7], v[20:21], v[4:5]
	ds_bpermute_b32 v5, v174, v170 offset:120
	s_waitcnt lgkmcnt(1)
	v_sub_f32_e32 v3, v204, v3
	v_mul_f32_e32 v8, v34, v3
	ds_bpermute_b32 v3, v174, v170 offset:124
	ds_bpermute_b32 v4, v174, v171 offset:124
	s_waitcnt lgkmcnt(2)
	v_mul_f32_e32 v9, v8, v5
	v_mov_b32_e32 v8, v34
	v_pk_add_f32 v[170:171], v[8:9], v[6:7]
	s_mov_b64 s[36:37], 0
.LBB74_75:                              ;   in Loop: Header=BB74_5 Depth=1
	s_and_b64 vcc, exec, s[36:37]
	s_cbranch_vccz .LBB74_4
; %bb.76:                               ;   in Loop: Header=BB74_5 Depth=1
	s_load_dword s9, s[24:25], 0x0
	v_mov_b32_e32 v175, 0
	v_mov_b32_e32 v170, 0
	;; [unrolled: 1-line block ×3, first 2 shown]
	s_waitcnt lgkmcnt(0)
	s_cmp_lt_u32 s2, s9
	s_cselect_b32 s9, 12, 18
	s_add_u32 s36, s24, s9
	s_addc_u32 s37, s25, 0
	global_load_ushort v3, v2, s[36:37]
	s_waitcnt vmcnt(0)
	v_mad_u32_u24 v3, v173, v3, v172
	v_and_b32_e32 v4, 63, v3
	v_cmp_gt_u32_e32 vcc, 32, v4
	s_and_saveexec_b64 s[36:37], vcc
	s_cbranch_execz .LBB74_80
; %bb.77:                               ;   in Loop: Header=BB74_5 Depth=1
	v_mov_b32_e32 v5, v2
	v_lshl_add_u64 v[4:5], v[106:107], 0, v[4:5]
	v_cmp_gt_i64_e32 vcc, s[12:13], v[4:5]
	v_mov_b32_e32 v171, 0
	v_mov_b32_e32 v170, 0
	s_and_saveexec_b64 s[38:39], vcc
	s_cbranch_execz .LBB74_79
; %bb.78:                               ;   in Loop: Header=BB74_5 Depth=1
	v_lshlrev_b64 v[4:5], 2, v[4:5]
	v_lshl_add_u64 v[6:7], s[22:23], 0, v[4:5]
	v_lshl_add_u64 v[4:5], s[20:21], 0, v[4:5]
	global_load_dword v171, v[4:5], off
	global_load_dword v170, v[6:7], off
.LBB74_79:                              ;   in Loop: Header=BB74_5 Depth=1
	s_or_b64 exec, exec, s[38:39]
.LBB74_80:                              ;   in Loop: Header=BB74_5 Depth=1
	s_or_b64 exec, exec, s[36:37]
	v_mov_b32_e32 v4, v2
	v_mov_b32_e32 v5, v2
	;; [unrolled: 1-line block ×31, first 2 shown]
	v_mov_b64_e32 v[34:35], v[32:33]
	v_mov_b64_e32 v[32:33], v[30:31]
	;; [unrolled: 1-line block ×16, first 2 shown]
	s_and_saveexec_b64 s[36:37], s[6:7]
	s_cbranch_execz .LBB74_82
; %bb.81:                               ;   in Loop: Header=BB74_5 Depth=1
	v_lshl_add_u64 v[4:5], v[38:39], 0, v[36:37]
	global_load_ushort v3, v[4:5], off
	v_lshl_add_u64 v[4:5], v[40:41], 0, v[36:37]
	global_load_ushort v33, v[4:5], off
	v_mov_b32_e32 v5, v2
	v_mov_b32_e32 v6, v2
	;; [unrolled: 1-line block ×30, first 2 shown]
	s_waitcnt vmcnt(1)
	v_cvt_f32_f16_e32 v4, v3
	s_waitcnt vmcnt(0)
	v_cvt_f32_f16_e32 v175, v33
	v_mov_b32_e32 v33, v2
.LBB74_82:                              ;   in Loop: Header=BB74_5 Depth=1
	s_or_b64 exec, exec, s[36:37]
	v_mov_b32_e32 v3, 0
	v_mov_b32_e32 v106, 0
	s_and_saveexec_b64 s[36:37], s[6:7]
	s_cbranch_execz .LBB74_84
; %bb.83:                               ;   in Loop: Header=BB74_5 Depth=1
	v_lshl_add_u64 v[106:107], v[164:165], 0, v[36:37]
	global_load_ushort v5, v[106:107], off
	v_lshl_add_u64 v[106:107], v[166:167], 0, v[36:37]
	global_load_ushort v106, v[106:107], off
	s_waitcnt vmcnt(1)
	v_cvt_f32_f16_e32 v5, v5
	s_waitcnt vmcnt(0)
	v_cvt_f32_f16_e32 v106, v106
.LBB74_84:                              ;   in Loop: Header=BB74_5 Depth=1
	s_or_b64 exec, exec, s[36:37]
	s_and_saveexec_b64 s[36:37], s[6:7]
	s_cbranch_execz .LBB74_86
; %bb.85:                               ;   in Loop: Header=BB74_5 Depth=1
	v_lshl_add_u64 v[176:177], v[160:161], 0, v[36:37]
	global_load_ushort v3, v[176:177], off
	v_lshl_add_u64 v[176:177], v[162:163], 0, v[36:37]
	global_load_ushort v107, v[176:177], off
	s_waitcnt vmcnt(1)
	v_cvt_f32_f16_e32 v6, v3
	s_waitcnt vmcnt(0)
	v_cvt_f32_f16_e32 v3, v107
.LBB74_86:                              ;   in Loop: Header=BB74_5 Depth=1
	s_or_b64 exec, exec, s[36:37]
	v_mov_b32_e32 v107, 0
	v_mov_b32_e32 v177, 0
	s_and_saveexec_b64 s[36:37], s[6:7]
	s_cbranch_execz .LBB74_88
; %bb.87:                               ;   in Loop: Header=BB74_5 Depth=1
	v_lshl_add_u64 v[176:177], v[156:157], 0, v[36:37]
	global_load_ushort v7, v[176:177], off
	v_lshl_add_u64 v[176:177], v[158:159], 0, v[36:37]
	global_load_ushort v176, v[176:177], off
	s_waitcnt vmcnt(1)
	v_cvt_f32_f16_e32 v7, v7
	s_waitcnt vmcnt(0)
	v_cvt_f32_f16_e32 v177, v176
.LBB74_88:                              ;   in Loop: Header=BB74_5 Depth=1
	s_or_b64 exec, exec, s[36:37]
	s_and_saveexec_b64 s[36:37], s[6:7]
	s_cbranch_execz .LBB74_90
; %bb.89:                               ;   in Loop: Header=BB74_5 Depth=1
	v_lshl_add_u64 v[178:179], v[152:153], 0, v[36:37]
	global_load_ushort v8, v[178:179], off
	v_lshl_add_u64 v[178:179], v[154:155], 0, v[36:37]
	global_load_ushort v107, v[178:179], off
	s_waitcnt vmcnt(1)
	v_cvt_f32_f16_e32 v8, v8
	s_waitcnt vmcnt(0)
	v_cvt_f32_f16_e32 v107, v107
.LBB74_90:                              ;   in Loop: Header=BB74_5 Depth=1
	s_or_b64 exec, exec, s[36:37]
	v_mov_b32_e32 v178, 0
	v_mov_b32_e32 v179, 0
	s_and_saveexec_b64 s[36:37], s[6:7]
	s_cbranch_execz .LBB74_92
; %bb.91:                               ;   in Loop: Header=BB74_5 Depth=1
	v_lshl_add_u64 v[180:181], v[148:149], 0, v[36:37]
	global_load_ushort v9, v[180:181], off
	v_lshl_add_u64 v[180:181], v[150:151], 0, v[36:37]
	global_load_ushort v176, v[180:181], off
	s_waitcnt vmcnt(1)
	v_cvt_f32_f16_e32 v9, v9
	s_waitcnt vmcnt(0)
	v_cvt_f32_f16_e32 v179, v176
.LBB74_92:                              ;   in Loop: Header=BB74_5 Depth=1
	s_or_b64 exec, exec, s[36:37]
	s_and_saveexec_b64 s[36:37], s[6:7]
	s_cbranch_execz .LBB74_94
; %bb.93:                               ;   in Loop: Header=BB74_5 Depth=1
	v_lshl_add_u64 v[180:181], v[144:145], 0, v[36:37]
	global_load_ushort v10, v[180:181], off
	v_lshl_add_u64 v[180:181], v[146:147], 0, v[36:37]
	global_load_ushort v176, v[180:181], off
	s_waitcnt vmcnt(1)
	v_cvt_f32_f16_e32 v10, v10
	s_waitcnt vmcnt(0)
	v_cvt_f32_f16_e32 v178, v176
.LBB74_94:                              ;   in Loop: Header=BB74_5 Depth=1
	s_or_b64 exec, exec, s[36:37]
	v_mov_b32_e32 v180, 0
	v_mov_b32_e32 v181, 0
	s_and_saveexec_b64 s[36:37], s[6:7]
	s_cbranch_execz .LBB74_96
; %bb.95:                               ;   in Loop: Header=BB74_5 Depth=1
	v_lshl_add_u64 v[182:183], v[140:141], 0, v[36:37]
	global_load_ushort v11, v[182:183], off
	v_lshl_add_u64 v[182:183], v[142:143], 0, v[36:37]
	global_load_ushort v176, v[182:183], off
	s_waitcnt vmcnt(1)
	v_cvt_f32_f16_e32 v11, v11
	s_waitcnt vmcnt(0)
	v_cvt_f32_f16_e32 v181, v176
.LBB74_96:                              ;   in Loop: Header=BB74_5 Depth=1
	s_or_b64 exec, exec, s[36:37]
	s_and_saveexec_b64 s[36:37], s[6:7]
	s_cbranch_execz .LBB74_98
; %bb.97:                               ;   in Loop: Header=BB74_5 Depth=1
	v_lshl_add_u64 v[182:183], v[136:137], 0, v[36:37]
	global_load_ushort v12, v[182:183], off
	v_lshl_add_u64 v[182:183], v[138:139], 0, v[36:37]
	global_load_ushort v176, v[182:183], off
	s_waitcnt vmcnt(1)
	v_cvt_f32_f16_e32 v12, v12
	s_waitcnt vmcnt(0)
	v_cvt_f32_f16_e32 v180, v176
.LBB74_98:                              ;   in Loop: Header=BB74_5 Depth=1
	s_or_b64 exec, exec, s[36:37]
	v_mov_b32_e32 v183, 0
	v_mov_b32_e32 v185, 0
	s_and_saveexec_b64 s[36:37], s[6:7]
	s_cbranch_execz .LBB74_100
; %bb.99:                               ;   in Loop: Header=BB74_5 Depth=1
	v_lshl_add_u64 v[184:185], v[132:133], 0, v[36:37]
	global_load_ushort v13, v[184:185], off
	v_lshl_add_u64 v[184:185], v[134:135], 0, v[36:37]
	global_load_ushort v176, v[184:185], off
	s_waitcnt vmcnt(1)
	v_cvt_f32_f16_e32 v13, v13
	s_waitcnt vmcnt(0)
	v_cvt_f32_f16_e32 v185, v176
.LBB74_100:                             ;   in Loop: Header=BB74_5 Depth=1
	s_or_b64 exec, exec, s[36:37]
	s_and_saveexec_b64 s[36:37], s[6:7]
	s_cbranch_execz .LBB74_102
; %bb.101:                              ;   in Loop: Header=BB74_5 Depth=1
	v_lshl_add_u64 v[182:183], v[128:129], 0, v[36:37]
	global_load_ushort v14, v[182:183], off
	v_lshl_add_u64 v[182:183], v[130:131], 0, v[36:37]
	global_load_ushort v176, v[182:183], off
	s_waitcnt vmcnt(1)
	v_cvt_f32_f16_e32 v14, v14
	s_waitcnt vmcnt(0)
	v_cvt_f32_f16_e32 v183, v176
.LBB74_102:                             ;   in Loop: Header=BB74_5 Depth=1
	s_or_b64 exec, exec, s[36:37]
	v_mov_b32_e32 v182, 0
	v_mov_b32_e32 v184, 0
	s_and_saveexec_b64 s[36:37], s[6:7]
	s_cbranch_execz .LBB74_104
; %bb.103:                              ;   in Loop: Header=BB74_5 Depth=1
	v_lshl_add_u64 v[186:187], v[124:125], 0, v[36:37]
	global_load_ushort v15, v[186:187], off
	v_lshl_add_u64 v[186:187], v[126:127], 0, v[36:37]
	global_load_ushort v176, v[186:187], off
	s_waitcnt vmcnt(1)
	v_cvt_f32_f16_e32 v15, v15
	s_waitcnt vmcnt(0)
	v_cvt_f32_f16_e32 v184, v176
.LBB74_104:                             ;   in Loop: Header=BB74_5 Depth=1
	s_or_b64 exec, exec, s[36:37]
	s_and_saveexec_b64 s[36:37], s[6:7]
	s_cbranch_execz .LBB74_106
; %bb.105:                              ;   in Loop: Header=BB74_5 Depth=1
	v_lshl_add_u64 v[186:187], v[120:121], 0, v[36:37]
	global_load_ushort v16, v[186:187], off
	v_lshl_add_u64 v[186:187], v[122:123], 0, v[36:37]
	global_load_ushort v176, v[186:187], off
	s_waitcnt vmcnt(1)
	v_cvt_f32_f16_e32 v16, v16
	s_waitcnt vmcnt(0)
	v_cvt_f32_f16_e32 v182, v176
.LBB74_106:                             ;   in Loop: Header=BB74_5 Depth=1
	s_or_b64 exec, exec, s[36:37]
	v_mov_b32_e32 v186, 0
	v_mov_b32_e32 v187, 0
	s_and_saveexec_b64 s[36:37], s[6:7]
	s_cbranch_execz .LBB74_108
; %bb.107:                              ;   in Loop: Header=BB74_5 Depth=1
	v_lshl_add_u64 v[188:189], v[116:117], 0, v[36:37]
	global_load_ushort v17, v[188:189], off
	v_lshl_add_u64 v[188:189], v[118:119], 0, v[36:37]
	global_load_ushort v176, v[188:189], off
	s_waitcnt vmcnt(1)
	v_cvt_f32_f16_e32 v17, v17
	s_waitcnt vmcnt(0)
	v_cvt_f32_f16_e32 v187, v176
.LBB74_108:                             ;   in Loop: Header=BB74_5 Depth=1
	s_or_b64 exec, exec, s[36:37]
	s_and_saveexec_b64 s[36:37], s[6:7]
	s_cbranch_execz .LBB74_110
; %bb.109:                              ;   in Loop: Header=BB74_5 Depth=1
	v_lshl_add_u64 v[188:189], v[112:113], 0, v[36:37]
	global_load_ushort v18, v[188:189], off
	v_lshl_add_u64 v[188:189], v[114:115], 0, v[36:37]
	global_load_ushort v176, v[188:189], off
	s_waitcnt vmcnt(1)
	v_cvt_f32_f16_e32 v18, v18
	s_waitcnt vmcnt(0)
	v_cvt_f32_f16_e32 v186, v176
.LBB74_110:                             ;   in Loop: Header=BB74_5 Depth=1
	s_or_b64 exec, exec, s[36:37]
	v_mov_b32_e32 v188, 0
	v_mov_b32_e32 v189, 0
	s_and_saveexec_b64 s[36:37], s[6:7]
	s_cbranch_execz .LBB74_112
; %bb.111:                              ;   in Loop: Header=BB74_5 Depth=1
	v_lshl_add_u64 v[190:191], v[108:109], 0, v[36:37]
	global_load_ushort v19, v[190:191], off
	v_lshl_add_u64 v[190:191], v[110:111], 0, v[36:37]
	global_load_ushort v176, v[190:191], off
	s_waitcnt vmcnt(1)
	v_cvt_f32_f16_e32 v19, v19
	s_waitcnt vmcnt(0)
	v_cvt_f32_f16_e32 v189, v176
.LBB74_112:                             ;   in Loop: Header=BB74_5 Depth=1
	s_or_b64 exec, exec, s[36:37]
	s_and_saveexec_b64 s[36:37], s[6:7]
	s_cbranch_execz .LBB74_114
; %bb.113:                              ;   in Loop: Header=BB74_5 Depth=1
	v_lshl_add_u64 v[190:191], v[102:103], 0, v[36:37]
	global_load_ushort v20, v[190:191], off
	v_lshl_add_u64 v[190:191], v[104:105], 0, v[36:37]
	global_load_ushort v176, v[190:191], off
	s_waitcnt vmcnt(1)
	v_cvt_f32_f16_e32 v20, v20
	s_waitcnt vmcnt(0)
	v_cvt_f32_f16_e32 v188, v176
.LBB74_114:                             ;   in Loop: Header=BB74_5 Depth=1
	s_or_b64 exec, exec, s[36:37]
	v_mov_b32_e32 v190, 0
	v_mov_b32_e32 v191, 0
	s_and_saveexec_b64 s[36:37], s[6:7]
	s_cbranch_execz .LBB74_116
; %bb.115:                              ;   in Loop: Header=BB74_5 Depth=1
	v_lshl_add_u64 v[192:193], v[98:99], 0, v[36:37]
	global_load_ushort v21, v[192:193], off
	v_lshl_add_u64 v[192:193], v[100:101], 0, v[36:37]
	global_load_ushort v176, v[192:193], off
	s_waitcnt vmcnt(1)
	v_cvt_f32_f16_e32 v21, v21
	s_waitcnt vmcnt(0)
	v_cvt_f32_f16_e32 v191, v176
.LBB74_116:                             ;   in Loop: Header=BB74_5 Depth=1
	s_or_b64 exec, exec, s[36:37]
	s_and_saveexec_b64 s[36:37], s[6:7]
	s_cbranch_execz .LBB74_118
; %bb.117:                              ;   in Loop: Header=BB74_5 Depth=1
	v_lshl_add_u64 v[192:193], v[94:95], 0, v[36:37]
	global_load_ushort v22, v[192:193], off
	v_lshl_add_u64 v[192:193], v[96:97], 0, v[36:37]
	global_load_ushort v176, v[192:193], off
	s_waitcnt vmcnt(1)
	v_cvt_f32_f16_e32 v22, v22
	s_waitcnt vmcnt(0)
	v_cvt_f32_f16_e32 v190, v176
.LBB74_118:                             ;   in Loop: Header=BB74_5 Depth=1
	s_or_b64 exec, exec, s[36:37]
	v_mov_b32_e32 v193, 0
	v_mov_b32_e32 v194, 0
	s_and_saveexec_b64 s[36:37], s[6:7]
	s_cbranch_execz .LBB74_120
; %bb.119:                              ;   in Loop: Header=BB74_5 Depth=1
	v_lshl_add_u64 v[194:195], v[90:91], 0, v[36:37]
	global_load_ushort v23, v[194:195], off
	v_lshl_add_u64 v[194:195], v[92:93], 0, v[36:37]
	global_load_ushort v176, v[194:195], off
	s_waitcnt vmcnt(1)
	v_cvt_f32_f16_e32 v23, v23
	s_waitcnt vmcnt(0)
	v_cvt_f32_f16_e32 v194, v176
.LBB74_120:                             ;   in Loop: Header=BB74_5 Depth=1
	s_or_b64 exec, exec, s[36:37]
	s_and_saveexec_b64 s[36:37], s[6:7]
	s_cbranch_execz .LBB74_122
; %bb.121:                              ;   in Loop: Header=BB74_5 Depth=1
	v_lshl_add_u64 v[192:193], v[86:87], 0, v[36:37]
	global_load_ushort v24, v[192:193], off
	v_lshl_add_u64 v[192:193], v[88:89], 0, v[36:37]
	global_load_ushort v176, v[192:193], off
	s_waitcnt vmcnt(1)
	v_cvt_f32_f16_e32 v24, v24
	s_waitcnt vmcnt(0)
	v_cvt_f32_f16_e32 v193, v176
.LBB74_122:                             ;   in Loop: Header=BB74_5 Depth=1
	s_or_b64 exec, exec, s[36:37]
	v_mov_b32_e32 v192, 0
	v_mov_b32_e32 v197, 0
	s_and_saveexec_b64 s[36:37], s[6:7]
	s_cbranch_execz .LBB74_124
; %bb.123:                              ;   in Loop: Header=BB74_5 Depth=1
	v_lshl_add_u64 v[196:197], v[82:83], 0, v[36:37]
	global_load_ushort v25, v[196:197], off
	v_lshl_add_u64 v[196:197], v[84:85], 0, v[36:37]
	global_load_ushort v176, v[196:197], off
	s_waitcnt vmcnt(1)
	v_cvt_f32_f16_e32 v25, v25
	s_waitcnt vmcnt(0)
	v_cvt_f32_f16_e32 v197, v176
.LBB74_124:                             ;   in Loop: Header=BB74_5 Depth=1
	s_or_b64 exec, exec, s[36:37]
	s_and_saveexec_b64 s[36:37], s[6:7]
	s_cbranch_execz .LBB74_126
; %bb.125:                              ;   in Loop: Header=BB74_5 Depth=1
	v_lshl_add_u64 v[198:199], v[78:79], 0, v[36:37]
	global_load_ushort v26, v[198:199], off
	v_lshl_add_u64 v[198:199], v[80:81], 0, v[36:37]
	global_load_ushort v176, v[198:199], off
	s_waitcnt vmcnt(1)
	v_cvt_f32_f16_e32 v26, v26
	s_waitcnt vmcnt(0)
	v_cvt_f32_f16_e32 v192, v176
.LBB74_126:                             ;   in Loop: Header=BB74_5 Depth=1
	s_or_b64 exec, exec, s[36:37]
	v_mov_b32_e32 v195, 0
	v_mov_b32_e32 v196, 0
	s_and_saveexec_b64 s[36:37], s[6:7]
	s_cbranch_execz .LBB74_128
; %bb.127:                              ;   in Loop: Header=BB74_5 Depth=1
	v_lshl_add_u64 v[198:199], v[74:75], 0, v[36:37]
	global_load_ushort v27, v[198:199], off
	v_lshl_add_u64 v[198:199], v[76:77], 0, v[36:37]
	global_load_ushort v176, v[198:199], off
	s_waitcnt vmcnt(1)
	v_cvt_f32_f16_e32 v27, v27
	s_waitcnt vmcnt(0)
	v_cvt_f32_f16_e32 v196, v176
.LBB74_128:                             ;   in Loop: Header=BB74_5 Depth=1
	s_or_b64 exec, exec, s[36:37]
	s_and_saveexec_b64 s[36:37], s[6:7]
	s_cbranch_execz .LBB74_130
; %bb.129:                              ;   in Loop: Header=BB74_5 Depth=1
	v_lshl_add_u64 v[198:199], v[70:71], 0, v[36:37]
	global_load_ushort v28, v[198:199], off
	v_lshl_add_u64 v[198:199], v[72:73], 0, v[36:37]
	global_load_ushort v176, v[198:199], off
	s_waitcnt vmcnt(1)
	v_cvt_f32_f16_e32 v28, v28
	s_waitcnt vmcnt(0)
	v_cvt_f32_f16_e32 v195, v176
.LBB74_130:                             ;   in Loop: Header=BB74_5 Depth=1
	s_or_b64 exec, exec, s[36:37]
	v_mov_b32_e32 v198, 0
	v_mov_b32_e32 v199, 0
	s_and_saveexec_b64 s[36:37], s[6:7]
	s_cbranch_execz .LBB74_132
; %bb.131:                              ;   in Loop: Header=BB74_5 Depth=1
	v_lshl_add_u64 v[200:201], v[66:67], 0, v[36:37]
	global_load_ushort v29, v[200:201], off
	v_lshl_add_u64 v[200:201], v[68:69], 0, v[36:37]
	global_load_ushort v176, v[200:201], off
	s_waitcnt vmcnt(1)
	v_cvt_f32_f16_e32 v29, v29
	s_waitcnt vmcnt(0)
	v_cvt_f32_f16_e32 v199, v176
.LBB74_132:                             ;   in Loop: Header=BB74_5 Depth=1
	s_or_b64 exec, exec, s[36:37]
	s_and_saveexec_b64 s[36:37], s[6:7]
	s_cbranch_execz .LBB74_134
; %bb.133:                              ;   in Loop: Header=BB74_5 Depth=1
	v_lshl_add_u64 v[200:201], v[62:63], 0, v[36:37]
	global_load_ushort v30, v[200:201], off
	v_lshl_add_u64 v[200:201], v[64:65], 0, v[36:37]
	global_load_ushort v176, v[200:201], off
	s_waitcnt vmcnt(1)
	v_cvt_f32_f16_e32 v30, v30
	s_waitcnt vmcnt(0)
	v_cvt_f32_f16_e32 v198, v176
.LBB74_134:                             ;   in Loop: Header=BB74_5 Depth=1
	s_or_b64 exec, exec, s[36:37]
	v_mov_b32_e32 v200, 0
	v_mov_b32_e32 v202, 0
	s_and_saveexec_b64 s[36:37], s[6:7]
	s_cbranch_execz .LBB74_136
; %bb.135:                              ;   in Loop: Header=BB74_5 Depth=1
	v_lshl_add_u64 v[202:203], v[58:59], 0, v[36:37]
	global_load_ushort v31, v[202:203], off
	v_lshl_add_u64 v[202:203], v[60:61], 0, v[36:37]
	global_load_ushort v176, v[202:203], off
	s_waitcnt vmcnt(1)
	v_cvt_f32_f16_e32 v31, v31
	s_waitcnt vmcnt(0)
	v_cvt_f32_f16_e32 v202, v176
.LBB74_136:                             ;   in Loop: Header=BB74_5 Depth=1
	s_or_b64 exec, exec, s[36:37]
	s_and_saveexec_b64 s[36:37], s[6:7]
	s_cbranch_execz .LBB74_138
; %bb.137:                              ;   in Loop: Header=BB74_5 Depth=1
	v_lshl_add_u64 v[200:201], v[54:55], 0, v[36:37]
	global_load_ushort v32, v[200:201], off
	v_lshl_add_u64 v[200:201], v[56:57], 0, v[36:37]
	global_load_ushort v176, v[200:201], off
	s_waitcnt vmcnt(1)
	v_cvt_f32_f16_e32 v32, v32
	s_waitcnt vmcnt(0)
	v_cvt_f32_f16_e32 v200, v176
.LBB74_138:                             ;   in Loop: Header=BB74_5 Depth=1
	s_or_b64 exec, exec, s[36:37]
	v_mov_b32_e32 v201, 0
	v_mov_b32_e32 v203, 0
	s_and_saveexec_b64 s[36:37], s[6:7]
	s_cbranch_execnz .LBB74_141
; %bb.139:                              ;   in Loop: Header=BB74_5 Depth=1
	s_or_b64 exec, exec, s[36:37]
	s_and_saveexec_b64 s[36:37], s[6:7]
	s_cbranch_execnz .LBB74_142
.LBB74_140:                             ;   in Loop: Header=BB74_5 Depth=1
	s_or_b64 exec, exec, s[36:37]
	v_mov_b32_e32 v176, 0
	s_and_saveexec_b64 s[36:37], s[6:7]
	s_cbranch_execz .LBB74_3
	s_branch .LBB74_143
.LBB74_141:                             ;   in Loop: Header=BB74_5 Depth=1
	v_lshl_add_u64 v[204:205], v[50:51], 0, v[36:37]
	global_load_ushort v33, v[204:205], off
	v_lshl_add_u64 v[204:205], v[52:53], 0, v[36:37]
	global_load_ushort v176, v[204:205], off
	s_waitcnt vmcnt(1)
	v_cvt_f32_f16_e32 v33, v33
	s_waitcnt vmcnt(0)
	v_cvt_f32_f16_e32 v203, v176
	s_or_b64 exec, exec, s[36:37]
	s_and_saveexec_b64 s[36:37], s[6:7]
	s_cbranch_execz .LBB74_140
.LBB74_142:                             ;   in Loop: Header=BB74_5 Depth=1
	v_lshl_add_u64 v[204:205], v[46:47], 0, v[36:37]
	global_load_ushort v34, v[204:205], off
	v_lshl_add_u64 v[204:205], v[48:49], 0, v[36:37]
	global_load_ushort v176, v[204:205], off
	s_waitcnt vmcnt(1)
	v_cvt_f32_f16_e32 v34, v34
	s_waitcnt vmcnt(0)
	v_cvt_f32_f16_e32 v201, v176
	s_or_b64 exec, exec, s[36:37]
	v_mov_b32_e32 v176, 0
	s_and_saveexec_b64 s[36:37], s[6:7]
	s_cbranch_execz .LBB74_3
.LBB74_143:                             ;   in Loop: Header=BB74_5 Depth=1
	v_lshl_add_u64 v[204:205], v[42:43], 0, v[36:37]
	global_load_ushort v35, v[204:205], off
	v_lshl_add_u64 v[204:205], v[44:45], 0, v[36:37]
	global_load_ushort v176, v[204:205], off
	s_waitcnt vmcnt(1)
	v_cvt_f32_f16_e32 v35, v35
	s_waitcnt vmcnt(0)
	v_cvt_f32_f16_e32 v176, v176
	s_branch .LBB74_3
.LBB74_144:
                                        ; implicit-def: $vgpr168_vgpr169
	s_branch .LBB74_147
.LBB74_145:
	v_mov_b32_e32 v168, 0
	v_mov_b32_e32 v169, v168
.LBB74_146:
	s_cbranch_execnz .LBB74_228
.LBB74_147:
	s_and_b64 vcc, exec, s[4:5]
	s_mov_b32 s5, 0
	s_cbranch_vccnz .LBB74_226
; %bb.148:
	v_mov_b32_e32 v2, 0
	v_bfe_u32 v6, v0, 10, 10
	v_and_b32_e32 v1, 0x3ff, v0
	v_lshlrev_b32_e32 v102, 5, v6
	v_mov_b32_e32 v103, v2
	v_accvgpr_write_b32 a1, v1
	v_add_u32_e32 v4, s3, v1
	v_mov_b32_e32 v5, v2
	v_accvgpr_write_b32 a0, v0
	v_lshl_add_u64 v[0:1], v[102:103], 0, s[10:11]
	v_lshlrev_b64 v[38:39], 1, v[4:5]
	v_mul_lo_u32 v3, s15, v0
	v_mul_lo_u32 v70, s14, v1
	v_mad_u64_u32 v[4:5], s[24:25], s14, v0, 0
	v_add3_u32 v5, v5, v70, v3
	v_lshlrev_b64 v[4:5], 1, v[4:5]
	v_lshl_add_u64 v[8:9], s[16:17], 0, v[4:5]
	v_lshl_add_u64 v[4:5], s[18:19], 0, v[4:5]
	v_accvgpr_write_b32 a9, v5
	v_accvgpr_write_b32 a8, v4
	v_lshlrev_b32_e32 v4, 6, v6
	v_mov_b32_e32 v5, v2
	v_lshl_add_u64 v[4:5], s[10:11], 1, v[4:5]
	v_lshl_add_u64 v[58:59], v[4:5], 0, 2
	v_mov_b64_e32 v[68:69], s[16:17]
	v_accvgpr_write_b32 a2, v6
	v_mad_u64_u32 v[6:7], s[26:27], s14, v58, v[68:69]
	v_mul_lo_u32 v59, s14, v59
	v_mul_lo_u32 v71, s15, v58
	v_add3_u32 v7, v71, v7, v59
	v_accvgpr_write_b32 a11, v7
	v_lshl_add_u64 v[62:63], v[4:5], 0, 4
	v_accvgpr_write_b32 a10, v6
	v_mad_u64_u32 v[6:7], s[26:27], s14, v62, v[68:69]
	v_mul_lo_u32 v63, s14, v63
	v_mul_lo_u32 v72, s15, v62
	v_add3_u32 v7, v72, v7, v63
	v_accvgpr_write_b32 a13, v7
	v_lshl_add_u64 v[64:65], v[4:5], 0, 6
	;; [unrolled: 7-line block ×27, first 2 shown]
	v_accvgpr_write_b32 a62, v6
	v_mad_u64_u32 v[6:7], s[26:27], s14, v10, v[68:69]
	v_mul_lo_u32 v11, s14, v11
	v_mul_lo_u32 v98, s15, v10
	v_accvgpr_write_b32 a6, v8
	v_add3_u32 v7, v98, v7, v11
	v_accvgpr_write_b32 a7, v9
	v_accvgpr_write_b32 a65, v7
	v_lshl_add_u64 v[8:9], v[4:5], 0, 58
	v_accvgpr_write_b32 a64, v6
	v_mad_u64_u32 v[6:7], s[26:27], s14, v8, v[68:69]
	v_mul_lo_u32 v9, s14, v9
	v_mul_lo_u32 v99, s15, v8
	v_add3_u32 v7, v99, v7, v9
	v_accvgpr_write_b32 a67, v7
	v_accvgpr_write_b32 a66, v6
	v_lshl_add_u64 v[6:7], v[4:5], 0, 60
	v_lshl_add_u64 v[4:5], v[4:5], 0, 62
	v_mad_u64_u32 v[104:105], s[26:27], s14, v6, v[68:69]
	v_mul_lo_u32 v100, s14, v7
	v_mad_u64_u32 v[68:69], s[26:27], s14, v4, v[68:69]
	v_mul_lo_u32 v5, s14, v5
	v_mul_lo_u32 v7, s15, v4
	v_add3_u32 v69, v7, v69, v5
	v_accvgpr_write_b32 a71, v69
	v_accvgpr_write_b32 a70, v68
	v_mov_b64_e32 v[68:69], s[18:19]
	v_mad_u64_u32 v[166:167], s[26:27], s14, v4, v[68:69]
	v_add3_u32 v167, v7, v167, v5
	v_lshl_add_u64 v[4:5], v[0:1], 0, 31
	v_mul_lo_u32 v101, s15, v6
	v_mad_u64_u32 v[164:165], s[26:27], s14, v6, v[68:69]
	v_mul_lo_u32 v6, s15, v4
	v_mul_lo_u32 v7, s14, v5
	v_mad_u64_u32 v[4:5], s[28:29], s14, v4, 0
	v_add3_u32 v5, v5, v7, v6
	v_mad_u64_u32 v[124:125], s[26:27], s14, v48, v[68:69]
	v_mad_u64_u32 v[126:127], s[26:27], s14, v46, v[68:69]
	v_lshlrev_b64 v[4:5], 1, v[4:5]
	v_add3_u32 v125, v80, v125, v49
	v_add3_u32 v127, v81, v127, v47
	v_lshl_add_u64 v[80:81], s[16:17], 0, v[4:5]
	v_lshl_add_u64 v[170:171], s[18:19], 0, v[4:5]
	v_lshl_add_u64 v[4:5], v[0:1], 0, 30
	v_mul_lo_u32 v6, s15, v4
	v_mul_lo_u32 v7, s14, v5
	v_mad_u64_u32 v[4:5], s[28:29], s14, v4, 0
	v_add3_u32 v5, v5, v7, v6
	v_lshlrev_b64 v[4:5], 1, v[4:5]
	v_lshl_add_u64 v[172:173], s[16:17], 0, v[4:5]
	v_lshl_add_u64 v[174:175], s[18:19], 0, v[4:5]
	v_lshl_add_u64 v[4:5], v[0:1], 0, 29
	v_mul_lo_u32 v6, s15, v4
	v_mul_lo_u32 v7, s14, v5
	v_mad_u64_u32 v[4:5], s[28:29], s14, v4, 0
	v_add3_u32 v5, v5, v7, v6
	v_lshlrev_b64 v[4:5], 1, v[4:5]
	;; [unrolled: 8-line block ×8, first 2 shown]
	v_lshl_add_u64 v[200:201], s[16:17], 0, v[4:5]
	v_lshl_add_u64 v[202:203], s[18:19], 0, v[4:5]
	;; [unrolled: 1-line block ×3, first 2 shown]
	v_mul_lo_u32 v6, s15, v4
	v_mul_lo_u32 v7, s14, v5
	v_mad_u64_u32 v[4:5], s[28:29], s14, v4, 0
	v_mad_u64_u32 v[162:163], s[26:27], s14, v8, v[68:69]
	v_add3_u32 v5, v5, v7, v6
	v_lshl_add_u64 v[6:7], v[0:1], 0, 21
	v_add3_u32 v163, v99, v163, v9
	v_mul_lo_u32 v8, s15, v6
	v_mul_lo_u32 v9, s14, v7
	v_mad_u64_u32 v[6:7], s[28:29], s14, v6, 0
	v_mad_u64_u32 v[160:161], s[26:27], s14, v10, v[68:69]
	v_add3_u32 v7, v7, v9, v8
	v_lshl_add_u64 v[8:9], v[0:1], 0, 20
	v_add3_u32 v161, v98, v161, v11
	;; [unrolled: 7-line block ×14, first 2 shown]
	v_mul_lo_u32 v34, s15, v32
	v_mul_lo_u32 v35, s14, v33
	v_mad_u64_u32 v[32:33], s[28:29], s14, v32, 0
	v_add3_u32 v105, v101, v105, v100
	v_accvgpr_write_b32 a68, v104
	v_mad_u64_u32 v[134:135], s[26:27], s14, v36, v[68:69]
	v_add3_u32 v33, v33, v35, v34
	v_lshl_add_u64 v[34:35], v[0:1], 0, 7
	v_accvgpr_write_b32 a69, v105
	v_mad_u64_u32 v[104:105], s[26:27], s14, v58, v[68:69]
	v_add3_u32 v135, v85, v135, v37
	v_mul_lo_u32 v36, s15, v34
	v_mul_lo_u32 v37, s14, v35
	v_mad_u64_u32 v[34:35], s[28:29], s14, v34, 0
	v_add3_u32 v105, v71, v105, v59
	v_mad_u64_u32 v[58:59], s[26:27], s14, v62, v[68:69]
	v_mad_u64_u32 v[132:133], s[26:27], s14, v40, v[68:69]
	v_add3_u32 v35, v35, v37, v36
	v_lshl_add_u64 v[36:37], v[0:1], 0, 6
	v_add3_u32 v59, v72, v59, v63
	v_add3_u32 v133, v84, v133, v41
	v_mul_lo_u32 v40, s15, v36
	v_mul_lo_u32 v41, s14, v37
	v_mad_u64_u32 v[36:37], s[28:29], s14, v36, 0
	v_accvgpr_write_b32 a75, v59
	v_mad_u64_u32 v[130:131], s[26:27], s14, v42, v[68:69]
	v_add3_u32 v37, v37, v41, v40
	v_lshl_add_u64 v[40:41], v[0:1], 0, 5
	v_accvgpr_write_b32 a74, v58
	v_mad_u64_u32 v[58:59], s[26:27], s14, v64, v[68:69]
	v_add3_u32 v131, v83, v131, v43
	v_mul_lo_u32 v42, s15, v40
	v_mul_lo_u32 v43, s14, v41
	v_mad_u64_u32 v[40:41], s[28:29], s14, v40, 0
	v_add3_u32 v59, v73, v59, v65
	v_mad_u64_u32 v[128:129], s[26:27], s14, v44, v[68:69]
	v_add3_u32 v41, v41, v43, v42
	v_lshl_add_u64 v[42:43], v[0:1], 0, 4
	v_accvgpr_write_b32 a77, v59
	v_add3_u32 v129, v82, v129, v45
	v_mul_lo_u32 v44, s15, v42
	v_mul_lo_u32 v45, s14, v43
	v_mad_u64_u32 v[42:43], s[28:29], s14, v42, 0
	v_accvgpr_write_b32 a76, v58
	v_mad_u64_u32 v[58:59], s[26:27], s14, v66, v[68:69]
	v_add3_u32 v43, v43, v45, v44
	v_lshl_add_u64 v[44:45], v[0:1], 0, 3
	v_add3_u32 v59, v74, v59, v67
	v_mul_lo_u32 v46, s15, v44
	v_mul_lo_u32 v45, s14, v45
	v_mad_u64_u32 v[66:67], s[28:29], s14, v44, 0
	v_add3_u32 v67, v67, v45, v46
	v_lshl_add_u64 v[44:45], v[0:1], 0, 2
	v_accvgpr_write_b32 a79, v59
	v_mul_lo_u32 v1, s15, v44
	v_mul_lo_u32 v45, s14, v45
	v_mad_u64_u32 v[72:73], s[28:29], s14, v44, 0
	v_accvgpr_write_b32 a78, v58
	v_mad_u64_u32 v[58:59], s[26:27], s14, v60, v[68:69]
	v_add3_u32 v73, v73, v45, v1
	v_mov_b64_e32 v[44:45], s[14:15]
	v_add3_u32 v59, v75, v59, v61
	v_mad_u64_u32 v[74:75], s[28:29], s14, v0, v[44:45]
	v_lshlrev_b64 v[0:1], 1, v[6:7]
	v_lshl_add_u64 v[208:209], s[16:17], 0, v[0:1]
	v_lshl_add_u64 v[210:211], s[18:19], 0, v[0:1]
	v_lshlrev_b64 v[0:1], 1, v[8:9]
	v_accvgpr_write_b32 a81, v59
	v_lshl_add_u64 v[212:213], s[16:17], 0, v[0:1]
	v_lshl_add_u64 v[214:215], s[18:19], 0, v[0:1]
	v_lshlrev_b64 v[0:1], 1, v[10:11]
	v_accvgpr_write_b32 a80, v58
	v_mad_u64_u32 v[58:59], s[26:27], s14, v56, v[68:69]
	v_lshl_add_u64 v[216:217], s[16:17], 0, v[0:1]
	v_lshl_add_u64 v[218:219], s[18:19], 0, v[0:1]
	v_lshlrev_b64 v[0:1], 1, v[12:13]
	v_add3_u32 v59, v76, v59, v57
	v_mad_u64_u32 v[56:57], s[26:27], s14, v54, v[68:69]
	v_lshlrev_b64 v[4:5], 1, v[4:5]
	v_lshl_add_u64 v[220:221], s[16:17], 0, v[0:1]
	v_lshl_add_u64 v[222:223], s[18:19], 0, v[0:1]
	v_lshlrev_b64 v[0:1], 1, v[14:15]
	s_load_dword s3, s[0:1], 0x44
	v_add3_u32 v57, v77, v57, v55
	v_mad_u64_u32 v[54:55], s[26:27], s14, v52, v[68:69]
	v_lshl_add_u64 v[204:205], s[16:17], 0, v[4:5]
	v_lshl_add_u64 v[206:207], s[18:19], 0, v[4:5]
	;; [unrolled: 1-line block ×4, first 2 shown]
	v_lshlrev_b64 v[0:1], 1, v[16:17]
	v_lshlrev_b64 v[4:5], 1, v[32:33]
	v_add3_u32 v55, v78, v55, v53
	v_mad_u64_u32 v[122:123], s[26:27], s14, v50, v[68:69]
	v_lshl_add_u64 v[228:229], s[16:17], 0, v[0:1]
	v_lshl_add_u64 v[230:231], s[18:19], 0, v[0:1]
	v_lshlrev_b64 v[0:1], 1, v[18:19]
	v_lshl_add_u64 v[46:47], s[16:17], 0, v[4:5]
	v_lshl_add_u64 v[48:49], s[18:19], 0, v[4:5]
	v_lshlrev_b64 v[4:5], 1, v[34:35]
	v_accvgpr_write_b32 a85, v57
	v_accvgpr_write_b32 a87, v55
	v_add3_u32 v123, v79, v123, v51
	v_lshl_add_u64 v[232:233], s[16:17], 0, v[0:1]
	v_lshl_add_u64 v[234:235], s[18:19], 0, v[0:1]
	v_lshlrev_b64 v[0:1], 1, v[20:21]
	v_lshl_add_u64 v[50:51], s[16:17], 0, v[4:5]
	v_lshl_add_u64 v[52:53], s[18:19], 0, v[4:5]
	v_lshlrev_b64 v[4:5], 1, v[36:37]
	v_accvgpr_write_b32 a83, v59
	v_accvgpr_write_b32 a84, v56
	;; [unrolled: 1-line block ×3, first 2 shown]
	v_lshl_add_u64 v[236:237], s[16:17], 0, v[0:1]
	v_lshl_add_u64 v[238:239], s[18:19], 0, v[0:1]
	v_lshlrev_b64 v[0:1], 1, v[22:23]
	v_lshl_add_u64 v[54:55], s[16:17], 0, v[4:5]
	v_lshl_add_u64 v[56:57], s[18:19], 0, v[4:5]
	v_lshlrev_b64 v[4:5], 1, v[40:41]
	s_add_u32 s6, s0, 64
	v_accvgpr_write_b32 a82, v58
	v_lshl_add_u64 v[240:241], s[16:17], 0, v[0:1]
	v_lshl_add_u64 v[242:243], s[18:19], 0, v[0:1]
	v_lshlrev_b64 v[0:1], 1, v[24:25]
	v_lshl_add_u64 v[58:59], s[16:17], 0, v[4:5]
	v_lshl_add_u64 v[60:61], s[18:19], 0, v[4:5]
	v_lshlrev_b64 v[4:5], 1, v[42:43]
	s_addc_u32 s7, s1, 0
	s_waitcnt lgkmcnt(0)
	s_lshl_b32 s4, s3, 5
	v_add3_u32 v75, v3, v75, v70
	v_lshl_add_u64 v[244:245], s[16:17], 0, v[0:1]
	v_lshl_add_u64 v[246:247], s[18:19], 0, v[0:1]
	v_lshlrev_b64 v[0:1], 1, v[26:27]
	v_lshl_add_u64 v[62:63], s[16:17], 0, v[4:5]
	v_lshl_add_u64 v[64:65], s[18:19], 0, v[4:5]
	v_lshlrev_b64 v[4:5], 1, v[66:67]
	v_mbcnt_lo_u32_b32 v3, -1, 0
	s_mul_i32 s3, s15, s4
	s_mul_hi_u32 s9, s14, s4
	v_lshl_add_u64 v[248:249], s[16:17], 0, v[0:1]
	v_lshl_add_u64 v[250:251], s[18:19], 0, v[0:1]
	v_lshlrev_b64 v[0:1], 1, v[28:29]
	v_lshl_add_u64 v[66:67], s[16:17], 0, v[4:5]
	v_lshl_add_u64 v[68:69], s[18:19], 0, v[4:5]
	v_lshlrev_b64 v[4:5], 1, v[72:73]
	v_mbcnt_hi_u32_b32 v3, -1, v3
	s_add_i32 s25, s9, s3
	s_mul_i32 s24, s14, s4
	v_accvgpr_write_b32 a72, v104
	v_lshl_add_u64 v[252:253], s[16:17], 0, v[0:1]
	v_lshl_add_u64 v[254:255], s[18:19], 0, v[0:1]
	v_lshlrev_b64 v[0:1], 1, v[30:31]
	v_lshl_add_u64 v[70:71], s[16:17], 0, v[4:5]
	v_lshl_add_u64 v[72:73], s[18:19], 0, v[4:5]
	v_lshlrev_b64 v[4:5], 1, v[74:75]
	v_lshlrev_b32_e32 v3, 2, v3
	s_lshl_b64 s[24:25], s[24:25], 1
	v_accvgpr_write_b32 a73, v105
	v_add3_u32 v165, v101, v165, v100
	s_mov_b64 s[26:27], 31
	v_lshl_add_u64 v[44:45], s[16:17], 0, v[0:1]
	v_lshl_add_u64 v[0:1], s[18:19], 0, v[0:1]
	;; [unrolled: 1-line block ×4, first 2 shown]
	v_and_b32_e32 v78, 0x100, v3
	v_mov_b32_e32 v106, 0
	v_mov_b32_e32 v107, v2
	s_mov_b64 s[16:17], s[10:11]
	s_branch .LBB74_152
.LBB74_149:                             ;   in Loop: Header=BB74_152 Depth=1
	s_or_b64 exec, exec, s[28:29]
.LBB74_150:                             ;   in Loop: Header=BB74_152 Depth=1
	s_or_b64 exec, exec, s[18:19]
	v_accvgpr_read_b32 v4, a6
	v_accvgpr_read_b32 v5, a7
	v_lshl_add_u64 v[4:5], v[4:5], 0, v[38:39]
	global_load_ushort v4, v[4:5], off
	v_lshl_add_u64 v[6:7], v[148:149], 0, v[38:39]
	v_lshl_add_u64 v[8:9], v[150:151], 0, v[38:39]
	;; [unrolled: 1-line block ×9, first 2 shown]
	s_waitcnt vmcnt(0)
	v_cvt_f32_f16_e32 v42, v4
	v_accvgpr_read_b32 v4, a8
	v_accvgpr_read_b32 v5, a9
	v_lshl_add_u64 v[4:5], v[4:5], 0, v[38:39]
	global_load_ushort v4, v[4:5], off
	s_waitcnt vmcnt(0)
	v_cvt_f32_f16_e32 v43, v4
	v_accvgpr_read_b32 v4, a10
	v_accvgpr_read_b32 v5, a11
	v_lshl_add_u64 v[4:5], v[4:5], 0, v[38:39]
	global_load_ushort v4, v[4:5], off
	;; [unrolled: 6-line block ×18, first 2 shown]
	s_waitcnt vmcnt(0)
	v_cvt_f32_f16_e32 v104, v4
	v_lshl_add_u64 v[4:5], v[122:123], 0, v[38:39]
	global_load_ushort v4, v[4:5], off
	s_waitcnt vmcnt(0)
	v_cvt_f32_f16_e32 v105, v4
	v_accvgpr_read_b32 v4, a28
	v_accvgpr_read_b32 v5, a29
	v_lshl_add_u64 v[4:5], v[4:5], 0, v[38:39]
	global_load_ushort v4, v[4:5], off
	s_waitcnt vmcnt(0)
	v_cvt_f32_f16_e32 v36, v4
	v_lshl_add_u64 v[4:5], v[124:125], 0, v[38:39]
	global_load_ushort v4, v[4:5], off
	s_waitcnt vmcnt(0)
	v_cvt_f32_f16_e32 v37, v4
	v_accvgpr_read_b32 v4, a30
	v_accvgpr_read_b32 v5, a31
	v_lshl_add_u64 v[4:5], v[4:5], 0, v[38:39]
	global_load_ushort v4, v[4:5], off
	;; [unrolled: 10-line block ×13, first 2 shown]
	s_waitcnt vmcnt(0)
	v_cvt_f32_f16_e32 v4, v4
	global_load_ushort v5, v[6:7], off
	v_accvgpr_read_b32 v6, a54
	v_accvgpr_read_b32 v7, a55
	v_lshl_add_u64 v[6:7], v[6:7], 0, v[38:39]
	global_load_ushort v6, v[6:7], off
	s_waitcnt vmcnt(1)
	v_cvt_f32_f16_e32 v5, v5
	global_load_ushort v7, v[8:9], off
	v_accvgpr_read_b32 v8, a56
	v_accvgpr_read_b32 v9, a57
	v_lshl_add_u64 v[8:9], v[8:9], 0, v[38:39]
	global_load_ushort v8, v[8:9], off
	;; [unrolled: 7-line block ×5, first 2 shown]
	v_cvt_f32_f16_e32 v8, v8
	global_load_ushort v15, v[18:19], off
	v_accvgpr_read_b32 v18, a64
	v_accvgpr_read_b32 v19, a65
	v_lshl_add_u64 v[18:19], v[18:19], 0, v[38:39]
	global_load_ushort v16, v[18:19], off
	s_waitcnt vmcnt(6)
	v_cvt_f32_f16_e32 v10, v10
	s_waitcnt vmcnt(5)
	v_cvt_f32_f16_e32 v11, v11
	;; [unrolled: 2-line block ×7, first 2 shown]
	global_load_ushort v16, v[20:21], off
	v_accvgpr_read_b32 v20, a66
	v_accvgpr_read_b32 v21, a67
	v_lshl_add_u64 v[20:21], v[20:21], 0, v[38:39]
	s_waitcnt vmcnt(0)
	v_cvt_f32_f16_e32 v19, v16
	global_load_ushort v16, v[20:21], off
	s_waitcnt vmcnt(0)
	v_cvt_f32_f16_e32 v20, v16
	global_load_ushort v16, v[22:23], off
	v_accvgpr_read_b32 v22, a68
	v_accvgpr_read_b32 v23, a69
	v_lshl_add_u64 v[22:23], v[22:23], 0, v[38:39]
	s_waitcnt vmcnt(0)
	v_cvt_f32_f16_e32 v21, v16
	global_load_ushort v16, v[22:23], off
	s_waitcnt vmcnt(0)
	v_cvt_f32_f16_e32 v22, v16
	global_load_ushort v16, v[108:109], off
	v_accvgpr_read_b32 v109, a71
	v_accvgpr_read_b32 v108, a70
	v_lshl_add_u64 v[108:109], v[108:109], 0, v[38:39]
	s_waitcnt vmcnt(0)
	v_cvt_f32_f16_e32 v23, v16
	global_load_ushort v16, v[108:109], off
	v_lshl_add_u64 v[108:109], v[166:167], 0, v[38:39]
	global_load_ushort v79, v[108:109], off
	ds_bpermute_b32 v109, v78, v3
	ds_bpermute_b32 v108, v78, v17
	s_waitcnt lgkmcnt(1)
	v_sub_f32_e32 v43, v43, v109
	ds_bpermute_b32 v109, v78, v3 offset:4
	v_mul_f32_e32 v43, v43, v42
	s_waitcnt lgkmcnt(1)
	v_mul_f32_e32 v43, v43, v108
	ds_bpermute_b32 v108, v78, v17 offset:4
	v_pk_add_f32 v[42:43], v[106:107], v[42:43]
	s_waitcnt lgkmcnt(1)
	v_sub_f32_e32 v89, v89, v109
	ds_bpermute_b32 v109, v78, v3 offset:8
	v_mul_f32_e32 v89, v89, v88
	s_waitcnt lgkmcnt(1)
	v_mul_f32_e32 v89, v89, v108
	ds_bpermute_b32 v108, v78, v17 offset:8
	v_pk_add_f32 v[42:43], v[42:43], v[88:89]
	;; [unrolled: 8-line block ×10, first 2 shown]
	s_waitcnt lgkmcnt(1)
	v_sub_f32_e32 v37, v37, v109
	v_mul_f32_e32 v37, v37, v36
	s_waitcnt lgkmcnt(0)
	v_mul_f32_e32 v37, v37, v108
	v_pk_add_f32 v[36:37], v[42:43], v[36:37]
	ds_bpermute_b32 v43, v78, v3 offset:44
	ds_bpermute_b32 v42, v78, v17 offset:44
	s_waitcnt lgkmcnt(1)
	v_sub_f32_e32 v25, v25, v43
	ds_bpermute_b32 v43, v78, v3 offset:48
	v_mul_f32_e32 v25, v25, v24
	s_waitcnt lgkmcnt(1)
	v_mul_f32_e32 v25, v25, v42
	ds_bpermute_b32 v42, v78, v17 offset:48
	v_pk_add_f32 v[24:25], v[36:37], v[24:25]
	s_waitcnt lgkmcnt(1)
	v_sub_f32_e32 v27, v27, v43
	ds_bpermute_b32 v43, v78, v3 offset:52
	v_mul_f32_e32 v27, v27, v26
	s_waitcnt lgkmcnt(1)
	v_mul_f32_e32 v27, v27, v42
	ds_bpermute_b32 v42, v78, v17 offset:52
	v_pk_add_f32 v[24:25], v[24:25], v[26:27]
	s_waitcnt lgkmcnt(1)
	v_sub_f32_e32 v29, v29, v43
	ds_bpermute_b32 v43, v78, v3 offset:56
	v_mul_f32_e32 v29, v29, v28
	s_waitcnt lgkmcnt(1)
	v_mul_f32_e32 v29, v29, v42
	ds_bpermute_b32 v42, v78, v17 offset:56
	ds_bpermute_b32 v27, v78, v3 offset:88
	s_waitcnt lgkmcnt(2)
	v_sub_f32_e32 v31, v31, v43
	ds_bpermute_b32 v43, v78, v3 offset:60
	v_mul_f32_e32 v31, v31, v30
	s_waitcnt lgkmcnt(2)
	v_mul_f32_e32 v31, v31, v42
	ds_bpermute_b32 v42, v78, v17 offset:60
	ds_bpermute_b32 v26, v78, v17 offset:88
	s_waitcnt lgkmcnt(2)
	v_sub_f32_e32 v33, v33, v43
	ds_bpermute_b32 v43, v78, v3 offset:64
	v_mul_f32_e32 v33, v33, v32
	s_waitcnt lgkmcnt(2)
	v_mul_f32_e32 v33, v33, v42
	ds_bpermute_b32 v42, v78, v17 offset:64
	v_sub_f32_e32 v5, v5, v27
	s_waitcnt lgkmcnt(1)
	v_sub_f32_e32 v35, v35, v43
	ds_bpermute_b32 v43, v78, v3 offset:68
	ds_bpermute_b32 v27, v78, v3 offset:92
	v_mul_f32_e32 v35, v35, v34
	v_mul_f32_e32 v5, v5, v4
	s_waitcnt lgkmcnt(2)
	v_mul_f32_e32 v35, v35, v42
	ds_bpermute_b32 v42, v78, v17 offset:68
	v_mul_f32_e32 v5, v5, v26
	ds_bpermute_b32 v26, v78, v17 offset:92
	s_waitcnt lgkmcnt(3)
	v_sub_f32_e32 v43, v83, v43
	s_waitcnt lgkmcnt(2)
	v_sub_f32_e32 v7, v7, v27
	ds_bpermute_b32 v27, v78, v3 offset:96
	v_mul_f32_e32 v43, v43, v82
	v_mul_f32_e32 v7, v7, v6
	s_waitcnt lgkmcnt(2)
	v_mul_f32_e32 v83, v43, v42
	ds_bpermute_b32 v43, v78, v3 offset:72
	s_waitcnt lgkmcnt(2)
	v_mul_f32_e32 v7, v7, v26
	ds_bpermute_b32 v26, v78, v17 offset:96
	ds_bpermute_b32 v42, v78, v17 offset:72
	s_waitcnt lgkmcnt(3)
	v_sub_f32_e32 v9, v9, v27
	ds_bpermute_b32 v27, v78, v3 offset:100
	v_mul_f32_e32 v9, v9, v8
	s_waitcnt lgkmcnt(3)
	v_sub_f32_e32 v43, v169, v43
	s_waitcnt lgkmcnt(2)
	v_mul_f32_e32 v9, v9, v26
	ds_bpermute_b32 v26, v78, v17 offset:100
	v_mul_f32_e32 v43, v43, v168
	s_waitcnt lgkmcnt(2)
	v_mul_f32_e32 v169, v43, v42
	ds_bpermute_b32 v43, v78, v3 offset:76
	s_waitcnt lgkmcnt(2)
	v_sub_f32_e32 v11, v11, v27
	ds_bpermute_b32 v27, v78, v3 offset:104
	ds_bpermute_b32 v42, v78, v17 offset:76
	v_mul_f32_e32 v11, v11, v10
	s_waitcnt lgkmcnt(3)
	v_mul_f32_e32 v11, v11, v26
	ds_bpermute_b32 v26, v78, v17 offset:104
	s_waitcnt lgkmcnt(3)
	v_sub_f32_e32 v43, v85, v43
	v_mul_f32_e32 v43, v43, v84
	s_waitcnt lgkmcnt(2)
	v_sub_f32_e32 v13, v13, v27
	ds_bpermute_b32 v27, v78, v3 offset:108
	s_waitcnt lgkmcnt(2)
	v_mul_f32_e32 v85, v43, v42
	ds_bpermute_b32 v43, v78, v3 offset:80
	v_mul_f32_e32 v13, v13, v12
	s_waitcnt lgkmcnt(2)
	v_mul_f32_e32 v13, v13, v26
	ds_bpermute_b32 v26, v78, v17 offset:108
	ds_bpermute_b32 v42, v78, v17 offset:80
	s_waitcnt lgkmcnt(3)
	v_sub_f32_e32 v15, v15, v27
	ds_bpermute_b32 v27, v78, v3 offset:112
	s_waitcnt lgkmcnt(3)
	v_sub_f32_e32 v41, v41, v43
	ds_bpermute_b32 v43, v78, v3 offset:84
	v_pk_add_f32 v[24:25], v[24:25], v[28:29]
	v_mul_f32_e32 v15, v15, v14
	v_mul_f32_e32 v41, v41, v40
	v_pk_add_f32 v[24:25], v[24:25], v[30:31]
	s_waitcnt lgkmcnt(3)
	v_mul_f32_e32 v15, v15, v26
	ds_bpermute_b32 v26, v78, v17 offset:112
	s_waitcnt lgkmcnt(3)
	v_mul_f32_e32 v41, v41, v42
	ds_bpermute_b32 v42, v78, v17 offset:84
	v_pk_add_f32 v[24:25], v[24:25], v[32:33]
	s_waitcnt lgkmcnt(3)
	v_sub_f32_e32 v19, v19, v27
	v_pk_add_f32 v[24:25], v[24:25], v[34:35]
	ds_bpermute_b32 v27, v78, v3 offset:116
	v_pk_add_f32 v[24:25], v[24:25], v[82:83]
	s_waitcnt lgkmcnt(3)
	v_sub_f32_e32 v43, v87, v43
	v_pk_add_f32 v[24:25], v[24:25], v[168:169]
	v_mul_f32_e32 v19, v19, v18
	v_mul_f32_e32 v43, v43, v86
	v_pk_add_f32 v[24:25], v[24:25], v[84:85]
	s_waitcnt lgkmcnt(2)
	v_mul_f32_e32 v19, v19, v26
	ds_bpermute_b32 v26, v78, v17 offset:116
	s_waitcnt lgkmcnt(2)
	v_mul_f32_e32 v87, v43, v42
	v_pk_add_f32 v[24:25], v[24:25], v[40:41]
	s_waitcnt lgkmcnt(1)
	v_sub_f32_e32 v21, v21, v27
	v_pk_add_f32 v[24:25], v[24:25], v[86:87]
	ds_bpermute_b32 v27, v78, v3 offset:120
	v_pk_add_f32 v[4:5], v[24:25], v[4:5]
	v_mul_f32_e32 v21, v21, v20
	v_pk_add_f32 v[4:5], v[4:5], v[6:7]
	ds_bpermute_b32 v3, v78, v3 offset:124
	s_waitcnt vmcnt(0)
	v_cvt_f32_f16_e32 v79, v79
	s_waitcnt lgkmcnt(2)
	v_mul_f32_e32 v21, v21, v26
	ds_bpermute_b32 v26, v78, v17 offset:120
	v_pk_add_f32 v[4:5], v[4:5], v[8:9]
	v_cvt_f32_f16_e32 v16, v16
	v_pk_add_f32 v[4:5], v[4:5], v[10:11]
	ds_bpermute_b32 v6, v78, v17 offset:124
	v_pk_add_f32 v[4:5], v[4:5], v[12:13]
	s_waitcnt lgkmcnt(3)
	v_sub_f32_e32 v23, v23, v27
	v_pk_add_f32 v[4:5], v[4:5], v[14:15]
	v_mul_f32_e32 v23, v23, v22
	v_pk_add_f32 v[4:5], v[4:5], v[18:19]
	s_waitcnt lgkmcnt(2)
	v_sub_f32_e32 v3, v79, v3
	s_waitcnt lgkmcnt(1)
	v_mul_f32_e32 v23, v23, v26
	v_pk_add_f32 v[4:5], v[4:5], v[20:21]
	v_mul_f32_e32 v3, v3, v16
	v_pk_add_f32 v[4:5], v[4:5], v[22:23]
	s_waitcnt lgkmcnt(0)
	v_mul_f32_e32 v17, v3, v6
	v_pk_add_f32 v[168:169], v[4:5], v[16:17]
.LBB74_151:                             ;   in Loop: Header=BB74_152 Depth=1
	s_add_u32 s16, s16, s4
	s_addc_u32 s17, s17, 0
	v_mov_b64_e32 v[4:5], s[12:13]
	v_cmp_ge_i64_e32 vcc, s[16:17], v[4:5]
	v_accvgpr_read_b32 v4, a6
	v_accvgpr_read_b32 v5, a7
	v_lshl_add_u64 v[4:5], v[4:5], 0, s[24:25]
	v_accvgpr_write_b32 a7, v5
	v_accvgpr_write_b32 a6, v4
	v_accvgpr_read_b32 v4, a8
	v_accvgpr_read_b32 v5, a9
	v_lshl_add_u64 v[4:5], v[4:5], 0, s[24:25]
	v_accvgpr_write_b32 a9, v5
	v_accvgpr_write_b32 a8, v4
	;; [unrolled: 5-line block ×40, first 2 shown]
	v_accvgpr_read_b32 v4, a86
	v_accvgpr_read_b32 v5, a87
	;; [unrolled: 1-line block ×3, first 2 shown]
	v_lshl_add_u64 v[4:5], v[4:5], 0, s[24:25]
	v_accvgpr_read_b32 v102, a4
	v_accvgpr_write_b32 a87, v5
	s_add_u32 s26, s26, s4
	v_lshl_add_u64 v[102:103], v[102:103], 0, s[4:5]
	v_accvgpr_write_b32 a86, v4
	v_lshl_add_u64 v[122:123], v[122:123], 0, s[24:25]
	v_lshl_add_u64 v[124:125], v[124:125], 0, s[24:25]
	;; [unrolled: 1-line block ×85, first 2 shown]
	s_addc_u32 s27, 0, s27
	v_mov_b32_e32 v106, v168
	v_mov_b32_e32 v107, v169
	s_cbranch_vccnz .LBB74_227
.LBB74_152:                             ; =>This Inner Loop Header: Depth=1
	s_add_u32 s18, s10, s26
	s_addc_u32 s19, 0, s27
	v_mov_b64_e32 v[4:5], s[12:13]
	v_cmp_ge_i64_e32 vcc, s[18:19], v[4:5]
	v_accvgpr_write_b32 a4, v102
	v_accvgpr_write_b32 a5, v103
	v_lshl_add_u64 v[82:83], s[10:11], 0, v[102:103]
	s_mov_b64 s[18:19], -1
                                        ; implicit-def: $vgpr168_vgpr169
	s_cbranch_vccz .LBB74_222
; %bb.153:                              ;   in Loop: Header=BB74_152 Depth=1
	s_load_dword s3, s[6:7], 0xc
	v_accvgpr_read_b32 v3, a1
	v_accvgpr_read_b32 v4, a2
	v_mov_b32_e32 v36, 0
	v_mov_b32_e32 v43, 0
	s_waitcnt lgkmcnt(0)
	s_and_b32 s3, s3, 0xffff
	v_mad_u32_u24 v3, v4, s3, v3
	v_and_b32_e32 v4, 63, v3
	v_cmp_gt_u32_e32 vcc, 32, v4
	v_mov_b32_e32 v42, 0
	s_and_saveexec_b64 s[18:19], vcc
	s_cbranch_execz .LBB74_157
; %bb.154:                              ;   in Loop: Header=BB74_152 Depth=1
	v_mov_b32_e32 v5, v2
	v_lshl_add_u64 v[4:5], v[82:83], 0, v[4:5]
	v_cmp_gt_i64_e32 vcc, s[12:13], v[4:5]
	v_mov_b32_e32 v42, 0
	v_mov_b32_e32 v43, 0
	s_and_saveexec_b64 s[28:29], vcc
	s_cbranch_execz .LBB74_156
; %bb.155:                              ;   in Loop: Header=BB74_152 Depth=1
	v_lshlrev_b64 v[4:5], 2, v[4:5]
	v_lshl_add_u64 v[6:7], s[22:23], 0, v[4:5]
	v_lshl_add_u64 v[4:5], s[20:21], 0, v[4:5]
	global_load_dword v42, v[4:5], off
	global_load_dword v43, v[6:7], off
.LBB74_156:                             ;   in Loop: Header=BB74_152 Depth=1
	s_or_b64 exec, exec, s[28:29]
.LBB74_157:                             ;   in Loop: Header=BB74_152 Depth=1
	s_or_b64 exec, exec, s[18:19]
	v_mov_b32_e32 v4, v2
	v_mov_b32_e32 v5, v2
	;; [unrolled: 1-line block ×31, first 2 shown]
	v_mov_b64_e32 v[34:35], v[32:33]
	v_cmp_gt_i64_e32 vcc, s[12:13], v[82:83]
	v_mov_b64_e32 v[32:33], v[30:31]
	v_mov_b64_e32 v[30:31], v[28:29]
	;; [unrolled: 1-line block ×15, first 2 shown]
	s_and_saveexec_b64 s[18:19], vcc
	s_cbranch_execz .LBB74_159
; %bb.158:                              ;   in Loop: Header=BB74_152 Depth=1
	v_accvgpr_read_b32 v4, a6
	v_accvgpr_read_b32 v5, a7
	v_lshl_add_u64 v[4:5], v[4:5], 0, v[38:39]
	global_load_ushort v3, v[4:5], off
	v_accvgpr_read_b32 v4, a8
	v_accvgpr_read_b32 v5, a9
	v_lshl_add_u64 v[4:5], v[4:5], 0, v[38:39]
	global_load_ushort v33, v[4:5], off
	v_mov_b32_e32 v5, v2
	v_mov_b32_e32 v6, v2
	;; [unrolled: 1-line block ×30, first 2 shown]
	s_waitcnt vmcnt(1)
	v_cvt_f32_f16_e32 v4, v3
	s_waitcnt vmcnt(0)
	v_cvt_f32_f16_e32 v36, v33
	v_mov_b32_e32 v33, v2
.LBB74_159:                             ;   in Loop: Header=BB74_152 Depth=1
	s_or_b64 exec, exec, s[18:19]
	v_lshl_add_u64 v[40:41], v[82:83], 0, 1
	v_cmp_gt_i64_e32 vcc, s[12:13], v[40:41]
	v_mov_b32_e32 v168, 0
	v_mov_b32_e32 v41, 0
	s_and_saveexec_b64 s[18:19], vcc
	s_cbranch_execz .LBB74_161
; %bb.160:                              ;   in Loop: Header=BB74_152 Depth=1
	v_lshl_add_u64 v[40:41], v[74:75], 0, v[38:39]
	global_load_ushort v3, v[40:41], off
	v_lshl_add_u64 v[40:41], v[76:77], 0, v[38:39]
	global_load_ushort v37, v[40:41], off
	s_waitcnt vmcnt(1)
	v_cvt_f32_f16_e32 v5, v3
	s_waitcnt vmcnt(0)
	v_cvt_f32_f16_e32 v41, v37
.LBB74_161:                             ;   in Loop: Header=BB74_152 Depth=1
	s_or_b64 exec, exec, s[18:19]
	v_lshl_add_u64 v[84:85], v[82:83], 0, 2
	v_cmp_gt_i64_e32 vcc, s[12:13], v[84:85]
	s_and_saveexec_b64 s[18:19], vcc
	s_cbranch_execz .LBB74_163
; %bb.162:                              ;   in Loop: Header=BB74_152 Depth=1
	v_lshl_add_u64 v[84:85], v[70:71], 0, v[38:39]
	global_load_ushort v3, v[84:85], off
	v_lshl_add_u64 v[84:85], v[72:73], 0, v[38:39]
	global_load_ushort v37, v[84:85], off
	s_waitcnt vmcnt(1)
	v_cvt_f32_f16_e32 v6, v3
	s_waitcnt vmcnt(0)
	v_cvt_f32_f16_e32 v168, v37
.LBB74_163:                             ;   in Loop: Header=BB74_152 Depth=1
	s_or_b64 exec, exec, s[18:19]
	v_lshl_add_u64 v[84:85], v[82:83], 0, 3
	v_cmp_gt_i64_e32 vcc, s[12:13], v[84:85]
	v_mov_b32_e32 v105, 0
	v_mov_b32_e32 v110, 0
	s_and_saveexec_b64 s[18:19], vcc
	s_cbranch_execz .LBB74_165
; %bb.164:                              ;   in Loop: Header=BB74_152 Depth=1
	v_lshl_add_u64 v[84:85], v[66:67], 0, v[38:39]
	global_load_ushort v3, v[84:85], off
	v_lshl_add_u64 v[84:85], v[68:69], 0, v[38:39]
	global_load_ushort v37, v[84:85], off
	s_waitcnt vmcnt(1)
	v_cvt_f32_f16_e32 v7, v3
	s_waitcnt vmcnt(0)
	v_cvt_f32_f16_e32 v110, v37
.LBB74_165:                             ;   in Loop: Header=BB74_152 Depth=1
	s_or_b64 exec, exec, s[18:19]
	v_lshl_add_u64 v[84:85], v[82:83], 0, 4
	v_cmp_gt_i64_e32 vcc, s[12:13], v[84:85]
	s_and_saveexec_b64 s[18:19], vcc
	s_cbranch_execz .LBB74_167
; %bb.166:                              ;   in Loop: Header=BB74_152 Depth=1
	v_lshl_add_u64 v[84:85], v[62:63], 0, v[38:39]
	global_load_ushort v3, v[84:85], off
	v_lshl_add_u64 v[84:85], v[64:65], 0, v[38:39]
	global_load_ushort v37, v[84:85], off
	s_waitcnt vmcnt(1)
	v_cvt_f32_f16_e32 v8, v3
	s_waitcnt vmcnt(0)
	v_cvt_f32_f16_e32 v105, v37
.LBB74_167:                             ;   in Loop: Header=BB74_152 Depth=1
	;; [unrolled: 32-line block ×15, first 2 shown]
	s_or_b64 exec, exec, s[18:19]
	v_lshl_add_u64 v[112:113], v[82:83], 0, 31
	v_cmp_gt_i64_e32 vcc, s[12:13], v[112:113]
	v_mov_b32_e32 v3, 0
	s_and_saveexec_b64 s[18:19], vcc
	s_cbranch_execz .LBB74_221
; %bb.220:                              ;   in Loop: Header=BB74_152 Depth=1
	v_lshl_add_u64 v[112:113], v[80:81], 0, v[38:39]
	global_load_ushort v3, v[112:113], off
	v_lshl_add_u64 v[112:113], v[170:171], 0, v[38:39]
	global_load_ushort v37, v[112:113], off
	s_waitcnt vmcnt(1)
	v_cvt_f32_f16_e32 v35, v3
	s_waitcnt vmcnt(0)
	v_cvt_f32_f16_e32 v3, v37
.LBB74_221:                             ;   in Loop: Header=BB74_152 Depth=1
	s_or_b64 exec, exec, s[18:19]
	s_waitcnt vmcnt(1)
	ds_bpermute_b32 v111, v78, v42
	s_waitcnt vmcnt(0)
	ds_bpermute_b32 v37, v78, v43
	ds_bpermute_b32 v112, v78, v42 offset:12
	v_mov_b32_e32 v116, v11
	v_mov_b32_e32 v114, v10
	s_waitcnt lgkmcnt(2)
	v_sub_f32_e32 v36, v36, v111
	ds_bpermute_b32 v111, v78, v42 offset:4
	v_mul_f32_e32 v36, v4, v36
	s_waitcnt lgkmcnt(2)
	v_mul_f32_e32 v37, v36, v37
	ds_bpermute_b32 v36, v78, v43 offset:4
	s_waitcnt lgkmcnt(2)
	v_sub_f32_e32 v110, v110, v112
	s_waitcnt lgkmcnt(1)
	v_sub_f32_e32 v41, v41, v111
	ds_bpermute_b32 v111, v78, v42 offset:8
	v_mul_f32_e32 v41, v5, v41
	s_waitcnt lgkmcnt(1)
	v_mul_f32_e32 v41, v41, v36
	ds_bpermute_b32 v36, v78, v43 offset:8
	v_mul_f32_e32 v110, v7, v110
	s_waitcnt lgkmcnt(1)
	v_sub_f32_e32 v111, v168, v111
	v_mul_f32_e32 v111, v6, v111
	v_mov_b32_e32 v112, v7
	s_waitcnt lgkmcnt(0)
	v_mul_f32_e32 v111, v111, v36
	ds_bpermute_b32 v36, v78, v43 offset:12
	ds_bpermute_b32 v7, v78, v42 offset:44
	v_mov_b32_e32 v168, v13
	v_mov_b32_e32 v118, v12
	;; [unrolled: 1-line block ×3, first 2 shown]
	s_waitcnt lgkmcnt(1)
	v_mul_f32_e32 v113, v110, v36
	ds_bpermute_b32 v110, v78, v42 offset:16
	ds_bpermute_b32 v36, v78, v43 offset:16
	s_waitcnt lgkmcnt(2)
	v_sub_f32_e32 v7, v102, v7
	v_mul_f32_e32 v7, v15, v7
	s_mov_b64 s[18:19], 0
	s_waitcnt lgkmcnt(1)
	v_sub_f32_e32 v105, v105, v110
	ds_bpermute_b32 v110, v78, v42 offset:20
	v_mul_f32_e32 v105, v8, v105
	s_waitcnt lgkmcnt(1)
	v_mul_f32_e32 v105, v105, v36
	ds_bpermute_b32 v36, v78, v43 offset:20
	s_waitcnt lgkmcnt(1)
	v_sub_f32_e32 v109, v109, v110
	ds_bpermute_b32 v110, v78, v42 offset:24
	v_mul_f32_e32 v109, v9, v109
	s_waitcnt lgkmcnt(1)
	v_mul_f32_e32 v109, v109, v36
	ds_bpermute_b32 v36, v78, v43 offset:24
	s_waitcnt lgkmcnt(1)
	v_sub_f32_e32 v104, v104, v110
	v_mul_f32_e32 v104, v10, v104
	v_mov_b32_e32 v110, v6
	s_waitcnt lgkmcnt(0)
	v_mul_f32_e32 v115, v104, v36
	ds_bpermute_b32 v104, v78, v42 offset:28
	ds_bpermute_b32 v36, v78, v43 offset:28
	;; [unrolled: 1-line block ×3, first 2 shown]
	v_mov_b32_e32 v10, v17
	s_waitcnt lgkmcnt(2)
	v_sub_f32_e32 v104, v108, v104
	v_mul_f32_e32 v104, v11, v104
	s_waitcnt lgkmcnt(1)
	v_mul_f32_e32 v117, v104, v36
	ds_bpermute_b32 v104, v78, v42 offset:32
	s_waitcnt lgkmcnt(1)
	v_mul_f32_e32 v7, v7, v6
	ds_bpermute_b32 v6, v78, v43 offset:48
	ds_bpermute_b32 v36, v78, v43 offset:32
	v_mov_b32_e32 v108, v9
	s_waitcnt lgkmcnt(2)
	v_sub_f32_e32 v103, v103, v104
	v_mov_b32_e32 v104, v8
	ds_bpermute_b32 v8, v78, v42 offset:48
	v_mul_f32_e32 v103, v12, v103
	s_waitcnt lgkmcnt(1)
	v_mul_f32_e32 v119, v103, v36
	ds_bpermute_b32 v103, v78, v42 offset:36
	ds_bpermute_b32 v36, v78, v43 offset:36
	s_waitcnt lgkmcnt(2)
	v_sub_f32_e32 v8, v96, v8
	v_mul_f32_e32 v8, v16, v8
	v_mul_f32_e32 v9, v8, v6
	ds_bpermute_b32 v8, v78, v42 offset:52
	ds_bpermute_b32 v6, v78, v43 offset:52
	s_waitcnt lgkmcnt(3)
	v_sub_f32_e32 v103, v169, v103
	v_mul_f32_e32 v103, v13, v103
	s_waitcnt lgkmcnt(2)
	v_mul_f32_e32 v169, v103, v36
	s_waitcnt lgkmcnt(1)
	v_sub_f32_e32 v8, v101, v8
	v_mul_f32_e32 v8, v17, v8
	s_waitcnt lgkmcnt(0)
	v_mul_f32_e32 v11, v8, v6
	ds_bpermute_b32 v8, v78, v42 offset:56
	ds_bpermute_b32 v6, v78, v43 offset:56
	;; [unrolled: 1-line block ×4, first 2 shown]
	v_mov_b32_e32 v12, v18
	s_waitcnt lgkmcnt(3)
	v_sub_f32_e32 v8, v95, v8
	v_mul_f32_e32 v8, v18, v8
	s_waitcnt lgkmcnt(2)
	v_mul_f32_e32 v13, v8, v6
	ds_bpermute_b32 v8, v78, v42 offset:60
	ds_bpermute_b32 v6, v78, v43 offset:60
	s_waitcnt lgkmcnt(3)
	v_sub_f32_e32 v40, v40, v103
	v_mul_f32_e32 v40, v14, v40
	s_waitcnt lgkmcnt(2)
	v_mul_f32_e32 v121, v40, v36
	v_mov_b32_e32 v36, v4
	s_waitcnt lgkmcnt(1)
	v_sub_f32_e32 v8, v100, v8
	v_pk_add_f32 v[36:37], v[106:107], v[36:37]
	v_mov_b32_e32 v40, v5
	v_mul_f32_e32 v8, v19, v8
	v_pk_add_f32 v[4:5], v[40:41], v[36:37]
	s_waitcnt lgkmcnt(0)
	v_mul_f32_e32 v37, v8, v6
	ds_bpermute_b32 v8, v78, v42 offset:64
	ds_bpermute_b32 v6, v78, v43 offset:64
	v_pk_add_f32 v[4:5], v[110:111], v[4:5]
	v_mov_b32_e32 v36, v19
	v_pk_add_f32 v[4:5], v[112:113], v[4:5]
	s_waitcnt lgkmcnt(1)
	v_sub_f32_e32 v8, v94, v8
	v_mul_f32_e32 v8, v20, v8
	s_waitcnt lgkmcnt(0)
	v_mul_f32_e32 v41, v8, v6
	ds_bpermute_b32 v8, v78, v42 offset:68
	ds_bpermute_b32 v6, v78, v43 offset:68
	v_pk_add_f32 v[4:5], v[104:105], v[4:5]
	v_mov_b32_e32 v94, v21
	v_pk_add_f32 v[4:5], v[108:109], v[4:5]
	s_waitcnt lgkmcnt(1)
	v_sub_f32_e32 v8, v99, v8
	v_mul_f32_e32 v8, v21, v8
	;; [unrolled: 10-line block ×4, first 2 shown]
	s_waitcnt lgkmcnt(0)
	v_mul_f32_e32 v99, v8, v6
	ds_bpermute_b32 v8, v78, v42 offset:80
	ds_bpermute_b32 v6, v78, v43 offset:80
	v_pk_add_f32 v[4:5], v[120:121], v[4:5]
	v_mov_b32_e32 v98, v23
	v_mov_b32_e32 v96, v25
	s_waitcnt lgkmcnt(1)
	v_sub_f32_e32 v8, v92, v8
	v_mul_f32_e32 v8, v24, v8
	s_waitcnt lgkmcnt(0)
	v_mul_f32_e32 v101, v8, v6
	ds_bpermute_b32 v8, v78, v42 offset:84
	ds_bpermute_b32 v6, v78, v43 offset:84
	v_mov_b32_e32 v92, v22
	v_mov_b32_e32 v14, v30
	;; [unrolled: 1-line block ×3, first 2 shown]
	s_waitcnt lgkmcnt(1)
	v_sub_f32_e32 v8, v97, v8
	v_mul_f32_e32 v8, v25, v8
	s_waitcnt lgkmcnt(0)
	v_mul_f32_e32 v97, v8, v6
	v_mov_b32_e32 v6, v15
	v_pk_add_f32 v[4:5], v[6:7], v[4:5]
	ds_bpermute_b32 v7, v78, v42 offset:88
	ds_bpermute_b32 v6, v78, v43 offset:88
	v_mov_b32_e32 v8, v16
	v_pk_add_f32 v[4:5], v[8:9], v[4:5]
	ds_bpermute_b32 v8, v78, v42 offset:92
	s_waitcnt lgkmcnt(2)
	v_sub_f32_e32 v7, v87, v7
	v_mul_f32_e32 v7, v26, v7
	s_waitcnt lgkmcnt(1)
	v_mul_f32_e32 v7, v7, v6
	ds_bpermute_b32 v6, v78, v43 offset:92
	s_waitcnt lgkmcnt(1)
	v_sub_f32_e32 v8, v91, v8
	v_mul_f32_e32 v8, v27, v8
	v_pk_add_f32 v[4:5], v[10:11], v[4:5]
	v_mov_b32_e32 v10, v28
	s_waitcnt lgkmcnt(0)
	v_mul_f32_e32 v9, v8, v6
	ds_bpermute_b32 v8, v78, v42 offset:96
	ds_bpermute_b32 v6, v78, v43 offset:96
	v_pk_add_f32 v[4:5], v[12:13], v[4:5]
	v_mov_b32_e32 v12, v29
	v_pk_add_f32 v[4:5], v[36:37], v[4:5]
	s_waitcnt lgkmcnt(1)
	v_sub_f32_e32 v8, v86, v8
	v_mul_f32_e32 v8, v28, v8
	s_waitcnt lgkmcnt(0)
	v_mul_f32_e32 v11, v8, v6
	ds_bpermute_b32 v8, v78, v42 offset:100
	ds_bpermute_b32 v6, v78, v43 offset:100
	v_pk_add_f32 v[4:5], v[40:41], v[4:5]
	v_mov_b32_e32 v16, v31
	v_pk_add_f32 v[4:5], v[94:95], v[4:5]
	s_waitcnt lgkmcnt(1)
	v_sub_f32_e32 v8, v90, v8
	v_mul_f32_e32 v8, v29, v8
	;; [unrolled: 10-line block ×4, first 2 shown]
	s_waitcnt lgkmcnt(0)
	v_mul_f32_e32 v17, v8, v6
	ds_bpermute_b32 v8, v78, v42 offset:112
	ds_bpermute_b32 v6, v78, v43 offset:112
	s_waitcnt lgkmcnt(1)
	v_sub_f32_e32 v8, v84, v8
	v_mul_f32_e32 v8, v32, v8
	s_waitcnt lgkmcnt(0)
	v_mul_f32_e32 v19, v8, v6
	ds_bpermute_b32 v8, v78, v42 offset:116
	ds_bpermute_b32 v6, v78, v43 offset:116
	s_waitcnt lgkmcnt(1)
	v_sub_f32_e32 v8, v88, v8
	v_mul_f32_e32 v8, v33, v8
	;; [unrolled: 7-line block ×3, first 2 shown]
	s_waitcnt lgkmcnt(0)
	v_mul_f32_e32 v23, v8, v6
	v_mov_b32_e32 v6, v26
	v_pk_add_f32 v[4:5], v[6:7], v[4:5]
	v_mov_b32_e32 v8, v27
	v_pk_add_f32 v[4:5], v[8:9], v[4:5]
	ds_bpermute_b32 v7, v78, v42 offset:124
	v_pk_add_f32 v[4:5], v[10:11], v[4:5]
	ds_bpermute_b32 v6, v78, v43 offset:124
	v_pk_add_f32 v[4:5], v[12:13], v[4:5]
	s_waitcnt lgkmcnt(1)
	v_sub_f32_e32 v3, v3, v7
	v_pk_add_f32 v[4:5], v[14:15], v[4:5]
	v_mul_f32_e32 v3, v35, v3
	v_pk_add_f32 v[4:5], v[16:17], v[4:5]
	s_waitcnt lgkmcnt(0)
	v_mul_f32_e32 v7, v3, v6
	v_pk_add_f32 v[4:5], v[18:19], v[4:5]
	v_mov_b32_e32 v6, v35
	v_pk_add_f32 v[4:5], v[20:21], v[4:5]
	s_nop 0
	v_pk_add_f32 v[4:5], v[22:23], v[4:5]
	s_nop 0
	v_pk_add_f32 v[168:169], v[6:7], v[4:5]
.LBB74_222:                             ;   in Loop: Header=BB74_152 Depth=1
	s_and_b64 vcc, exec, s[18:19]
	s_cbranch_vccz .LBB74_151
; %bb.223:                              ;   in Loop: Header=BB74_152 Depth=1
	s_load_dword s3, s[6:7], 0x0
	v_accvgpr_read_b32 v4, a1
	v_accvgpr_read_b32 v5, a2
	v_mov_b32_e32 v17, 0
	s_waitcnt lgkmcnt(0)
	s_cmp_lt_u32 s2, s3
	s_cselect_b32 s3, 12, 18
	s_add_u32 s18, s6, s3
	s_addc_u32 s19, s7, 0
	global_load_ushort v3, v2, s[18:19]
	s_waitcnt vmcnt(0)
	v_mad_u32_u24 v3, v5, v3, v4
	v_and_b32_e32 v4, 63, v3
	v_cmp_gt_u32_e32 vcc, 32, v4
	v_mov_b32_e32 v3, 0
	s_and_saveexec_b64 s[18:19], vcc
	s_cbranch_execz .LBB74_150
; %bb.224:                              ;   in Loop: Header=BB74_152 Depth=1
	v_mov_b32_e32 v5, v2
	v_lshl_add_u64 v[4:5], v[82:83], 0, v[4:5]
	v_cmp_gt_i64_e32 vcc, s[12:13], v[4:5]
	v_mov_b32_e32 v3, 0
	v_mov_b32_e32 v17, 0
	s_and_saveexec_b64 s[28:29], vcc
	s_cbranch_execz .LBB74_149
; %bb.225:                              ;   in Loop: Header=BB74_152 Depth=1
	v_lshlrev_b64 v[4:5], 2, v[4:5]
	v_lshl_add_u64 v[6:7], s[22:23], 0, v[4:5]
	v_lshl_add_u64 v[4:5], s[20:21], 0, v[4:5]
	global_load_dword v3, v[4:5], off
	global_load_dword v17, v[6:7], off
	s_branch .LBB74_149
.LBB74_226:
	v_mov_b32_e32 v168, 0
	v_mov_b32_e32 v169, v168
	s_branch .LBB74_228
.LBB74_227:
	v_accvgpr_read_b32 v0, a0
.LBB74_228:
	s_mov_b32 s3, 0
	s_lshl_b64 s[2:3], s[2:3], 6
	v_and_b32_e32 v1, 0x3ff, v0
	v_or_b32_e32 v8, s2, v1
	v_mov_b32_e32 v9, s3
	v_cmp_gt_i64_e32 vcc, s[14:15], v[8:9]
	s_and_saveexec_b64 s[2:3], vcc
	s_cbranch_execz .LBB74_233
; %bb.229:
	s_load_dword s2, s[0:1], 0x4c
	s_load_dwordx4 s[4:7], s[0:1], 0x30
	v_bfe_u32 v2, v0, 10, 10
	v_mov_b32_e32 v3, 0
	v_mov_b32_e32 v4, s8
	s_waitcnt lgkmcnt(0)
	s_lshr_b32 s0, s2, 16
	v_mad_u64_u32 v[2:3], s[0:1], s0, v4, v[2:3]
	s_cmp_eq_u64 s[4:5], 0
	v_mul_lo_u32 v3, v3, s14
	v_mul_lo_u32 v4, v2, s15
	s_cbranch_scc1 .LBB74_231
; %bb.230:
	v_cvt_f16_f32_e32 v5, v169
	v_mad_u64_u32 v[6:7], s[0:1], v2, s14, 0
	v_add3_u32 v7, v7, v4, v3
	v_lshl_add_u64 v[6:7], v[6:7], 1, s[4:5]
	v_lshl_add_u64 v[6:7], v[8:9], 1, v[6:7]
	global_store_short v[6:7], v5, off
.LBB74_231:
	s_cmp_eq_u64 s[6:7], 0
	s_cbranch_scc1 .LBB74_233
; %bb.232:
	v_cvt_f16_f32_e32 v5, v168
	v_mad_u64_u32 v[6:7], s[0:1], v2, s14, 0
	v_add3_u32 v7, v7, v4, v3
	v_lshl_add_u64 v[2:3], v[6:7], 1, s[6:7]
	v_lshl_add_u64 v[0:1], v[8:9], 1, v[2:3]
	global_store_short v[0:1], v5, off
.LBB74_233:
	s_endpgm
	.section	.rodata,"a",@progbits
	.p2align	6, 0x0
	.amdhsa_kernel _ZN2at6native12_GLOBAL__N_135GammaBetaBackwardCUDAKernelTemplateIN3c104HalfEfLj64ELj1ELj32ELb1ELb0ELb0EEEvllPKT_S7_PKT0_SA_PS5_SB_
		.amdhsa_group_segment_fixed_size 0
		.amdhsa_private_segment_fixed_size 0
		.amdhsa_kernarg_size 320
		.amdhsa_user_sgpr_count 2
		.amdhsa_user_sgpr_dispatch_ptr 0
		.amdhsa_user_sgpr_queue_ptr 0
		.amdhsa_user_sgpr_kernarg_segment_ptr 1
		.amdhsa_user_sgpr_dispatch_id 0
		.amdhsa_user_sgpr_kernarg_preload_length 0
		.amdhsa_user_sgpr_kernarg_preload_offset 0
		.amdhsa_user_sgpr_private_segment_size 0
		.amdhsa_uses_dynamic_stack 0
		.amdhsa_enable_private_segment 0
		.amdhsa_system_sgpr_workgroup_id_x 1
		.amdhsa_system_sgpr_workgroup_id_y 1
		.amdhsa_system_sgpr_workgroup_id_z 0
		.amdhsa_system_sgpr_workgroup_info 0
		.amdhsa_system_vgpr_workitem_id 1
		.amdhsa_next_free_vgpr 344
		.amdhsa_next_free_sgpr 40
		.amdhsa_accum_offset 256
		.amdhsa_reserve_vcc 1
		.amdhsa_float_round_mode_32 0
		.amdhsa_float_round_mode_16_64 0
		.amdhsa_float_denorm_mode_32 3
		.amdhsa_float_denorm_mode_16_64 3
		.amdhsa_dx10_clamp 1
		.amdhsa_ieee_mode 1
		.amdhsa_fp16_overflow 0
		.amdhsa_tg_split 0
		.amdhsa_exception_fp_ieee_invalid_op 0
		.amdhsa_exception_fp_denorm_src 0
		.amdhsa_exception_fp_ieee_div_zero 0
		.amdhsa_exception_fp_ieee_overflow 0
		.amdhsa_exception_fp_ieee_underflow 0
		.amdhsa_exception_fp_ieee_inexact 0
		.amdhsa_exception_int_div_zero 0
	.end_amdhsa_kernel
	.section	.text._ZN2at6native12_GLOBAL__N_135GammaBetaBackwardCUDAKernelTemplateIN3c104HalfEfLj64ELj1ELj32ELb1ELb0ELb0EEEvllPKT_S7_PKT0_SA_PS5_SB_,"axG",@progbits,_ZN2at6native12_GLOBAL__N_135GammaBetaBackwardCUDAKernelTemplateIN3c104HalfEfLj64ELj1ELj32ELb1ELb0ELb0EEEvllPKT_S7_PKT0_SA_PS5_SB_,comdat
.Lfunc_end74:
	.size	_ZN2at6native12_GLOBAL__N_135GammaBetaBackwardCUDAKernelTemplateIN3c104HalfEfLj64ELj1ELj32ELb1ELb0ELb0EEEvllPKT_S7_PKT0_SA_PS5_SB_, .Lfunc_end74-_ZN2at6native12_GLOBAL__N_135GammaBetaBackwardCUDAKernelTemplateIN3c104HalfEfLj64ELj1ELj32ELb1ELb0ELb0EEEvllPKT_S7_PKT0_SA_PS5_SB_
                                        ; -- End function
	.set _ZN2at6native12_GLOBAL__N_135GammaBetaBackwardCUDAKernelTemplateIN3c104HalfEfLj64ELj1ELj32ELb1ELb0ELb0EEEvllPKT_S7_PKT0_SA_PS5_SB_.num_vgpr, 256
	.set _ZN2at6native12_GLOBAL__N_135GammaBetaBackwardCUDAKernelTemplateIN3c104HalfEfLj64ELj1ELj32ELb1ELb0ELb0EEEvllPKT_S7_PKT0_SA_PS5_SB_.num_agpr, 88
	.set _ZN2at6native12_GLOBAL__N_135GammaBetaBackwardCUDAKernelTemplateIN3c104HalfEfLj64ELj1ELj32ELb1ELb0ELb0EEEvllPKT_S7_PKT0_SA_PS5_SB_.numbered_sgpr, 40
	.set _ZN2at6native12_GLOBAL__N_135GammaBetaBackwardCUDAKernelTemplateIN3c104HalfEfLj64ELj1ELj32ELb1ELb0ELb0EEEvllPKT_S7_PKT0_SA_PS5_SB_.num_named_barrier, 0
	.set _ZN2at6native12_GLOBAL__N_135GammaBetaBackwardCUDAKernelTemplateIN3c104HalfEfLj64ELj1ELj32ELb1ELb0ELb0EEEvllPKT_S7_PKT0_SA_PS5_SB_.private_seg_size, 0
	.set _ZN2at6native12_GLOBAL__N_135GammaBetaBackwardCUDAKernelTemplateIN3c104HalfEfLj64ELj1ELj32ELb1ELb0ELb0EEEvllPKT_S7_PKT0_SA_PS5_SB_.uses_vcc, 1
	.set _ZN2at6native12_GLOBAL__N_135GammaBetaBackwardCUDAKernelTemplateIN3c104HalfEfLj64ELj1ELj32ELb1ELb0ELb0EEEvllPKT_S7_PKT0_SA_PS5_SB_.uses_flat_scratch, 0
	.set _ZN2at6native12_GLOBAL__N_135GammaBetaBackwardCUDAKernelTemplateIN3c104HalfEfLj64ELj1ELj32ELb1ELb0ELb0EEEvllPKT_S7_PKT0_SA_PS5_SB_.has_dyn_sized_stack, 0
	.set _ZN2at6native12_GLOBAL__N_135GammaBetaBackwardCUDAKernelTemplateIN3c104HalfEfLj64ELj1ELj32ELb1ELb0ELb0EEEvllPKT_S7_PKT0_SA_PS5_SB_.has_recursion, 0
	.set _ZN2at6native12_GLOBAL__N_135GammaBetaBackwardCUDAKernelTemplateIN3c104HalfEfLj64ELj1ELj32ELb1ELb0ELb0EEEvllPKT_S7_PKT0_SA_PS5_SB_.has_indirect_call, 0
	.section	.AMDGPU.csdata,"",@progbits
; Kernel info:
; codeLenInByte = 26984
; TotalNumSgprs: 46
; NumVgprs: 256
; NumAgprs: 88
; TotalNumVgprs: 344
; ScratchSize: 0
; MemoryBound: 0
; FloatMode: 240
; IeeeMode: 1
; LDSByteSize: 0 bytes/workgroup (compile time only)
; SGPRBlocks: 5
; VGPRBlocks: 42
; NumSGPRsForWavesPerEU: 46
; NumVGPRsForWavesPerEU: 344
; AccumOffset: 256
; Occupancy: 1
; WaveLimiterHint : 0
; COMPUTE_PGM_RSRC2:SCRATCH_EN: 0
; COMPUTE_PGM_RSRC2:USER_SGPR: 2
; COMPUTE_PGM_RSRC2:TRAP_HANDLER: 0
; COMPUTE_PGM_RSRC2:TGID_X_EN: 1
; COMPUTE_PGM_RSRC2:TGID_Y_EN: 1
; COMPUTE_PGM_RSRC2:TGID_Z_EN: 0
; COMPUTE_PGM_RSRC2:TIDIG_COMP_CNT: 1
; COMPUTE_PGM_RSRC3_GFX90A:ACCUM_OFFSET: 63
; COMPUTE_PGM_RSRC3_GFX90A:TG_SPLIT: 0
	.section	.text._ZN2at6native12_GLOBAL__N_135GammaBetaBackwardCUDAKernelTemplateIN3c104HalfEfLj64ELj1ELj8ELb1ELb1ELb0EEEvllPKT_S7_PKT0_SA_PS5_SB_,"axG",@progbits,_ZN2at6native12_GLOBAL__N_135GammaBetaBackwardCUDAKernelTemplateIN3c104HalfEfLj64ELj1ELj8ELb1ELb1ELb0EEEvllPKT_S7_PKT0_SA_PS5_SB_,comdat
	.globl	_ZN2at6native12_GLOBAL__N_135GammaBetaBackwardCUDAKernelTemplateIN3c104HalfEfLj64ELj1ELj8ELb1ELb1ELb0EEEvllPKT_S7_PKT0_SA_PS5_SB_ ; -- Begin function _ZN2at6native12_GLOBAL__N_135GammaBetaBackwardCUDAKernelTemplateIN3c104HalfEfLj64ELj1ELj8ELb1ELb1ELb0EEEvllPKT_S7_PKT0_SA_PS5_SB_
	.p2align	8
	.type	_ZN2at6native12_GLOBAL__N_135GammaBetaBackwardCUDAKernelTemplateIN3c104HalfEfLj64ELj1ELj8ELb1ELb1ELb0EEEvllPKT_S7_PKT0_SA_PS5_SB_,@function
_ZN2at6native12_GLOBAL__N_135GammaBetaBackwardCUDAKernelTemplateIN3c104HalfEfLj64ELj1ELj8ELb1ELb1ELb0EEEvllPKT_S7_PKT0_SA_PS5_SB_: ; @_ZN2at6native12_GLOBAL__N_135GammaBetaBackwardCUDAKernelTemplateIN3c104HalfEfLj64ELj1ELj8ELb1ELb1ELb0EEEvllPKT_S7_PKT0_SA_PS5_SB_
; %bb.0:
	s_load_dwordx4 s[16:19], s[0:1], 0x0
	s_lshl_b32 s6, s3, 3
	s_mov_b32 s7, 0
	v_mov_b64_e32 v[2:3], s[6:7]
	s_mov_b32 s4, s3
	s_waitcnt lgkmcnt(0)
	v_cmp_gt_i64_e32 vcc, s[16:17], v[2:3]
	v_bfe_u32 v1, v0, 10, 10
	s_cbranch_vccnz .LBB75_2
; %bb.1:
	s_add_u32 s24, s0, 64
	s_addc_u32 s25, s1, 0
	s_mov_b64 s[8:9], 0
	v_bfe_u32 v2, v0, 10, 10
	s_branch .LBB75_3
.LBB75_2:
	s_mov_b64 s[8:9], -1
                                        ; implicit-def: $sgpr24_sgpr25
                                        ; implicit-def: $vgpr2
.LBB75_3:
	s_load_dwordx4 s[20:23], s[0:1], 0x30
	v_and_b32_e32 v0, 0x3ff, v0
	s_mov_b32 s27, 0
	s_andn2_b64 vcc, exec, s[8:9]
	v_mov_b32_e32 v6, 0
	s_cbranch_vccnz .LBB75_11
; %bb.4:
	s_load_dword s3, s[0:1], 0x4c
	s_load_dword s5, s[0:1], 0x44
	s_load_dwordx8 s[8:15], s[0:1], 0x10
	s_add_u32 s24, s0, 64
	s_addc_u32 s25, s1, 0
	s_waitcnt lgkmcnt(0)
	s_and_b32 s0, s3, 0xffff
	v_mad_u32_u24 v2, v1, s0, v0
	v_and_b32_e32 v4, 63, v2
	v_lshlrev_b32_e32 v2, 3, v1
	v_mov_b32_e32 v3, 0
	v_mbcnt_lo_u32_b32 v6, -1, 0
	v_mov_b32_e32 v5, v3
	v_mbcnt_hi_u32_b32 v6, -1, v6
	s_lshl_b32 s26, s5, 3
	v_lshl_add_u64 v[10:11], v[2:3], 0, s[6:7]
	v_cmp_gt_u32_e64 s[0:1], 8, v4
	v_lshl_add_u32 v8, s2, 6, v0
	v_mov_b32_e32 v9, v3
	v_lshlrev_b32_e32 v6, 2, v6
	v_lshl_add_u64 v[4:5], v[10:11], 0, v[4:5]
	v_mul_lo_u32 v2, s19, v10
	v_mul_lo_u32 v20, s18, v11
	v_mad_u64_u32 v[10:11], s[30:31], s18, v10, 0
	s_mul_i32 s3, s19, s26
	s_mul_hi_u32 s5, s18, s26
	v_and_b32_e32 v12, 0x100, v6
	v_add3_u32 v11, v11, v20, v2
	v_lshlrev_b64 v[8:9], 1, v[8:9]
	s_add_i32 s31, s5, s3
	s_mul_i32 s30, s18, s26
	v_or_b32_e32 v13, 4, v12
	v_or_b32_e32 v14, 8, v12
	;; [unrolled: 1-line block ×7, first 2 shown]
	v_lshlrev_b64 v[6:7], 2, v[4:5]
	s_lshl_b64 s[28:29], s[26:27], 2
	v_lshl_add_u64 v[8:9], v[10:11], 1, v[8:9]
	s_lshl_b64 s[30:31], s[30:31], 1
	s_lshl_b64 s[34:35], s[18:19], 1
	v_mov_b64_e32 v[10:11], s[16:17]
	v_mov_b32_e32 v2, v3
	s_branch .LBB75_7
.LBB75_5:                               ;   in Loop: Header=BB75_7 Depth=1
	s_or_b64 exec, exec, s[38:39]
.LBB75_6:                               ;   in Loop: Header=BB75_7 Depth=1
	s_or_b64 exec, exec, s[36:37]
	v_lshl_add_u64 v[22:23], s[8:9], 0, v[8:9]
	global_load_ushort v26, v[22:23], off
	v_lshl_add_u64 v[24:25], s[10:11], 0, v[8:9]
	v_lshl_add_u64 v[22:23], v[22:23], 0, s[34:35]
	global_load_ushort v27, v[24:25], off
	global_load_ushort v28, v[22:23], off
	v_lshl_add_u64 v[24:25], v[24:25], 0, s[34:35]
	v_lshl_add_u64 v[22:23], v[22:23], 0, s[34:35]
	global_load_ushort v29, v[24:25], off
	;; [unrolled: 4-line block ×7, first 2 shown]
	global_load_ushort v40, v[22:23], off
	v_lshl_add_u64 v[22:23], v[24:25], 0, s[34:35]
	global_load_ushort v23, v[22:23], off
	s_waitcnt vmcnt(17)
	ds_bpermute_b32 v41, v12, v20
	s_waitcnt vmcnt(16)
	ds_bpermute_b32 v25, v12, v21
	ds_bpermute_b32 v42, v13, v21
	;; [unrolled: 1-line block ×15, first 2 shown]
	s_add_u32 s6, s6, s26
	s_addc_u32 s7, s7, 0
	v_cmp_lt_i64_e32 vcc, s[6:7], v[10:11]
	v_lshl_add_u64 v[6:7], v[6:7], 0, s[28:29]
	v_lshl_add_u64 v[4:5], v[4:5], 0, s[26:27]
	v_lshl_add_u64 v[8:9], v[8:9], 0, s[30:31]
	s_and_b64 vcc, exec, vcc
	s_waitcnt vmcnt(15)
	v_cvt_f32_f16_e32 v20, v26
	s_waitcnt vmcnt(14)
	v_cvt_f32_f16_e32 v21, v27
	;; [unrolled: 2-line block ×5, first 2 shown]
	s_waitcnt lgkmcnt(14)
	v_sub_f32_e32 v21, v21, v41
	v_mul_f32_e32 v21, v21, v20
	s_waitcnt vmcnt(10)
	v_cvt_f32_f16_e32 v29, v31
	s_waitcnt vmcnt(9)
	v_cvt_f32_f16_e32 v26, v32
	s_waitcnt lgkmcnt(12)
	v_sub_f32_e32 v27, v27, v43
	v_mul_f32_e32 v21, v21, v25
	s_waitcnt vmcnt(8)
	v_cvt_f32_f16_e32 v31, v33
	s_waitcnt vmcnt(7)
	v_cvt_f32_f16_e32 v28, v34
	v_mul_f32_e32 v25, v27, v22
	s_waitcnt lgkmcnt(5)
	v_sub_f32_e32 v27, v29, v45
	s_waitcnt vmcnt(6)
	v_cvt_f32_f16_e32 v33, v35
	s_waitcnt vmcnt(5)
	v_cvt_f32_f16_e32 v30, v36
	v_pk_add_f32 v[2:3], v[2:3], v[20:21]
	s_waitcnt vmcnt(4)
	v_cvt_f32_f16_e32 v35, v37
	s_waitcnt vmcnt(3)
	v_cvt_f32_f16_e32 v32, v38
	s_waitcnt lgkmcnt(3)
	v_sub_f32_e32 v21, v33, v49
	s_waitcnt vmcnt(2)
	v_cvt_f32_f16_e32 v36, v39
	s_waitcnt vmcnt(1)
	v_cvt_f32_f16_e32 v34, v40
	;; [unrolled: 2-line block ×3, first 2 shown]
	v_mul_f32_e32 v23, v25, v42
	v_mul_f32_e32 v25, v27, v24
	v_sub_f32_e32 v27, v31, v47
	v_mul_f32_e32 v25, v25, v44
	v_mul_f32_e32 v20, v27, v26
	v_pk_add_f32 v[2:3], v[2:3], v[22:23]
	v_mul_f32_e32 v27, v20, v46
	v_mul_f32_e32 v20, v21, v28
	s_waitcnt lgkmcnt(2)
	v_sub_f32_e32 v21, v35, v51
	v_pk_add_f32 v[2:3], v[2:3], v[24:25]
	v_mul_f32_e32 v29, v20, v48
	v_mul_f32_e32 v20, v21, v30
	s_waitcnt lgkmcnt(1)
	v_sub_f32_e32 v21, v36, v53
	v_pk_add_f32 v[2:3], v[2:3], v[26:27]
	v_mul_f32_e32 v31, v20, v50
	v_mul_f32_e32 v20, v21, v32
	v_pk_add_f32 v[2:3], v[2:3], v[28:29]
	s_waitcnt lgkmcnt(0)
	v_sub_f32_e32 v21, v37, v55
	v_mul_f32_e32 v33, v20, v52
	v_pk_add_f32 v[2:3], v[2:3], v[30:31]
	v_mul_f32_e32 v20, v21, v34
	v_pk_add_f32 v[2:3], v[2:3], v[32:33]
	;; [unrolled: 2-line block ×3, first 2 shown]
	s_cbranch_vccz .LBB75_10
.LBB75_7:                               ; =>This Inner Loop Header: Depth=1
	v_mov_b32_e32 v21, 0
	v_mov_b32_e32 v20, 0
	s_and_saveexec_b64 s[36:37], s[0:1]
	s_cbranch_execz .LBB75_6
; %bb.8:                                ;   in Loop: Header=BB75_7 Depth=1
	v_cmp_gt_i64_e32 vcc, s[16:17], v[4:5]
	v_mov_b32_e32 v20, 0
	v_mov_b32_e32 v21, 0
	s_and_saveexec_b64 s[38:39], vcc
	s_cbranch_execz .LBB75_5
; %bb.9:                                ;   in Loop: Header=BB75_7 Depth=1
	v_lshl_add_u64 v[24:25], s[12:13], 0, v[6:7]
	v_lshl_add_u64 v[22:23], s[14:15], 0, v[6:7]
	global_load_dword v20, v[24:25], off
	global_load_dword v21, v[22:23], off
	s_branch .LBB75_5
.LBB75_10:
	v_cvt_pk_f16_f32 v6, v2, v3
	v_mov_b32_e32 v2, v1
.LBB75_11:
	s_load_dword s5, s[24:25], 0xc
	s_mov_b32 s3, 0
	v_mov_b32_e32 v1, 0
	s_lshl_b64 s[0:1], s[2:3], 6
	v_lshl_add_u64 v[4:5], s[0:1], 0, v[0:1]
	s_waitcnt lgkmcnt(0)
	s_lshr_b32 s0, s5, 16
	v_mov_b32_e32 v3, v1
	v_mov_b32_e32 v0, s4
	v_mad_u64_u32 v[0:1], s[0:1], s0, v0, v[2:3]
	s_cmp_eq_u64 s[20:21], 0
	v_mul_lo_u32 v1, v1, s18
	v_mul_lo_u32 v2, v0, s19
	s_cbranch_scc1 .LBB75_13
; %bb.12:
	v_mad_u64_u32 v[8:9], s[0:1], v0, s18, 0
	v_add3_u32 v9, v9, v2, v1
	v_lshl_add_u64 v[8:9], v[8:9], 1, s[20:21]
	v_lshl_add_u64 v[8:9], v[4:5], 1, v[8:9]
	global_store_short_d16_hi v[8:9], v6, off
.LBB75_13:
	s_cmp_eq_u64 s[22:23], 0
	s_cbranch_scc1 .LBB75_15
; %bb.14:
	v_mad_u64_u32 v[8:9], s[0:1], v0, s18, 0
	v_add3_u32 v9, v9, v2, v1
	v_lshl_add_u64 v[0:1], v[8:9], 1, s[22:23]
	v_lshl_add_u64 v[0:1], v[4:5], 1, v[0:1]
	global_store_short v[0:1], v6, off
.LBB75_15:
	s_endpgm
	.section	.rodata,"a",@progbits
	.p2align	6, 0x0
	.amdhsa_kernel _ZN2at6native12_GLOBAL__N_135GammaBetaBackwardCUDAKernelTemplateIN3c104HalfEfLj64ELj1ELj8ELb1ELb1ELb0EEEvllPKT_S7_PKT0_SA_PS5_SB_
		.amdhsa_group_segment_fixed_size 0
		.amdhsa_private_segment_fixed_size 0
		.amdhsa_kernarg_size 320
		.amdhsa_user_sgpr_count 2
		.amdhsa_user_sgpr_dispatch_ptr 0
		.amdhsa_user_sgpr_queue_ptr 0
		.amdhsa_user_sgpr_kernarg_segment_ptr 1
		.amdhsa_user_sgpr_dispatch_id 0
		.amdhsa_user_sgpr_kernarg_preload_length 0
		.amdhsa_user_sgpr_kernarg_preload_offset 0
		.amdhsa_user_sgpr_private_segment_size 0
		.amdhsa_uses_dynamic_stack 0
		.amdhsa_enable_private_segment 0
		.amdhsa_system_sgpr_workgroup_id_x 1
		.amdhsa_system_sgpr_workgroup_id_y 1
		.amdhsa_system_sgpr_workgroup_id_z 0
		.amdhsa_system_sgpr_workgroup_info 0
		.amdhsa_system_vgpr_workitem_id 1
		.amdhsa_next_free_vgpr 56
		.amdhsa_next_free_sgpr 40
		.amdhsa_accum_offset 56
		.amdhsa_reserve_vcc 1
		.amdhsa_float_round_mode_32 0
		.amdhsa_float_round_mode_16_64 0
		.amdhsa_float_denorm_mode_32 3
		.amdhsa_float_denorm_mode_16_64 3
		.amdhsa_dx10_clamp 1
		.amdhsa_ieee_mode 1
		.amdhsa_fp16_overflow 0
		.amdhsa_tg_split 0
		.amdhsa_exception_fp_ieee_invalid_op 0
		.amdhsa_exception_fp_denorm_src 0
		.amdhsa_exception_fp_ieee_div_zero 0
		.amdhsa_exception_fp_ieee_overflow 0
		.amdhsa_exception_fp_ieee_underflow 0
		.amdhsa_exception_fp_ieee_inexact 0
		.amdhsa_exception_int_div_zero 0
	.end_amdhsa_kernel
	.section	.text._ZN2at6native12_GLOBAL__N_135GammaBetaBackwardCUDAKernelTemplateIN3c104HalfEfLj64ELj1ELj8ELb1ELb1ELb0EEEvllPKT_S7_PKT0_SA_PS5_SB_,"axG",@progbits,_ZN2at6native12_GLOBAL__N_135GammaBetaBackwardCUDAKernelTemplateIN3c104HalfEfLj64ELj1ELj8ELb1ELb1ELb0EEEvllPKT_S7_PKT0_SA_PS5_SB_,comdat
.Lfunc_end75:
	.size	_ZN2at6native12_GLOBAL__N_135GammaBetaBackwardCUDAKernelTemplateIN3c104HalfEfLj64ELj1ELj8ELb1ELb1ELb0EEEvllPKT_S7_PKT0_SA_PS5_SB_, .Lfunc_end75-_ZN2at6native12_GLOBAL__N_135GammaBetaBackwardCUDAKernelTemplateIN3c104HalfEfLj64ELj1ELj8ELb1ELb1ELb0EEEvllPKT_S7_PKT0_SA_PS5_SB_
                                        ; -- End function
	.set _ZN2at6native12_GLOBAL__N_135GammaBetaBackwardCUDAKernelTemplateIN3c104HalfEfLj64ELj1ELj8ELb1ELb1ELb0EEEvllPKT_S7_PKT0_SA_PS5_SB_.num_vgpr, 56
	.set _ZN2at6native12_GLOBAL__N_135GammaBetaBackwardCUDAKernelTemplateIN3c104HalfEfLj64ELj1ELj8ELb1ELb1ELb0EEEvllPKT_S7_PKT0_SA_PS5_SB_.num_agpr, 0
	.set _ZN2at6native12_GLOBAL__N_135GammaBetaBackwardCUDAKernelTemplateIN3c104HalfEfLj64ELj1ELj8ELb1ELb1ELb0EEEvllPKT_S7_PKT0_SA_PS5_SB_.numbered_sgpr, 40
	.set _ZN2at6native12_GLOBAL__N_135GammaBetaBackwardCUDAKernelTemplateIN3c104HalfEfLj64ELj1ELj8ELb1ELb1ELb0EEEvllPKT_S7_PKT0_SA_PS5_SB_.num_named_barrier, 0
	.set _ZN2at6native12_GLOBAL__N_135GammaBetaBackwardCUDAKernelTemplateIN3c104HalfEfLj64ELj1ELj8ELb1ELb1ELb0EEEvllPKT_S7_PKT0_SA_PS5_SB_.private_seg_size, 0
	.set _ZN2at6native12_GLOBAL__N_135GammaBetaBackwardCUDAKernelTemplateIN3c104HalfEfLj64ELj1ELj8ELb1ELb1ELb0EEEvllPKT_S7_PKT0_SA_PS5_SB_.uses_vcc, 1
	.set _ZN2at6native12_GLOBAL__N_135GammaBetaBackwardCUDAKernelTemplateIN3c104HalfEfLj64ELj1ELj8ELb1ELb1ELb0EEEvllPKT_S7_PKT0_SA_PS5_SB_.uses_flat_scratch, 0
	.set _ZN2at6native12_GLOBAL__N_135GammaBetaBackwardCUDAKernelTemplateIN3c104HalfEfLj64ELj1ELj8ELb1ELb1ELb0EEEvllPKT_S7_PKT0_SA_PS5_SB_.has_dyn_sized_stack, 0
	.set _ZN2at6native12_GLOBAL__N_135GammaBetaBackwardCUDAKernelTemplateIN3c104HalfEfLj64ELj1ELj8ELb1ELb1ELb0EEEvllPKT_S7_PKT0_SA_PS5_SB_.has_recursion, 0
	.set _ZN2at6native12_GLOBAL__N_135GammaBetaBackwardCUDAKernelTemplateIN3c104HalfEfLj64ELj1ELj8ELb1ELb1ELb0EEEvllPKT_S7_PKT0_SA_PS5_SB_.has_indirect_call, 0
	.section	.AMDGPU.csdata,"",@progbits
; Kernel info:
; codeLenInByte = 1376
; TotalNumSgprs: 46
; NumVgprs: 56
; NumAgprs: 0
; TotalNumVgprs: 56
; ScratchSize: 0
; MemoryBound: 0
; FloatMode: 240
; IeeeMode: 1
; LDSByteSize: 0 bytes/workgroup (compile time only)
; SGPRBlocks: 5
; VGPRBlocks: 6
; NumSGPRsForWavesPerEU: 46
; NumVGPRsForWavesPerEU: 56
; AccumOffset: 56
; Occupancy: 8
; WaveLimiterHint : 0
; COMPUTE_PGM_RSRC2:SCRATCH_EN: 0
; COMPUTE_PGM_RSRC2:USER_SGPR: 2
; COMPUTE_PGM_RSRC2:TRAP_HANDLER: 0
; COMPUTE_PGM_RSRC2:TGID_X_EN: 1
; COMPUTE_PGM_RSRC2:TGID_Y_EN: 1
; COMPUTE_PGM_RSRC2:TGID_Z_EN: 0
; COMPUTE_PGM_RSRC2:TIDIG_COMP_CNT: 1
; COMPUTE_PGM_RSRC3_GFX90A:ACCUM_OFFSET: 13
; COMPUTE_PGM_RSRC3_GFX90A:TG_SPLIT: 0
	.section	.text._ZN2at6native12_GLOBAL__N_135GammaBetaBackwardCUDAKernelTemplateIN3c104HalfEfLj64ELj1ELj8ELb1ELb0ELb0EEEvllPKT_S7_PKT0_SA_PS5_SB_,"axG",@progbits,_ZN2at6native12_GLOBAL__N_135GammaBetaBackwardCUDAKernelTemplateIN3c104HalfEfLj64ELj1ELj8ELb1ELb0ELb0EEEvllPKT_S7_PKT0_SA_PS5_SB_,comdat
	.globl	_ZN2at6native12_GLOBAL__N_135GammaBetaBackwardCUDAKernelTemplateIN3c104HalfEfLj64ELj1ELj8ELb1ELb0ELb0EEEvllPKT_S7_PKT0_SA_PS5_SB_ ; -- Begin function _ZN2at6native12_GLOBAL__N_135GammaBetaBackwardCUDAKernelTemplateIN3c104HalfEfLj64ELj1ELj8ELb1ELb0ELb0EEEvllPKT_S7_PKT0_SA_PS5_SB_
	.p2align	8
	.type	_ZN2at6native12_GLOBAL__N_135GammaBetaBackwardCUDAKernelTemplateIN3c104HalfEfLj64ELj1ELj8ELb1ELb0ELb0EEEvllPKT_S7_PKT0_SA_PS5_SB_,@function
_ZN2at6native12_GLOBAL__N_135GammaBetaBackwardCUDAKernelTemplateIN3c104HalfEfLj64ELj1ELj8ELb1ELb0ELb0EEEvllPKT_S7_PKT0_SA_PS5_SB_: ; @_ZN2at6native12_GLOBAL__N_135GammaBetaBackwardCUDAKernelTemplateIN3c104HalfEfLj64ELj1ELj8ELb1ELb0ELb0EEEvllPKT_S7_PKT0_SA_PS5_SB_
; %bb.0:
	s_load_dwordx8 s[12:19], s[0:1], 0x0
	s_load_dwordx4 s[20:23], s[0:1], 0x20
	s_mov_b32 s8, s3
	s_lshl_b32 s3, s2, 6
	s_mov_b32 s11, 0
	s_lshl_b32 s10, s8, 3
	s_or_b32 s4, s3, 63
	v_mov_b64_e32 v[2:3], s[10:11]
	v_mov_b32_e32 v20, s4
	v_mov_b32_e32 v21, 0
	s_waitcnt lgkmcnt(0)
	v_cmp_gt_i64_e64 s[4:5], s[12:13], v[2:3]
	v_cmp_le_i64_e32 vcc, s[14:15], v[20:21]
	s_nop 0
	v_cndmask_b32_e64 v1, 0, 1, s[4:5]
	v_cmp_ne_u32_e64 s[4:5], 1, v1
	s_cbranch_vccz .LBB76_48
; %bb.1:
	s_and_b64 vcc, exec, s[4:5]
	v_mov_b32_e32 v20, 0
	s_cbranch_vccnz .LBB76_49
; %bb.2:
	v_and_b32_e32 v1, 0x3ff, v0
	v_mov_b32_e32 v2, 0
	v_bfe_u32 v62, v0, 10, 10
	v_add_u32_e32 v4, s3, v1
	v_mov_b32_e32 v5, v2
	v_lshlrev_b32_e32 v22, 3, v62
	v_mov_b32_e32 v23, v2
	v_cmp_gt_i64_e64 s[6:7], s[14:15], v[4:5]
	v_lshlrev_b64 v[24:25], 1, v[4:5]
	v_lshl_add_u64 v[4:5], v[22:23], 0, s[10:11]
	v_mul_lo_u32 v3, s15, v4
	v_mul_lo_u32 v8, s14, v5
	v_mad_u64_u32 v[6:7], s[28:29], s14, v4, 0
	v_add3_u32 v7, v7, v8, v3
	v_lshlrev_b64 v[6:7], 1, v[6:7]
	v_lshl_add_u64 v[26:27], s[16:17], 0, v[6:7]
	v_lshl_add_u64 v[28:29], s[18:19], 0, v[6:7]
	v_lshl_add_u64 v[6:7], v[4:5], 0, 7
	v_mul_lo_u32 v9, s15, v6
	v_mul_lo_u32 v10, s14, v7
	v_mad_u64_u32 v[6:7], s[34:35], s14, v6, 0
	v_add3_u32 v7, v7, v10, v9
	v_lshlrev_b64 v[6:7], 1, v[6:7]
	v_lshl_add_u64 v[30:31], s[16:17], 0, v[6:7]
	v_lshl_add_u64 v[32:33], s[18:19], 0, v[6:7]
	;; [unrolled: 8-line block ×6, first 2 shown]
	v_lshl_add_u64 v[6:7], v[4:5], 0, 2
	s_load_dword s9, s[0:1], 0x44
	v_mul_lo_u32 v5, s15, v6
	v_mul_lo_u32 v9, s14, v7
	v_mad_u64_u32 v[6:7], s[34:35], s14, v6, 0
	v_add3_u32 v7, v7, v9, v5
	v_lshlrev_b64 v[6:7], 1, v[6:7]
	v_lshl_add_u64 v[50:51], s[16:17], 0, v[6:7]
	v_lshl_add_u64 v[52:53], s[18:19], 0, v[6:7]
	v_mov_b64_e32 v[6:7], s[14:15]
	s_add_u32 s26, s0, 64
	v_mad_u64_u32 v[4:5], s[34:35], s14, v4, v[6:7]
	s_addc_u32 s27, s1, 0
	s_waitcnt lgkmcnt(0)
	s_lshl_b32 s24, s9, 3
	v_add3_u32 v5, v3, v5, v8
	v_mbcnt_lo_u32_b32 v3, -1, 0
	s_mul_i32 s9, s15, s24
	s_mul_hi_u32 s28, s14, s24
	v_mbcnt_hi_u32_b32 v3, -1, v3
	s_add_i32 s29, s28, s9
	s_mul_i32 s28, s14, s24
	v_lshlrev_b64 v[4:5], 1, v[4:5]
	v_lshlrev_b32_e32 v3, 2, v3
	s_mov_b32 s25, 0
	s_lshl_b64 s[28:29], s[28:29], 1
	s_mov_b64 s[30:31], 7
	v_lshl_add_u64 v[54:55], s[16:17], 0, v[4:5]
	v_lshl_add_u64 v[56:57], s[18:19], 0, v[4:5]
	v_and_b32_e32 v63, 0x100, v3
	s_mov_b64 s[34:35], s[10:11]
	v_mov_b32_e32 v20, 0
	v_mov_b32_e32 v21, v2
	s_branch .LBB76_5
.LBB76_3:                               ;   in Loop: Header=BB76_5 Depth=1
	s_or_b64 exec, exec, s[36:37]
	s_waitcnt vmcnt(1)
	ds_bpermute_b32 v3, v63, v61
	ds_bpermute_b32 v58, v63, v61 offset:4
	s_waitcnt vmcnt(0)
	ds_bpermute_b32 v59, v63, v60
	ds_bpermute_b32 v64, v63, v60 offset:4
	v_mov_b32_e32 v66, v8
	s_waitcnt lgkmcnt(3)
	v_sub_f32_e32 v3, v12, v3
	v_mul_f32_e32 v3, v4, v3
	s_waitcnt lgkmcnt(2)
	v_sub_f32_e32 v12, v13, v58
	s_waitcnt lgkmcnt(1)
	v_mul_f32_e32 v13, v3, v59
	ds_bpermute_b32 v3, v63, v61 offset:8
	v_mul_f32_e32 v12, v5, v12
	s_waitcnt lgkmcnt(1)
	v_mul_f32_e32 v59, v12, v64
	ds_bpermute_b32 v12, v63, v60 offset:8
	ds_bpermute_b32 v58, v63, v61 offset:12
	s_waitcnt lgkmcnt(2)
	v_sub_f32_e32 v3, v14, v3
	ds_bpermute_b32 v14, v63, v60 offset:12
	v_mul_f32_e32 v3, v6, v3
	s_waitcnt lgkmcnt(2)
	v_mul_f32_e32 v65, v3, v12
	s_waitcnt lgkmcnt(1)
	v_sub_f32_e32 v3, v15, v58
	ds_bpermute_b32 v12, v63, v61 offset:16
	v_mul_f32_e32 v3, v7, v3
	s_waitcnt lgkmcnt(1)
	v_mul_f32_e32 v15, v3, v14
	ds_bpermute_b32 v3, v63, v60 offset:16
	ds_bpermute_b32 v14, v63, v61 offset:20
	s_waitcnt lgkmcnt(2)
	v_sub_f32_e32 v12, v16, v12
	ds_bpermute_b32 v16, v63, v60 offset:20
	v_mul_f32_e32 v12, v8, v12
	s_waitcnt lgkmcnt(2)
	v_mul_f32_e32 v67, v12, v3
	v_mov_b32_e32 v12, v4
	s_waitcnt lgkmcnt(1)
	v_sub_f32_e32 v3, v17, v14
	v_pk_add_f32 v[12:13], v[20:21], v[12:13]
	v_mov_b32_e32 v58, v5
	v_mul_f32_e32 v3, v9, v3
	v_pk_add_f32 v[4:5], v[58:59], v[12:13]
	v_mov_b32_e32 v64, v6
	s_waitcnt lgkmcnt(0)
	v_mul_f32_e32 v17, v3, v16
	v_pk_add_f32 v[4:5], v[64:65], v[4:5]
	v_mov_b32_e32 v14, v7
	ds_bpermute_b32 v3, v63, v61 offset:24
	v_pk_add_f32 v[4:5], v[14:15], v[4:5]
	v_mov_b32_e32 v16, v9
	v_pk_add_f32 v[4:5], v[66:67], v[4:5]
	s_waitcnt lgkmcnt(0)
	v_sub_f32_e32 v8, v18, v3
	v_pk_add_f32 v[6:7], v[16:17], v[4:5]
	ds_bpermute_b32 v5, v63, v60 offset:24
	ds_bpermute_b32 v3, v63, v60 offset:28
	;; [unrolled: 1-line block ×3, first 2 shown]
	v_mul_f32_e32 v8, v10, v8
	s_waitcnt lgkmcnt(2)
	v_mul_f32_e32 v9, v8, v5
	v_mov_b32_e32 v8, v10
	v_pk_add_f32 v[60:61], v[8:9], v[6:7]
.LBB76_4:                               ;   in Loop: Header=BB76_5 Depth=1
	s_waitcnt lgkmcnt(0)
	v_sub_f32_e32 v4, v19, v4
	v_mul_f32_e32 v4, v11, v4
	v_mul_f32_e32 v5, v4, v3
	v_mov_b32_e32 v4, v11
	s_add_u32 s34, s34, s24
	v_pk_add_f32 v[20:21], v[60:61], v[4:5]
	s_addc_u32 s35, s35, 0
	v_mov_b64_e32 v[4:5], s[12:13]
	s_add_u32 s30, s30, s24
	v_cmp_lt_i64_e32 vcc, s[34:35], v[4:5]
	v_lshl_add_u64 v[26:27], v[26:27], 0, s[28:29]
	v_lshl_add_u64 v[28:29], v[28:29], 0, s[28:29]
	;; [unrolled: 1-line block ×17, first 2 shown]
	s_addc_u32 s31, 0, s31
	s_cbranch_vccz .LBB76_49
.LBB76_5:                               ; =>This Inner Loop Header: Depth=1
	s_add_u32 s36, s10, s30
	s_addc_u32 s37, 0, s31
	v_mov_b64_e32 v[4:5], s[12:13]
	v_cmp_ge_i64_e32 vcc, s[36:37], v[4:5]
	v_lshl_add_u64 v[58:59], s[10:11], 0, v[22:23]
	s_mov_b64 s[36:37], -1
	s_and_b64 vcc, exec, vcc
                                        ; implicit-def: $vgpr4_vgpr5_vgpr6_vgpr7_vgpr8_vgpr9_vgpr10_vgpr11
                                        ; implicit-def: $vgpr60_vgpr61
                                        ; implicit-def: $vgpr3
                                        ; implicit-def: $vgpr12_vgpr13_vgpr14_vgpr15_vgpr16_vgpr17_vgpr18_vgpr19
                                        ; implicit-def: $vgpr4
	s_cbranch_vccz .LBB76_27
; %bb.6:                                ;   in Loop: Header=BB76_5 Depth=1
	s_load_dword s9, s[26:27], 0xc
	v_mov_b32_e32 v60, 0
	v_mov_b32_e32 v61, 0
	s_waitcnt lgkmcnt(0)
	s_and_b32 s9, s9, 0xffff
	v_mad_u32_u24 v3, v62, s9, v1
	v_and_b32_e32 v4, 63, v3
	v_cmp_gt_u32_e32 vcc, 8, v4
	s_and_saveexec_b64 s[36:37], vcc
	s_cbranch_execz .LBB76_10
; %bb.7:                                ;   in Loop: Header=BB76_5 Depth=1
	v_mov_b32_e32 v5, v2
	v_lshl_add_u64 v[4:5], v[58:59], 0, v[4:5]
	v_cmp_gt_i64_e32 vcc, s[12:13], v[4:5]
	v_mov_b32_e32 v61, 0
	v_mov_b32_e32 v60, 0
	s_and_saveexec_b64 s[38:39], vcc
	s_cbranch_execz .LBB76_9
; %bb.8:                                ;   in Loop: Header=BB76_5 Depth=1
	v_lshlrev_b64 v[4:5], 2, v[4:5]
	v_lshl_add_u64 v[6:7], s[22:23], 0, v[4:5]
	v_lshl_add_u64 v[4:5], s[20:21], 0, v[4:5]
	global_load_dword v61, v[4:5], off
	global_load_dword v60, v[6:7], off
.LBB76_9:                               ;   in Loop: Header=BB76_5 Depth=1
	s_or_b64 exec, exec, s[38:39]
.LBB76_10:                              ;   in Loop: Header=BB76_5 Depth=1
	s_or_b64 exec, exec, s[36:37]
	v_mov_b32_e32 v8, v2
	v_mov_b32_e32 v9, v2
	;; [unrolled: 1-line block ×7, first 2 shown]
	v_mov_b64_e32 v[18:19], v[8:9]
	v_cmp_gt_i64_e32 vcc, s[12:13], v[58:59]
	v_mov_b64_e32 v[16:17], v[6:7]
	v_mov_b64_e32 v[14:15], v[4:5]
	v_mov_b64_e32 v[12:13], v[2:3]
	v_mov_b64_e32 v[10:11], v[8:9]
	s_and_b64 s[38:39], s[6:7], vcc
	v_mov_b64_e32 v[8:9], v[6:7]
	v_mov_b64_e32 v[6:7], v[4:5]
	v_mov_b64_e32 v[4:5], v[2:3]
	s_and_saveexec_b64 s[36:37], s[38:39]
	s_cbranch_execz .LBB76_12
; %bb.11:                               ;   in Loop: Header=BB76_5 Depth=1
	v_lshl_add_u64 v[4:5], v[26:27], 0, v[24:25]
	global_load_ushort v3, v[4:5], off
	v_lshl_add_u64 v[4:5], v[28:29], 0, v[24:25]
	global_load_ushort v12, v[4:5], off
	v_mov_b32_e32 v5, v2
	v_mov_b32_e32 v6, v2
	;; [unrolled: 1-line block ×14, first 2 shown]
	s_waitcnt vmcnt(1)
	v_cvt_f32_f16_e32 v4, v3
	s_waitcnt vmcnt(0)
	v_cvt_f32_f16_e32 v12, v12
.LBB76_12:                              ;   in Loop: Header=BB76_5 Depth=1
	s_or_b64 exec, exec, s[36:37]
	v_lshl_add_u64 v[64:65], v[58:59], 0, 1
	v_cmp_gt_i64_e32 vcc, s[12:13], v[64:65]
	s_and_b64 s[38:39], s[6:7], vcc
	s_and_saveexec_b64 s[36:37], s[38:39]
	s_cbranch_execz .LBB76_14
; %bb.13:                               ;   in Loop: Header=BB76_5 Depth=1
	v_lshl_add_u64 v[64:65], v[54:55], 0, v[24:25]
	global_load_ushort v3, v[64:65], off
	v_lshl_add_u64 v[64:65], v[56:57], 0, v[24:25]
	global_load_ushort v13, v[64:65], off
	s_waitcnt vmcnt(1)
	v_cvt_f32_f16_e32 v5, v3
	s_waitcnt vmcnt(0)
	v_cvt_f32_f16_e32 v13, v13
.LBB76_14:                              ;   in Loop: Header=BB76_5 Depth=1
	s_or_b64 exec, exec, s[36:37]
	v_lshl_add_u64 v[64:65], v[58:59], 0, 2
	v_cmp_gt_i64_e32 vcc, s[12:13], v[64:65]
	s_and_b64 s[38:39], s[6:7], vcc
	s_and_saveexec_b64 s[36:37], s[38:39]
	s_cbranch_execz .LBB76_16
; %bb.15:                               ;   in Loop: Header=BB76_5 Depth=1
	v_lshl_add_u64 v[64:65], v[50:51], 0, v[24:25]
	global_load_ushort v3, v[64:65], off
	v_lshl_add_u64 v[64:65], v[52:53], 0, v[24:25]
	global_load_ushort v14, v[64:65], off
	s_waitcnt vmcnt(1)
	v_cvt_f32_f16_e32 v6, v3
	s_waitcnt vmcnt(0)
	v_cvt_f32_f16_e32 v14, v14
.LBB76_16:                              ;   in Loop: Header=BB76_5 Depth=1
	;; [unrolled: 16-line block ×7, first 2 shown]
	s_or_b64 exec, exec, s[36:37]
	s_waitcnt vmcnt(1)
	ds_bpermute_b32 v3, v63, v61
	ds_bpermute_b32 v64, v63, v61 offset:4
	s_waitcnt vmcnt(0)
	ds_bpermute_b32 v65, v63, v60
	ds_bpermute_b32 v66, v63, v60 offset:4
	v_mov_b32_e32 v68, v8
	s_waitcnt lgkmcnt(3)
	v_sub_f32_e32 v3, v12, v3
	v_mul_f32_e32 v3, v4, v3
	s_waitcnt lgkmcnt(2)
	v_sub_f32_e32 v12, v13, v64
	s_waitcnt lgkmcnt(1)
	v_mul_f32_e32 v13, v3, v65
	ds_bpermute_b32 v3, v63, v61 offset:8
	v_mul_f32_e32 v12, v5, v12
	s_waitcnt lgkmcnt(1)
	v_mul_f32_e32 v65, v12, v66
	ds_bpermute_b32 v12, v63, v60 offset:8
	ds_bpermute_b32 v64, v63, v61 offset:12
	s_waitcnt lgkmcnt(2)
	v_sub_f32_e32 v3, v14, v3
	ds_bpermute_b32 v14, v63, v60 offset:12
	v_mul_f32_e32 v3, v6, v3
	s_waitcnt lgkmcnt(2)
	v_mul_f32_e32 v67, v3, v12
	ds_bpermute_b32 v12, v63, v61 offset:16
	s_waitcnt lgkmcnt(2)
	v_sub_f32_e32 v3, v15, v64
	v_mul_f32_e32 v3, v7, v3
	s_waitcnt lgkmcnt(1)
	v_mul_f32_e32 v15, v3, v14
	ds_bpermute_b32 v3, v63, v60 offset:16
	ds_bpermute_b32 v14, v63, v61 offset:20
	s_waitcnt lgkmcnt(2)
	v_sub_f32_e32 v12, v16, v12
	ds_bpermute_b32 v16, v63, v60 offset:20
	v_mul_f32_e32 v12, v8, v12
	s_waitcnt lgkmcnt(2)
	v_mul_f32_e32 v69, v12, v3
	s_waitcnt lgkmcnt(1)
	v_sub_f32_e32 v3, v17, v14
	v_mov_b32_e32 v12, v4
	v_mul_f32_e32 v3, v9, v3
	v_pk_add_f32 v[12:13], v[20:21], v[12:13]
	v_mov_b32_e32 v64, v5
	s_waitcnt lgkmcnt(0)
	v_mul_f32_e32 v17, v3, v16
	v_pk_add_f32 v[4:5], v[64:65], v[12:13]
	v_mov_b32_e32 v66, v6
	ds_bpermute_b32 v3, v63, v61 offset:24
	v_pk_add_f32 v[4:5], v[66:67], v[4:5]
	v_mov_b32_e32 v14, v7
	v_pk_add_f32 v[4:5], v[14:15], v[4:5]
	v_mov_b32_e32 v16, v9
	v_pk_add_f32 v[4:5], v[68:69], v[4:5]
	s_waitcnt lgkmcnt(0)
	v_sub_f32_e32 v3, v18, v3
	v_pk_add_f32 v[6:7], v[16:17], v[4:5]
	ds_bpermute_b32 v5, v63, v60 offset:24
	v_mul_f32_e32 v8, v10, v3
	ds_bpermute_b32 v3, v63, v60 offset:28
	ds_bpermute_b32 v4, v63, v61 offset:28
	s_mov_b64 s[36:37], 0
	s_waitcnt lgkmcnt(2)
	v_mul_f32_e32 v9, v8, v5
	v_mov_b32_e32 v8, v10
	v_pk_add_f32 v[60:61], v[8:9], v[6:7]
.LBB76_27:                              ;   in Loop: Header=BB76_5 Depth=1
	s_and_b64 vcc, exec, s[36:37]
	s_cbranch_vccz .LBB76_4
; %bb.28:                               ;   in Loop: Header=BB76_5 Depth=1
	s_load_dword s9, s[26:27], 0x0
	v_mov_b32_e32 v60, 0
	v_mov_b32_e32 v61, 0
	s_waitcnt lgkmcnt(0)
	s_cmp_lt_u32 s2, s9
	s_cselect_b32 s9, 12, 18
	s_add_u32 s36, s26, s9
	s_addc_u32 s37, s27, 0
	global_load_ushort v3, v2, s[36:37]
	s_waitcnt vmcnt(0)
	v_mad_u32_u24 v3, v62, v3, v1
	v_and_b32_e32 v4, 63, v3
	v_cmp_gt_u32_e32 vcc, 8, v4
	s_and_saveexec_b64 s[36:37], vcc
	s_cbranch_execz .LBB76_32
; %bb.29:                               ;   in Loop: Header=BB76_5 Depth=1
	v_mov_b32_e32 v5, v2
	v_lshl_add_u64 v[4:5], v[58:59], 0, v[4:5]
	v_cmp_gt_i64_e32 vcc, s[12:13], v[4:5]
	v_mov_b32_e32 v61, 0
	v_mov_b32_e32 v60, 0
	s_and_saveexec_b64 s[38:39], vcc
	s_cbranch_execz .LBB76_31
; %bb.30:                               ;   in Loop: Header=BB76_5 Depth=1
	v_lshlrev_b64 v[4:5], 2, v[4:5]
	v_lshl_add_u64 v[6:7], s[22:23], 0, v[4:5]
	v_lshl_add_u64 v[4:5], s[20:21], 0, v[4:5]
	global_load_dword v61, v[4:5], off
	global_load_dword v60, v[6:7], off
.LBB76_31:                              ;   in Loop: Header=BB76_5 Depth=1
	s_or_b64 exec, exec, s[38:39]
.LBB76_32:                              ;   in Loop: Header=BB76_5 Depth=1
	s_or_b64 exec, exec, s[36:37]
	v_mov_b32_e32 v8, v2
	v_mov_b32_e32 v9, v2
	;; [unrolled: 1-line block ×7, first 2 shown]
	v_mov_b64_e32 v[18:19], v[8:9]
	v_mov_b64_e32 v[16:17], v[6:7]
	;; [unrolled: 1-line block ×8, first 2 shown]
	s_and_saveexec_b64 s[36:37], s[6:7]
	s_cbranch_execnz .LBB76_40
; %bb.33:                               ;   in Loop: Header=BB76_5 Depth=1
	s_or_b64 exec, exec, s[36:37]
	s_and_saveexec_b64 s[36:37], s[6:7]
	s_cbranch_execnz .LBB76_41
.LBB76_34:                              ;   in Loop: Header=BB76_5 Depth=1
	s_or_b64 exec, exec, s[36:37]
	s_and_saveexec_b64 s[36:37], s[6:7]
	s_cbranch_execnz .LBB76_42
.LBB76_35:                              ;   in Loop: Header=BB76_5 Depth=1
	s_or_b64 exec, exec, s[36:37]
	s_and_saveexec_b64 s[36:37], s[6:7]
	s_cbranch_execnz .LBB76_43
.LBB76_36:                              ;   in Loop: Header=BB76_5 Depth=1
	s_or_b64 exec, exec, s[36:37]
	s_and_saveexec_b64 s[36:37], s[6:7]
	s_cbranch_execnz .LBB76_44
.LBB76_37:                              ;   in Loop: Header=BB76_5 Depth=1
	s_or_b64 exec, exec, s[36:37]
	s_and_saveexec_b64 s[36:37], s[6:7]
	s_cbranch_execnz .LBB76_45
.LBB76_38:                              ;   in Loop: Header=BB76_5 Depth=1
	s_or_b64 exec, exec, s[36:37]
	s_and_saveexec_b64 s[36:37], s[6:7]
	s_cbranch_execnz .LBB76_46
.LBB76_39:                              ;   in Loop: Header=BB76_5 Depth=1
	s_or_b64 exec, exec, s[36:37]
	s_and_saveexec_b64 s[36:37], s[6:7]
	s_cbranch_execz .LBB76_3
	s_branch .LBB76_47
.LBB76_40:                              ;   in Loop: Header=BB76_5 Depth=1
	v_lshl_add_u64 v[4:5], v[26:27], 0, v[24:25]
	global_load_ushort v3, v[4:5], off
	v_lshl_add_u64 v[4:5], v[28:29], 0, v[24:25]
	global_load_ushort v12, v[4:5], off
	v_mov_b32_e32 v5, v2
	v_mov_b32_e32 v6, v2
	;; [unrolled: 1-line block ×14, first 2 shown]
	s_waitcnt vmcnt(1)
	v_cvt_f32_f16_e32 v4, v3
	s_waitcnt vmcnt(0)
	v_cvt_f32_f16_e32 v12, v12
	s_or_b64 exec, exec, s[36:37]
	s_and_saveexec_b64 s[36:37], s[6:7]
	s_cbranch_execz .LBB76_34
.LBB76_41:                              ;   in Loop: Header=BB76_5 Depth=1
	v_lshl_add_u64 v[58:59], v[54:55], 0, v[24:25]
	global_load_ushort v3, v[58:59], off
	v_lshl_add_u64 v[58:59], v[56:57], 0, v[24:25]
	global_load_ushort v13, v[58:59], off
	s_waitcnt vmcnt(1)
	v_cvt_f32_f16_e32 v5, v3
	s_waitcnt vmcnt(0)
	v_cvt_f32_f16_e32 v13, v13
	s_or_b64 exec, exec, s[36:37]
	s_and_saveexec_b64 s[36:37], s[6:7]
	s_cbranch_execz .LBB76_35
.LBB76_42:                              ;   in Loop: Header=BB76_5 Depth=1
	v_lshl_add_u64 v[58:59], v[50:51], 0, v[24:25]
	global_load_ushort v3, v[58:59], off
	v_lshl_add_u64 v[58:59], v[52:53], 0, v[24:25]
	global_load_ushort v14, v[58:59], off
	s_waitcnt vmcnt(1)
	v_cvt_f32_f16_e32 v6, v3
	s_waitcnt vmcnt(0)
	v_cvt_f32_f16_e32 v14, v14
	s_or_b64 exec, exec, s[36:37]
	s_and_saveexec_b64 s[36:37], s[6:7]
	s_cbranch_execz .LBB76_36
.LBB76_43:                              ;   in Loop: Header=BB76_5 Depth=1
	v_lshl_add_u64 v[58:59], v[46:47], 0, v[24:25]
	global_load_ushort v3, v[58:59], off
	v_lshl_add_u64 v[58:59], v[48:49], 0, v[24:25]
	global_load_ushort v15, v[58:59], off
	s_waitcnt vmcnt(1)
	v_cvt_f32_f16_e32 v7, v3
	s_waitcnt vmcnt(0)
	v_cvt_f32_f16_e32 v15, v15
	s_or_b64 exec, exec, s[36:37]
	s_and_saveexec_b64 s[36:37], s[6:7]
	s_cbranch_execz .LBB76_37
.LBB76_44:                              ;   in Loop: Header=BB76_5 Depth=1
	v_lshl_add_u64 v[58:59], v[42:43], 0, v[24:25]
	global_load_ushort v3, v[58:59], off
	v_lshl_add_u64 v[58:59], v[44:45], 0, v[24:25]
	global_load_ushort v16, v[58:59], off
	s_waitcnt vmcnt(1)
	v_cvt_f32_f16_e32 v8, v3
	s_waitcnt vmcnt(0)
	v_cvt_f32_f16_e32 v16, v16
	s_or_b64 exec, exec, s[36:37]
	s_and_saveexec_b64 s[36:37], s[6:7]
	s_cbranch_execz .LBB76_38
.LBB76_45:                              ;   in Loop: Header=BB76_5 Depth=1
	v_lshl_add_u64 v[58:59], v[38:39], 0, v[24:25]
	global_load_ushort v3, v[58:59], off
	v_lshl_add_u64 v[58:59], v[40:41], 0, v[24:25]
	global_load_ushort v17, v[58:59], off
	s_waitcnt vmcnt(1)
	v_cvt_f32_f16_e32 v9, v3
	s_waitcnt vmcnt(0)
	v_cvt_f32_f16_e32 v17, v17
	s_or_b64 exec, exec, s[36:37]
	s_and_saveexec_b64 s[36:37], s[6:7]
	s_cbranch_execz .LBB76_39
.LBB76_46:                              ;   in Loop: Header=BB76_5 Depth=1
	v_lshl_add_u64 v[58:59], v[34:35], 0, v[24:25]
	global_load_ushort v3, v[58:59], off
	v_lshl_add_u64 v[58:59], v[36:37], 0, v[24:25]
	global_load_ushort v18, v[58:59], off
	s_waitcnt vmcnt(1)
	v_cvt_f32_f16_e32 v10, v3
	s_waitcnt vmcnt(0)
	v_cvt_f32_f16_e32 v18, v18
	s_or_b64 exec, exec, s[36:37]
	s_and_saveexec_b64 s[36:37], s[6:7]
	s_cbranch_execz .LBB76_3
.LBB76_47:                              ;   in Loop: Header=BB76_5 Depth=1
	v_lshl_add_u64 v[58:59], v[30:31], 0, v[24:25]
	global_load_ushort v3, v[58:59], off
	v_lshl_add_u64 v[58:59], v[32:33], 0, v[24:25]
	global_load_ushort v19, v[58:59], off
	s_waitcnt vmcnt(1)
	v_cvt_f32_f16_e32 v11, v3
	s_waitcnt vmcnt(0)
	v_cvt_f32_f16_e32 v19, v19
	s_branch .LBB76_3
.LBB76_48:
                                        ; implicit-def: $vgpr21
	s_branch .LBB76_50
.LBB76_49:
	s_cbranch_execnz .LBB76_81
.LBB76_50:
	v_mov_b32_e32 v21, 0
	s_and_b64 vcc, exec, s[4:5]
	v_mov_b32_e32 v20, v21
	s_cbranch_vccnz .LBB76_81
; %bb.51:
	v_mov_b32_e32 v2, 0
	v_bfe_u32 v90, v0, 10, 10
	v_lshlrev_b32_e32 v6, 4, v90
	v_mov_b32_e32 v7, v2
	v_lshl_add_u64 v[6:7], s[10:11], 1, v[6:7]
	v_lshl_add_u64 v[8:9], v[6:7], 0, 2
	v_mov_b64_e32 v[10:11], s[16:17]
	v_lshl_add_u64 v[12:13], v[6:7], 0, 4
	v_lshl_add_u64 v[14:15], v[6:7], 0, 6
	;; [unrolled: 1-line block ×6, first 2 shown]
	v_mad_u64_u32 v[24:25], s[4:5], s14, v8, v[10:11]
	v_mad_u64_u32 v[26:27], s[4:5], s14, v12, v[10:11]
	;; [unrolled: 1-line block ×7, first 2 shown]
	v_mov_b64_e32 v[10:11], s[18:19]
	v_mul_lo_u32 v9, s14, v9
	v_mul_lo_u32 v40, s15, v8
	v_mad_u64_u32 v[38:39], s[4:5], s14, v8, v[10:11]
	v_add3_u32 v25, v40, v25, v9
	v_mul_lo_u32 v13, s14, v13
	v_mul_lo_u32 v42, s15, v12
	v_add3_u32 v39, v40, v39, v9
	v_mad_u64_u32 v[40:41], s[4:5], s14, v12, v[10:11]
	v_add3_u32 v27, v42, v27, v13
	v_mul_lo_u32 v15, s14, v15
	v_mul_lo_u32 v44, s15, v14
	v_add3_u32 v41, v42, v41, v13
	;; [unrolled: 5-line block ×4, first 2 shown]
	v_mad_u64_u32 v[46:47], s[4:5], s14, v18, v[10:11]
	v_lshlrev_b32_e32 v22, 3, v90
	v_mov_b32_e32 v23, v2
	v_add3_u32 v33, v48, v33, v19
	v_mul_lo_u32 v21, s14, v21
	v_mul_lo_u32 v50, s15, v20
	v_add3_u32 v47, v48, v47, v19
	v_mad_u64_u32 v[48:49], s[4:5], s14, v20, v[10:11]
	v_lshl_add_u64 v[4:5], v[22:23], 0, s[10:11]
	v_add3_u32 v35, v50, v35, v21
	v_mul_lo_u32 v7, s14, v7
	v_mul_lo_u32 v8, s15, v6
	v_add3_u32 v49, v50, v49, v21
	v_mad_u64_u32 v[50:51], s[4:5], s14, v6, v[10:11]
	v_add3_u32 v37, v8, v37, v7
	v_add3_u32 v51, v8, v51, v7
	v_lshl_add_u64 v[6:7], v[4:5], 0, 7
	v_mul_lo_u32 v8, s15, v6
	v_mul_lo_u32 v9, s14, v7
	v_mad_u64_u32 v[6:7], s[4:5], s14, v6, 0
	v_add3_u32 v7, v7, v9, v8
	v_lshl_add_u64 v[8:9], v[4:5], 0, 6
	v_mul_lo_u32 v10, s15, v8
	v_mul_lo_u32 v11, s14, v9
	v_mad_u64_u32 v[8:9], s[4:5], s14, v8, 0
	;; [unrolled: 5-line block ×5, first 2 shown]
	v_add3_u32 v15, v15, v17, v16
	v_lshl_add_u64 v[16:17], v[4:5], 0, 2
	v_mul_lo_u32 v52, s14, v5
	v_mul_lo_u32 v5, s15, v16
	;; [unrolled: 1-line block ×3, first 2 shown]
	v_mad_u64_u32 v[16:17], s[4:5], s14, v16, 0
	v_add3_u32 v17, v17, v18, v5
	v_mov_b64_e32 v[18:19], s[14:15]
	v_mul_lo_u32 v3, s15, v4
	v_mad_u64_u32 v[18:19], s[4:5], s14, v4, v[18:19]
	v_mad_u64_u32 v[4:5], s[4:5], s14, v4, 0
	v_and_b32_e32 v1, 0x3ff, v0
	v_add3_u32 v5, v5, v52, v3
	v_add_u32_e32 v20, s3, v1
	s_load_dword s3, s[0:1], 0x44
	v_lshlrev_b64 v[4:5], 1, v[4:5]
	v_lshl_add_u64 v[54:55], s[16:17], 0, v[4:5]
	v_lshl_add_u64 v[56:57], s[18:19], 0, v[4:5]
	v_lshlrev_b64 v[4:5], 1, v[6:7]
	v_lshl_add_u64 v[58:59], s[16:17], 0, v[4:5]
	v_lshl_add_u64 v[60:61], s[18:19], 0, v[4:5]
	;; [unrolled: 3-line block ×3, first 2 shown]
	v_lshlrev_b64 v[4:5], 1, v[10:11]
	s_add_u32 s6, s0, 64
	v_lshl_add_u64 v[66:67], s[16:17], 0, v[4:5]
	v_lshl_add_u64 v[68:69], s[18:19], 0, v[4:5]
	v_lshlrev_b64 v[4:5], 1, v[12:13]
	v_add3_u32 v19, v3, v19, v52
	s_addc_u32 s7, s1, 0
	s_waitcnt lgkmcnt(0)
	s_lshl_b32 s4, s3, 3
	v_lshl_add_u64 v[70:71], s[16:17], 0, v[4:5]
	v_lshl_add_u64 v[72:73], s[18:19], 0, v[4:5]
	v_lshlrev_b64 v[4:5], 1, v[14:15]
	v_mbcnt_lo_u32_b32 v3, -1, 0
	s_mul_i32 s3, s15, s4
	s_mul_hi_u32 s9, s14, s4
	v_lshl_add_u64 v[74:75], s[16:17], 0, v[4:5]
	v_lshl_add_u64 v[76:77], s[18:19], 0, v[4:5]
	v_lshlrev_b64 v[4:5], 1, v[16:17]
	v_mbcnt_hi_u32_b32 v3, -1, v3
	v_mov_b32_e32 v21, v2
	s_add_i32 s25, s9, s3
	s_mul_i32 s24, s14, s4
	v_lshl_add_u64 v[78:79], s[16:17], 0, v[4:5]
	v_lshl_add_u64 v[80:81], s[18:19], 0, v[4:5]
	v_lshlrev_b64 v[4:5], 1, v[18:19]
	v_lshlrev_b32_e32 v3, 2, v3
	s_mov_b32 s5, 0
	v_lshlrev_b64 v[52:53], 1, v[20:21]
	s_lshl_b64 s[24:25], s[24:25], 1
	s_mov_b64 s[26:27], 7
	v_lshl_add_u64 v[82:83], s[16:17], 0, v[4:5]
	v_lshl_add_u64 v[84:85], s[18:19], 0, v[4:5]
	v_and_b32_e32 v91, 0x100, v3
	s_mov_b64 s[16:17], s[10:11]
	v_mov_b32_e32 v20, 0
	s_branch .LBB76_55
.LBB76_52:                              ;   in Loop: Header=BB76_55 Depth=1
	s_or_b64 exec, exec, s[28:29]
.LBB76_53:                              ;   in Loop: Header=BB76_55 Depth=1
	s_or_b64 exec, exec, s[18:19]
	v_lshl_add_u64 v[4:5], v[54:55], 0, v[52:53]
	global_load_ushort v7, v[4:5], off
	v_lshl_add_u64 v[4:5], v[56:57], 0, v[52:53]
	global_load_ushort v8, v[4:5], off
	;; [unrolled: 2-line block ×16, first 2 shown]
	s_waitcnt vmcnt(17)
	ds_bpermute_b32 v89, v91, v6
	ds_bpermute_b32 v93, v91, v6 offset:4
	ds_bpermute_b32 v104, v91, v6 offset:28
	s_waitcnt vmcnt(16)
	ds_bpermute_b32 v88, v91, v3
	ds_bpermute_b32 v95, v91, v6 offset:8
	ds_bpermute_b32 v97, v91, v6 offset:12
	;; [unrolled: 1-line block ×12, first 2 shown]
	s_waitcnt vmcnt(15)
	v_cvt_f32_f16_e32 v4, v7
	s_waitcnt vmcnt(14)
	v_cvt_f32_f16_e32 v7, v8
	s_waitcnt vmcnt(13)
	v_cvt_f32_f16_e32 v6, v9
	s_waitcnt vmcnt(12)
	v_cvt_f32_f16_e32 v9, v10
	s_waitcnt lgkmcnt(14)
	v_sub_f32_e32 v7, v7, v89
	s_waitcnt vmcnt(11)
	v_cvt_f32_f16_e32 v8, v11
	v_mul_f32_e32 v7, v7, v4
	s_waitcnt vmcnt(10)
	v_cvt_f32_f16_e32 v11, v12
	v_sub_f32_e32 v9, v9, v93
	s_waitcnt vmcnt(9)
	v_cvt_f32_f16_e32 v10, v13
	v_mul_f32_e32 v9, v9, v6
	s_waitcnt vmcnt(8)
	v_cvt_f32_f16_e32 v13, v14
	s_waitcnt lgkmcnt(11)
	v_sub_f32_e32 v11, v11, v95
	s_waitcnt vmcnt(7)
	v_cvt_f32_f16_e32 v12, v15
	v_mul_f32_e32 v11, v11, v8
	s_waitcnt vmcnt(6)
	v_cvt_f32_f16_e32 v15, v16
	s_waitcnt lgkmcnt(10)
	;; [unrolled: 7-line block ×5, first 2 shown]
	v_sub_f32_e32 v19, v19, v103
	v_mul_f32_e32 v19, v19, v16
	v_sub_f32_e32 v5, v5, v104
	v_mul_f32_e32 v20, v5, v18
	v_mul_f32_e32 v5, v7, v88
	s_waitcnt lgkmcnt(6)
	v_mul_f32_e32 v7, v9, v92
	v_pk_add_f32 v[4:5], v[86:87], v[4:5]
	s_waitcnt lgkmcnt(5)
	v_mul_f32_e32 v9, v11, v94
	v_pk_add_f32 v[4:5], v[4:5], v[6:7]
	;; [unrolled: 3-line block ×7, first 2 shown]
	s_nop 0
	v_pk_add_f32 v[20:21], v[4:5], v[18:19]
.LBB76_54:                              ;   in Loop: Header=BB76_55 Depth=1
	s_add_u32 s16, s16, s4
	s_addc_u32 s17, s17, 0
	v_mov_b64_e32 v[4:5], s[12:13]
	s_add_u32 s26, s26, s4
	v_cmp_ge_i64_e32 vcc, s[16:17], v[4:5]
	v_lshl_add_u64 v[54:55], v[54:55], 0, s[24:25]
	v_lshl_add_u64 v[56:57], v[56:57], 0, s[24:25]
	;; [unrolled: 1-line block ×31, first 2 shown]
	s_addc_u32 s27, 0, s27
	s_cbranch_vccnz .LBB76_81
.LBB76_55:                              ; =>This Inner Loop Header: Depth=1
	s_add_u32 s18, s10, s26
	s_addc_u32 s19, 0, s27
	v_mov_b64_e32 v[4:5], s[12:13]
	v_cmp_ge_i64_e32 vcc, s[18:19], v[4:5]
	v_mov_b32_e32 v86, v20
	v_mov_b32_e32 v87, v21
	v_lshl_add_u64 v[88:89], s[10:11], 0, v[22:23]
	s_mov_b64 s[18:19], -1
                                        ; implicit-def: $vgpr21
	s_cbranch_vccz .LBB76_77
; %bb.56:                               ;   in Loop: Header=BB76_55 Depth=1
	s_load_dword s3, s[6:7], 0xc
	v_mov_b32_e32 v20, 0
	v_mov_b32_e32 v21, 0
	s_waitcnt lgkmcnt(0)
	s_and_b32 s3, s3, 0xffff
	v_mad_u32_u24 v3, v90, s3, v1
	v_and_b32_e32 v4, 63, v3
	v_cmp_gt_u32_e32 vcc, 8, v4
	s_and_saveexec_b64 s[18:19], vcc
	s_cbranch_execz .LBB76_60
; %bb.57:                               ;   in Loop: Header=BB76_55 Depth=1
	v_mov_b32_e32 v5, v2
	v_lshl_add_u64 v[4:5], v[88:89], 0, v[4:5]
	v_cmp_gt_i64_e32 vcc, s[12:13], v[4:5]
	v_mov_b32_e32 v21, 0
	v_mov_b32_e32 v20, 0
	s_and_saveexec_b64 s[28:29], vcc
	s_cbranch_execz .LBB76_59
; %bb.58:                               ;   in Loop: Header=BB76_55 Depth=1
	v_lshlrev_b64 v[4:5], 2, v[4:5]
	v_lshl_add_u64 v[6:7], s[22:23], 0, v[4:5]
	v_lshl_add_u64 v[4:5], s[20:21], 0, v[4:5]
	global_load_dword v21, v[4:5], off
	global_load_dword v20, v[6:7], off
.LBB76_59:                              ;   in Loop: Header=BB76_55 Depth=1
	s_or_b64 exec, exec, s[28:29]
.LBB76_60:                              ;   in Loop: Header=BB76_55 Depth=1
	s_or_b64 exec, exec, s[18:19]
	v_mov_b32_e32 v8, v2
	v_mov_b32_e32 v9, v2
	;; [unrolled: 1-line block ×7, first 2 shown]
	v_mov_b64_e32 v[18:19], v[8:9]
	v_mov_b64_e32 v[16:17], v[6:7]
	;; [unrolled: 1-line block ×5, first 2 shown]
	v_cmp_gt_i64_e32 vcc, s[12:13], v[88:89]
	v_mov_b64_e32 v[8:9], v[6:7]
	v_mov_b64_e32 v[6:7], v[4:5]
	;; [unrolled: 1-line block ×3, first 2 shown]
	s_and_saveexec_b64 s[18:19], vcc
	s_cbranch_execz .LBB76_62
; %bb.61:                               ;   in Loop: Header=BB76_55 Depth=1
	v_lshl_add_u64 v[4:5], v[54:55], 0, v[52:53]
	global_load_ushort v3, v[4:5], off
	v_lshl_add_u64 v[4:5], v[56:57], 0, v[52:53]
	global_load_ushort v12, v[4:5], off
	v_mov_b32_e32 v5, v2
	v_mov_b32_e32 v6, v2
	;; [unrolled: 1-line block ×14, first 2 shown]
	s_waitcnt vmcnt(1)
	v_cvt_f32_f16_e32 v4, v3
	s_waitcnt vmcnt(0)
	v_cvt_f32_f16_e32 v12, v12
.LBB76_62:                              ;   in Loop: Header=BB76_55 Depth=1
	s_or_b64 exec, exec, s[18:19]
	v_lshl_add_u64 v[92:93], v[88:89], 0, 1
	v_cmp_gt_i64_e32 vcc, s[12:13], v[92:93]
	s_and_saveexec_b64 s[18:19], vcc
	s_cbranch_execz .LBB76_64
; %bb.63:                               ;   in Loop: Header=BB76_55 Depth=1
	v_lshl_add_u64 v[92:93], v[82:83], 0, v[52:53]
	global_load_ushort v3, v[92:93], off
	v_lshl_add_u64 v[92:93], v[84:85], 0, v[52:53]
	global_load_ushort v13, v[92:93], off
	s_waitcnt vmcnt(1)
	v_cvt_f32_f16_e32 v5, v3
	s_waitcnt vmcnt(0)
	v_cvt_f32_f16_e32 v13, v13
.LBB76_64:                              ;   in Loop: Header=BB76_55 Depth=1
	s_or_b64 exec, exec, s[18:19]
	v_lshl_add_u64 v[92:93], v[88:89], 0, 2
	v_cmp_gt_i64_e32 vcc, s[12:13], v[92:93]
	s_and_saveexec_b64 s[18:19], vcc
	s_cbranch_execz .LBB76_66
; %bb.65:                               ;   in Loop: Header=BB76_55 Depth=1
	v_lshl_add_u64 v[92:93], v[78:79], 0, v[52:53]
	global_load_ushort v3, v[92:93], off
	v_lshl_add_u64 v[92:93], v[80:81], 0, v[52:53]
	global_load_ushort v14, v[92:93], off
	s_waitcnt vmcnt(1)
	v_cvt_f32_f16_e32 v6, v3
	s_waitcnt vmcnt(0)
	v_cvt_f32_f16_e32 v14, v14
.LBB76_66:                              ;   in Loop: Header=BB76_55 Depth=1
	;; [unrolled: 15-line block ×7, first 2 shown]
	s_or_b64 exec, exec, s[18:19]
	s_waitcnt vmcnt(1)
	ds_bpermute_b32 v3, v91, v21
	s_waitcnt vmcnt(0)
	ds_bpermute_b32 v92, v91, v20
	ds_bpermute_b32 v95, v91, v21 offset:4
	ds_bpermute_b32 v94, v91, v20 offset:4
	;; [unrolled: 1-line block ×3, first 2 shown]
	s_waitcnt lgkmcnt(4)
	v_sub_f32_e32 v3, v12, v3
	v_mul_f32_e32 v3, v4, v3
	ds_bpermute_b32 v12, v91, v20 offset:8
	s_waitcnt lgkmcnt(4)
	v_mul_f32_e32 v93, v3, v92
	s_waitcnt lgkmcnt(3)
	v_sub_f32_e32 v3, v13, v95
	v_mul_f32_e32 v3, v5, v3
	s_waitcnt lgkmcnt(2)
	v_mul_f32_e32 v13, v3, v94
	s_waitcnt lgkmcnt(1)
	v_sub_f32_e32 v3, v14, v96
	ds_bpermute_b32 v14, v91, v21 offset:12
	v_mul_f32_e32 v3, v6, v3
	s_waitcnt lgkmcnt(1)
	v_mul_f32_e32 v95, v3, v12
	ds_bpermute_b32 v3, v91, v20 offset:12
	ds_bpermute_b32 v12, v91, v21 offset:16
	;; [unrolled: 1-line block ×3, first 2 shown]
	s_waitcnt lgkmcnt(3)
	v_sub_f32_e32 v14, v15, v14
	v_mul_f32_e32 v14, v7, v14
	s_waitcnt lgkmcnt(2)
	v_mul_f32_e32 v15, v14, v3
	s_waitcnt lgkmcnt(1)
	v_sub_f32_e32 v3, v16, v12
	ds_bpermute_b32 v12, v91, v21 offset:20
	v_mul_f32_e32 v3, v8, v3
	s_waitcnt lgkmcnt(1)
	v_mul_f32_e32 v97, v3, v92
	ds_bpermute_b32 v3, v91, v20 offset:20
	ds_bpermute_b32 v14, v91, v21 offset:24
	;; [unrolled: 1-line block ×3, first 2 shown]
	s_waitcnt lgkmcnt(3)
	v_sub_f32_e32 v12, v17, v12
	v_mul_f32_e32 v12, v9, v12
	s_waitcnt lgkmcnt(2)
	v_mul_f32_e32 v17, v12, v3
	s_waitcnt lgkmcnt(1)
	v_sub_f32_e32 v3, v18, v14
	v_mul_f32_e32 v3, v10, v3
	s_waitcnt lgkmcnt(0)
	v_mul_f32_e32 v99, v3, v16
	v_mov_b32_e32 v92, v4
	ds_bpermute_b32 v3, v91, v21 offset:28
	v_pk_add_f32 v[92:93], v[86:87], v[92:93]
	v_mov_b32_e32 v12, v5
	v_pk_add_f32 v[4:5], v[12:13], v[92:93]
	v_mov_b32_e32 v94, v6
	ds_bpermute_b32 v6, v91, v20 offset:28
	v_pk_add_f32 v[4:5], v[94:95], v[4:5]
	v_mov_b32_e32 v14, v7
	v_pk_add_f32 v[4:5], v[14:15], v[4:5]
	v_mov_b32_e32 v96, v8
	;; [unrolled: 2-line block ×3, first 2 shown]
	s_waitcnt lgkmcnt(1)
	v_sub_f32_e32 v3, v19, v3
	v_pk_add_f32 v[4:5], v[16:17], v[4:5]
	v_mov_b32_e32 v98, v10
	v_mul_f32_e32 v3, v11, v3
	v_pk_add_f32 v[4:5], v[98:99], v[4:5]
	s_waitcnt lgkmcnt(0)
	v_mul_f32_e32 v7, v3, v6
	v_mov_b32_e32 v6, v11
	v_pk_add_f32 v[20:21], v[6:7], v[4:5]
	s_mov_b64 s[18:19], 0
.LBB76_77:                              ;   in Loop: Header=BB76_55 Depth=1
	s_and_b64 vcc, exec, s[18:19]
	s_cbranch_vccz .LBB76_54
; %bb.78:                               ;   in Loop: Header=BB76_55 Depth=1
	s_load_dword s3, s[6:7], 0x0
	v_mov_b32_e32 v3, 0
	v_mov_b32_e32 v6, 0
	s_waitcnt lgkmcnt(0)
	s_cmp_lt_u32 s2, s3
	s_cselect_b32 s3, 12, 18
	s_add_u32 s18, s6, s3
	s_addc_u32 s19, s7, 0
	global_load_ushort v4, v2, s[18:19]
	s_waitcnt vmcnt(0)
	v_mad_u32_u24 v4, v90, v4, v1
	v_and_b32_e32 v4, 63, v4
	v_cmp_gt_u32_e32 vcc, 8, v4
	s_and_saveexec_b64 s[18:19], vcc
	s_cbranch_execz .LBB76_53
; %bb.79:                               ;   in Loop: Header=BB76_55 Depth=1
	v_mov_b32_e32 v5, v2
	v_lshl_add_u64 v[4:5], v[88:89], 0, v[4:5]
	v_cmp_gt_i64_e32 vcc, s[12:13], v[4:5]
	v_mov_b32_e32 v6, 0
	v_mov_b32_e32 v3, 0
	s_and_saveexec_b64 s[28:29], vcc
	s_cbranch_execz .LBB76_52
; %bb.80:                               ;   in Loop: Header=BB76_55 Depth=1
	v_lshlrev_b64 v[4:5], 2, v[4:5]
	v_lshl_add_u64 v[8:9], s[22:23], 0, v[4:5]
	v_lshl_add_u64 v[4:5], s[20:21], 0, v[4:5]
	global_load_dword v6, v[4:5], off
	global_load_dword v3, v[8:9], off
	s_branch .LBB76_52
.LBB76_81:
	s_mov_b32 s3, 0
	s_lshl_b64 s[2:3], s[2:3], 6
	v_and_b32_e32 v1, 0x3ff, v0
	v_or_b32_e32 v2, s2, v1
	v_mov_b32_e32 v3, s3
	v_cmp_gt_i64_e32 vcc, s[14:15], v[2:3]
	s_and_saveexec_b64 s[2:3], vcc
	s_cbranch_execz .LBB76_86
; %bb.82:
	s_load_dword s2, s[0:1], 0x4c
	s_load_dwordx4 s[4:7], s[0:1], 0x30
	v_bfe_u32 v0, v0, 10, 10
	v_mov_b32_e32 v1, 0
	v_mov_b32_e32 v4, s8
	s_waitcnt lgkmcnt(0)
	s_lshr_b32 s0, s2, 16
	v_mad_u64_u32 v[0:1], s[0:1], s0, v4, v[0:1]
	s_cmp_eq_u64 s[4:5], 0
	v_mul_lo_u32 v1, v1, s14
	v_mul_lo_u32 v4, v0, s15
	s_cbranch_scc1 .LBB76_84
; %bb.83:
	v_cvt_f16_f32_e32 v5, v21
	v_mad_u64_u32 v[6:7], s[0:1], v0, s14, 0
	v_add3_u32 v7, v7, v4, v1
	v_lshl_add_u64 v[6:7], v[6:7], 1, s[4:5]
	v_lshl_add_u64 v[6:7], v[2:3], 1, v[6:7]
	global_store_short v[6:7], v5, off
.LBB76_84:
	s_cmp_eq_u64 s[6:7], 0
	s_cbranch_scc1 .LBB76_86
; %bb.85:
	v_cvt_f16_f32_e32 v5, v20
	v_mad_u64_u32 v[6:7], s[0:1], v0, s14, 0
	v_add3_u32 v7, v7, v4, v1
	v_lshl_add_u64 v[0:1], v[6:7], 1, s[6:7]
	v_lshl_add_u64 v[0:1], v[2:3], 1, v[0:1]
	global_store_short v[0:1], v5, off
.LBB76_86:
	s_endpgm
	.section	.rodata,"a",@progbits
	.p2align	6, 0x0
	.amdhsa_kernel _ZN2at6native12_GLOBAL__N_135GammaBetaBackwardCUDAKernelTemplateIN3c104HalfEfLj64ELj1ELj8ELb1ELb0ELb0EEEvllPKT_S7_PKT0_SA_PS5_SB_
		.amdhsa_group_segment_fixed_size 0
		.amdhsa_private_segment_fixed_size 0
		.amdhsa_kernarg_size 320
		.amdhsa_user_sgpr_count 2
		.amdhsa_user_sgpr_dispatch_ptr 0
		.amdhsa_user_sgpr_queue_ptr 0
		.amdhsa_user_sgpr_kernarg_segment_ptr 1
		.amdhsa_user_sgpr_dispatch_id 0
		.amdhsa_user_sgpr_kernarg_preload_length 0
		.amdhsa_user_sgpr_kernarg_preload_offset 0
		.amdhsa_user_sgpr_private_segment_size 0
		.amdhsa_uses_dynamic_stack 0
		.amdhsa_enable_private_segment 0
		.amdhsa_system_sgpr_workgroup_id_x 1
		.amdhsa_system_sgpr_workgroup_id_y 1
		.amdhsa_system_sgpr_workgroup_id_z 0
		.amdhsa_system_sgpr_workgroup_info 0
		.amdhsa_system_vgpr_workitem_id 1
		.amdhsa_next_free_vgpr 105
		.amdhsa_next_free_sgpr 40
		.amdhsa_accum_offset 108
		.amdhsa_reserve_vcc 1
		.amdhsa_float_round_mode_32 0
		.amdhsa_float_round_mode_16_64 0
		.amdhsa_float_denorm_mode_32 3
		.amdhsa_float_denorm_mode_16_64 3
		.amdhsa_dx10_clamp 1
		.amdhsa_ieee_mode 1
		.amdhsa_fp16_overflow 0
		.amdhsa_tg_split 0
		.amdhsa_exception_fp_ieee_invalid_op 0
		.amdhsa_exception_fp_denorm_src 0
		.amdhsa_exception_fp_ieee_div_zero 0
		.amdhsa_exception_fp_ieee_overflow 0
		.amdhsa_exception_fp_ieee_underflow 0
		.amdhsa_exception_fp_ieee_inexact 0
		.amdhsa_exception_int_div_zero 0
	.end_amdhsa_kernel
	.section	.text._ZN2at6native12_GLOBAL__N_135GammaBetaBackwardCUDAKernelTemplateIN3c104HalfEfLj64ELj1ELj8ELb1ELb0ELb0EEEvllPKT_S7_PKT0_SA_PS5_SB_,"axG",@progbits,_ZN2at6native12_GLOBAL__N_135GammaBetaBackwardCUDAKernelTemplateIN3c104HalfEfLj64ELj1ELj8ELb1ELb0ELb0EEEvllPKT_S7_PKT0_SA_PS5_SB_,comdat
.Lfunc_end76:
	.size	_ZN2at6native12_GLOBAL__N_135GammaBetaBackwardCUDAKernelTemplateIN3c104HalfEfLj64ELj1ELj8ELb1ELb0ELb0EEEvllPKT_S7_PKT0_SA_PS5_SB_, .Lfunc_end76-_ZN2at6native12_GLOBAL__N_135GammaBetaBackwardCUDAKernelTemplateIN3c104HalfEfLj64ELj1ELj8ELb1ELb0ELb0EEEvllPKT_S7_PKT0_SA_PS5_SB_
                                        ; -- End function
	.set _ZN2at6native12_GLOBAL__N_135GammaBetaBackwardCUDAKernelTemplateIN3c104HalfEfLj64ELj1ELj8ELb1ELb0ELb0EEEvllPKT_S7_PKT0_SA_PS5_SB_.num_vgpr, 105
	.set _ZN2at6native12_GLOBAL__N_135GammaBetaBackwardCUDAKernelTemplateIN3c104HalfEfLj64ELj1ELj8ELb1ELb0ELb0EEEvllPKT_S7_PKT0_SA_PS5_SB_.num_agpr, 0
	.set _ZN2at6native12_GLOBAL__N_135GammaBetaBackwardCUDAKernelTemplateIN3c104HalfEfLj64ELj1ELj8ELb1ELb0ELb0EEEvllPKT_S7_PKT0_SA_PS5_SB_.numbered_sgpr, 40
	.set _ZN2at6native12_GLOBAL__N_135GammaBetaBackwardCUDAKernelTemplateIN3c104HalfEfLj64ELj1ELj8ELb1ELb0ELb0EEEvllPKT_S7_PKT0_SA_PS5_SB_.num_named_barrier, 0
	.set _ZN2at6native12_GLOBAL__N_135GammaBetaBackwardCUDAKernelTemplateIN3c104HalfEfLj64ELj1ELj8ELb1ELb0ELb0EEEvllPKT_S7_PKT0_SA_PS5_SB_.private_seg_size, 0
	.set _ZN2at6native12_GLOBAL__N_135GammaBetaBackwardCUDAKernelTemplateIN3c104HalfEfLj64ELj1ELj8ELb1ELb0ELb0EEEvllPKT_S7_PKT0_SA_PS5_SB_.uses_vcc, 1
	.set _ZN2at6native12_GLOBAL__N_135GammaBetaBackwardCUDAKernelTemplateIN3c104HalfEfLj64ELj1ELj8ELb1ELb0ELb0EEEvllPKT_S7_PKT0_SA_PS5_SB_.uses_flat_scratch, 0
	.set _ZN2at6native12_GLOBAL__N_135GammaBetaBackwardCUDAKernelTemplateIN3c104HalfEfLj64ELj1ELj8ELb1ELb0ELb0EEEvllPKT_S7_PKT0_SA_PS5_SB_.has_dyn_sized_stack, 0
	.set _ZN2at6native12_GLOBAL__N_135GammaBetaBackwardCUDAKernelTemplateIN3c104HalfEfLj64ELj1ELj8ELb1ELb0ELb0EEEvllPKT_S7_PKT0_SA_PS5_SB_.has_recursion, 0
	.set _ZN2at6native12_GLOBAL__N_135GammaBetaBackwardCUDAKernelTemplateIN3c104HalfEfLj64ELj1ELj8ELb1ELb0ELb0EEEvllPKT_S7_PKT0_SA_PS5_SB_.has_indirect_call, 0
	.section	.AMDGPU.csdata,"",@progbits
; Kernel info:
; codeLenInByte = 7092
; TotalNumSgprs: 46
; NumVgprs: 105
; NumAgprs: 0
; TotalNumVgprs: 105
; ScratchSize: 0
; MemoryBound: 0
; FloatMode: 240
; IeeeMode: 1
; LDSByteSize: 0 bytes/workgroup (compile time only)
; SGPRBlocks: 5
; VGPRBlocks: 13
; NumSGPRsForWavesPerEU: 46
; NumVGPRsForWavesPerEU: 105
; AccumOffset: 108
; Occupancy: 4
; WaveLimiterHint : 0
; COMPUTE_PGM_RSRC2:SCRATCH_EN: 0
; COMPUTE_PGM_RSRC2:USER_SGPR: 2
; COMPUTE_PGM_RSRC2:TRAP_HANDLER: 0
; COMPUTE_PGM_RSRC2:TGID_X_EN: 1
; COMPUTE_PGM_RSRC2:TGID_Y_EN: 1
; COMPUTE_PGM_RSRC2:TGID_Z_EN: 0
; COMPUTE_PGM_RSRC2:TIDIG_COMP_CNT: 1
; COMPUTE_PGM_RSRC3_GFX90A:ACCUM_OFFSET: 26
; COMPUTE_PGM_RSRC3_GFX90A:TG_SPLIT: 0
	.section	.text._ZN2at6native12_GLOBAL__N_135GammaBetaBackwardCUDAKernelTemplateIN3c104HalfEfLj64ELj8ELj64ELb0ELb1ELb0EEEvllPKT_S7_PKT0_SA_PS5_SB_,"axG",@progbits,_ZN2at6native12_GLOBAL__N_135GammaBetaBackwardCUDAKernelTemplateIN3c104HalfEfLj64ELj8ELj64ELb0ELb1ELb0EEEvllPKT_S7_PKT0_SA_PS5_SB_,comdat
	.globl	_ZN2at6native12_GLOBAL__N_135GammaBetaBackwardCUDAKernelTemplateIN3c104HalfEfLj64ELj8ELj64ELb0ELb1ELb0EEEvllPKT_S7_PKT0_SA_PS5_SB_ ; -- Begin function _ZN2at6native12_GLOBAL__N_135GammaBetaBackwardCUDAKernelTemplateIN3c104HalfEfLj64ELj8ELj64ELb0ELb1ELb0EEEvllPKT_S7_PKT0_SA_PS5_SB_
	.p2align	8
	.type	_ZN2at6native12_GLOBAL__N_135GammaBetaBackwardCUDAKernelTemplateIN3c104HalfEfLj64ELj8ELj64ELb0ELb1ELb0EEEvllPKT_S7_PKT0_SA_PS5_SB_,@function
_ZN2at6native12_GLOBAL__N_135GammaBetaBackwardCUDAKernelTemplateIN3c104HalfEfLj64ELj8ELj64ELb0ELb1ELb0EEEvllPKT_S7_PKT0_SA_PS5_SB_: ; @_ZN2at6native12_GLOBAL__N_135GammaBetaBackwardCUDAKernelTemplateIN3c104HalfEfLj64ELj8ELj64ELb0ELb1ELb0EEEvllPKT_S7_PKT0_SA_PS5_SB_
; %bb.0:
	s_load_dwordx4 s[16:19], s[0:1], 0x0
	s_lshl_b32 s20, s3, 6
	s_mov_b32 s21, 0
	v_mov_b64_e32 v[2:3], s[20:21]
	v_bfe_u32 v12, v0, 10, 10
	s_waitcnt lgkmcnt(0)
	v_cmp_gt_i64_e32 vcc, s[16:17], v[2:3]
	s_cbranch_vccnz .LBB77_2
; %bb.1:
	s_mov_b64 s[4:5], 0
	v_bfe_u32 v2, v0, 10, 10
	s_branch .LBB77_3
.LBB77_2:
	s_mov_b64 s[4:5], -1
                                        ; implicit-def: $vgpr2
.LBB77_3:
	s_load_dwordx4 s[12:15], s[0:1], 0x30
	v_mov_b32_e32 v1, 0
	v_and_b32_e32 v10, 0x3ff, v0
	s_andn2_b64 vcc, exec, s[4:5]
	v_mbcnt_lo_u32_b32 v11, -1, 0
	v_mov_b32_e32 v0, v1
	s_cbranch_vccnz .LBB77_11
; %bb.4:
	s_load_dword s3, s[0:1], 0x4c
	s_load_dword s22, s[0:1], 0x44
	s_load_dwordx8 s[4:11], s[0:1], 0x10
	v_lshlrev_b32_e32 v0, 3, v12
	v_mbcnt_hi_u32_b32 v4, -1, v11
	s_waitcnt lgkmcnt(0)
	s_and_b32 s0, s3, 0xffff
	v_mad_u32_u24 v1, v12, s0, v10
	v_and_b32_e32 v2, 63, v1
	v_mov_b32_e32 v1, 0
	v_mov_b32_e32 v3, v1
	v_lshl_add_u64 v[8:9], v[0:1], 0, s[20:21]
	v_cmp_gt_u32_e64 s[0:1], 8, v2
	s_lshl_b32 s22, s22, 6
	v_lshl_add_u64 v[2:3], v[8:9], 0, v[2:3]
	v_mul_lo_u32 v0, s19, v8
	v_mul_lo_u32 v21, s18, v9
	v_mad_u64_u32 v[8:9], s[26:27], s18, v8, 0
	v_lshl_add_u32 v6, s2, 6, v10
	v_mov_b32_e32 v7, v1
	v_lshlrev_b32_e32 v4, 2, v4
	s_mul_i32 s3, s19, s22
	s_mul_hi_u32 s26, s18, s22
	s_mov_b32 s23, 0
	v_and_b32_e32 v13, 0x100, v4
	v_add3_u32 v9, v9, v21, v0
	v_lshlrev_b64 v[6:7], 1, v[6:7]
	s_add_i32 s27, s26, s3
	s_mul_i32 s26, s18, s22
	v_or_b32_e32 v14, 4, v13
	v_or_b32_e32 v15, 8, v13
	;; [unrolled: 1-line block ×7, first 2 shown]
	v_lshlrev_b64 v[4:5], 2, v[2:3]
	s_lshl_b64 s[24:25], s[22:23], 2
	v_lshl_add_u64 v[6:7], v[8:9], 1, v[6:7]
	s_lshl_b64 s[26:27], s[26:27], 1
	s_lshl_b64 s[18:19], s[18:19], 1
	v_mov_b64_e32 v[8:9], s[16:17]
	v_mov_b32_e32 v0, v1
	s_branch .LBB77_7
.LBB77_5:                               ;   in Loop: Header=BB77_7 Depth=1
	s_or_b64 exec, exec, s[30:31]
.LBB77_6:                               ;   in Loop: Header=BB77_7 Depth=1
	s_or_b64 exec, exec, s[28:29]
	v_lshl_add_u64 v[24:25], s[4:5], 0, v[6:7]
	global_load_ushort v23, v[24:25], off
	v_lshl_add_u64 v[26:27], s[6:7], 0, v[6:7]
	v_lshl_add_u64 v[24:25], v[24:25], 0, s[18:19]
	global_load_ushort v28, v[26:27], off
	global_load_ushort v29, v[24:25], off
	v_lshl_add_u64 v[26:27], v[26:27], 0, s[18:19]
	v_lshl_add_u64 v[24:25], v[24:25], 0, s[18:19]
	global_load_ushort v30, v[26:27], off
	;; [unrolled: 4-line block ×7, first 2 shown]
	global_load_ushort v41, v[24:25], off
	v_lshl_add_u64 v[24:25], v[26:27], 0, s[18:19]
	global_load_ushort v25, v[24:25], off
	s_waitcnt vmcnt(17)
	ds_bpermute_b32 v42, v13, v21
	s_waitcnt vmcnt(16)
	ds_bpermute_b32 v27, v13, v22
	ds_bpermute_b32 v43, v14, v22
	;; [unrolled: 1-line block ×15, first 2 shown]
	s_add_u32 s20, s20, s22
	s_addc_u32 s21, s21, 0
	v_cmp_lt_i64_e32 vcc, s[20:21], v[8:9]
	v_lshl_add_u64 v[4:5], v[4:5], 0, s[24:25]
	v_lshl_add_u64 v[2:3], v[2:3], 0, s[22:23]
	;; [unrolled: 1-line block ×3, first 2 shown]
	s_and_b64 vcc, exec, vcc
	s_waitcnt vmcnt(15)
	v_cvt_f32_f16_e32 v22, v23
	s_waitcnt vmcnt(14)
	v_cvt_f32_f16_e32 v23, v28
	;; [unrolled: 2-line block ×5, first 2 shown]
	s_waitcnt lgkmcnt(14)
	v_sub_f32_e32 v23, v23, v42
	v_mul_f32_e32 v23, v23, v22
	s_waitcnt vmcnt(10)
	v_cvt_f32_f16_e32 v31, v32
	s_waitcnt vmcnt(9)
	v_cvt_f32_f16_e32 v28, v33
	s_waitcnt lgkmcnt(12)
	v_sub_f32_e32 v29, v29, v44
	v_mul_f32_e32 v23, v23, v27
	s_waitcnt vmcnt(8)
	v_cvt_f32_f16_e32 v33, v34
	s_waitcnt vmcnt(7)
	v_cvt_f32_f16_e32 v30, v35
	v_mul_f32_e32 v27, v29, v24
	s_waitcnt lgkmcnt(5)
	v_sub_f32_e32 v29, v31, v46
	s_waitcnt vmcnt(6)
	v_cvt_f32_f16_e32 v35, v36
	s_waitcnt vmcnt(5)
	v_cvt_f32_f16_e32 v32, v37
	v_pk_add_f32 v[0:1], v[0:1], v[22:23]
	s_waitcnt vmcnt(4)
	v_cvt_f32_f16_e32 v37, v38
	s_waitcnt vmcnt(3)
	v_cvt_f32_f16_e32 v34, v39
	s_waitcnt lgkmcnt(3)
	v_sub_f32_e32 v23, v35, v50
	s_waitcnt vmcnt(2)
	v_cvt_f32_f16_e32 v38, v40
	s_waitcnt vmcnt(1)
	v_cvt_f32_f16_e32 v36, v41
	s_waitcnt vmcnt(0)
	v_cvt_f32_f16_e32 v39, v25
	v_mul_f32_e32 v25, v27, v43
	v_mul_f32_e32 v27, v29, v26
	v_sub_f32_e32 v29, v33, v48
	v_mul_f32_e32 v27, v27, v45
	v_mul_f32_e32 v22, v29, v28
	v_pk_add_f32 v[0:1], v[0:1], v[24:25]
	v_mul_f32_e32 v29, v22, v47
	v_mul_f32_e32 v22, v23, v30
	s_waitcnt lgkmcnt(2)
	v_sub_f32_e32 v23, v37, v52
	v_pk_add_f32 v[0:1], v[0:1], v[26:27]
	v_mul_f32_e32 v31, v22, v49
	v_mul_f32_e32 v22, v23, v32
	s_waitcnt lgkmcnt(1)
	v_sub_f32_e32 v23, v38, v54
	v_pk_add_f32 v[0:1], v[0:1], v[28:29]
	v_mul_f32_e32 v33, v22, v51
	v_mul_f32_e32 v22, v23, v34
	v_pk_add_f32 v[0:1], v[0:1], v[30:31]
	s_waitcnt lgkmcnt(0)
	v_sub_f32_e32 v21, v39, v21
	v_mul_f32_e32 v35, v22, v53
	v_pk_add_f32 v[0:1], v[0:1], v[32:33]
	v_mul_f32_e32 v21, v21, v36
	v_pk_add_f32 v[0:1], v[0:1], v[34:35]
	;; [unrolled: 2-line block ×3, first 2 shown]
	s_cbranch_vccz .LBB77_10
.LBB77_7:                               ; =>This Inner Loop Header: Depth=1
	v_mov_b32_e32 v22, 0
	v_mov_b32_e32 v21, 0
	s_and_saveexec_b64 s[28:29], s[0:1]
	s_cbranch_execz .LBB77_6
; %bb.8:                                ;   in Loop: Header=BB77_7 Depth=1
	v_cmp_gt_i64_e32 vcc, s[16:17], v[2:3]
	v_mov_b32_e32 v21, 0
	v_mov_b32_e32 v22, 0
	s_and_saveexec_b64 s[30:31], vcc
	s_cbranch_execz .LBB77_5
; %bb.9:                                ;   in Loop: Header=BB77_7 Depth=1
	v_lshl_add_u64 v[26:27], s[8:9], 0, v[4:5]
	v_lshl_add_u64 v[24:25], s[10:11], 0, v[4:5]
	global_load_dword v21, v[26:27], off
	global_load_dword v22, v[24:25], off
	s_branch .LBB77_5
.LBB77_10:
	v_mov_b32_e32 v2, v12
.LBB77_11:
	s_movk_i32 s0, 0x41
	v_mad_u32_u24 v3, v2, s0, v10
	v_lshl_add_u32 v3, v3, 2, 0
	ds_write_b32 v3, v1
	ds_write_b32 v3, v0 offset:2080
	v_lshrrev_b32_e32 v0, 6, v10
	v_add_u32_e32 v0, v0, v2
	v_cmp_gt_u32_e32 vcc, 64, v0
	s_waitcnt lgkmcnt(0)
	s_barrier
	s_and_saveexec_b64 s[0:1], vcc
	s_cbranch_execz .LBB77_75
; %bb.12:
	v_and_b32_e32 v1, 63, v10
	v_cmp_lt_u32_e64 s[4:5], 7, v1
	v_cmp_gt_u32_e64 s[6:7], 8, v1
	v_mul_u32_u24_e32 v6, 0x41, v1
                                        ; implicit-def: $vgpr2
	s_and_saveexec_b64 s[0:1], s[6:7]
	s_cbranch_execz .LBB77_14
; %bb.13:
	v_add_u32_e32 v1, v0, v6
	v_lshl_add_u32 v1, v1, 2, 0
	ds_read_b32 v3, v1
	ds_read_b32 v2, v1 offset:2080
.LBB77_14:
	s_or_b64 exec, exec, s[0:1]
	v_mbcnt_hi_u32_b32 v1, -1, v11
	v_and_b32_e32 v4, 64, v1
	v_add_u32_e32 v9, 64, v4
	v_xor_b32_e32 v4, 4, v1
	v_cmp_lt_i32_e32 vcc, v4, v9
	v_xor_b32_e32 v8, 2, v1
	v_cmp_eq_u32_e64 s[0:1], 0, v10
	v_cndmask_b32_e32 v4, v1, v4, vcc
	v_lshlrev_b32_e32 v7, 2, v4
	s_waitcnt lgkmcnt(1)
	ds_bpermute_b32 v5, v7, v3
	s_waitcnt lgkmcnt(1)
	ds_bpermute_b32 v4, v7, v2
	v_cmp_lt_i32_e32 vcc, v8, v9
	v_xor_b32_e32 v10, 1, v1
	s_mov_b32 s3, 0
	v_cndmask_b32_e32 v8, v1, v8, vcc
	v_lshlrev_b32_e32 v8, 2, v8
	s_waitcnt lgkmcnt(0)
	v_pk_add_f32 v[2:3], v[2:3], v[4:5]
	ds_bpermute_b32 v5, v8, v3
	ds_bpermute_b32 v4, v8, v2
	v_cmp_lt_i32_e32 vcc, v10, v9
	s_lshl_b64 s[2:3], s[2:3], 6
	s_cmp_lg_u64 s[12:13], 0
	v_cndmask_b32_e32 v1, v1, v10, vcc
	v_lshlrev_b32_e32 v9, 2, v1
	s_waitcnt lgkmcnt(0)
	v_pk_add_f32 v[2:3], v[2:3], v[4:5]
	ds_bpermute_b32 v5, v9, v3
	ds_bpermute_b32 v4, v9, v2
	s_cselect_b64 s[10:11], -1, 0
	s_cmp_lg_u64 s[14:15], 0
	s_cselect_b64 s[8:9], -1, 0
	v_mov_b32_e32 v1, 0
	s_waitcnt lgkmcnt(0)
	v_pk_add_f32 v[2:3], v[2:3], v[4:5]
	s_and_saveexec_b64 s[16:17], s[0:1]
	s_cbranch_execz .LBB77_19
; %bb.15:
	v_mov_b32_e32 v5, s3
	s_andn2_b64 vcc, exec, s[10:11]
	v_or_b32_e32 v4, s2, v0
	s_cbranch_vccnz .LBB77_17
; %bb.16:
	v_cvt_f16_f32_e32 v12, v3
	v_lshl_add_u64 v[10:11], v[4:5], 1, s[12:13]
	global_store_short v[10:11], v12, off
.LBB77_17:
	s_andn2_b64 vcc, exec, s[8:9]
	s_cbranch_vccnz .LBB77_19
; %bb.18:
	v_cvt_f16_f32_e32 v10, v2
	v_lshl_add_u64 v[4:5], v[4:5], 1, s[14:15]
	global_store_short v[4:5], v10, off
.LBB77_19:
	s_or_b64 exec, exec, s[16:17]
	v_cmp_gt_u32_e32 vcc, 56, v0
	s_and_b64 exec, exec, vcc
	s_cbranch_execz .LBB77_75
; %bb.20:
	s_and_saveexec_b64 s[16:17], s[4:5]
	s_xor_b64 s[16:17], exec, s[16:17]
	s_andn2_saveexec_b64 s[16:17], s[16:17]
	s_cbranch_execz .LBB77_22
; %bb.21:
	v_add_u32_e32 v2, v0, v6
	v_lshl_add_u32 v2, v2, 2, 0
	ds_read_b32 v3, v2 offset:32
	ds_read_b32 v2, v2 offset:2112
.LBB77_22:
	s_or_b64 exec, exec, s[16:17]
	s_waitcnt lgkmcnt(1)
	ds_bpermute_b32 v5, v7, v3
	s_waitcnt lgkmcnt(1)
	ds_bpermute_b32 v4, v7, v2
	s_waitcnt lgkmcnt(0)
	v_pk_add_f32 v[2:3], v[2:3], v[4:5]
	ds_bpermute_b32 v5, v8, v3
	ds_bpermute_b32 v4, v8, v2
	s_waitcnt lgkmcnt(0)
	v_pk_add_f32 v[2:3], v[2:3], v[4:5]
	ds_bpermute_b32 v5, v9, v3
	ds_bpermute_b32 v4, v9, v2
	s_waitcnt lgkmcnt(0)
	v_pk_add_f32 v[2:3], v[2:3], v[4:5]
	s_and_saveexec_b64 s[16:17], s[0:1]
	s_cbranch_execz .LBB77_27
; %bb.23:
	s_andn2_b64 vcc, exec, s[10:11]
	s_cbranch_vccnz .LBB77_25
; %bb.24:
	v_cvt_f16_f32_e32 v10, v3
	v_lshl_add_u64 v[4:5], s[2:3], 0, v[0:1]
	v_lshl_add_u64 v[4:5], v[4:5], 1, s[12:13]
	global_store_short v[4:5], v10, off offset:16
.LBB77_25:
	s_andn2_b64 vcc, exec, s[8:9]
	s_cbranch_vccnz .LBB77_27
; %bb.26:
	v_cvt_f16_f32_e32 v10, v2
	v_lshl_add_u64 v[4:5], s[2:3], 0, v[0:1]
	v_lshl_add_u64 v[4:5], v[4:5], 1, s[14:15]
	global_store_short v[4:5], v10, off offset:16
.LBB77_27:
	s_or_b64 exec, exec, s[16:17]
	v_cmp_gt_u32_e32 vcc, 48, v0
	s_and_b64 exec, exec, vcc
	s_cbranch_execz .LBB77_75
; %bb.28:
	s_and_saveexec_b64 s[16:17], s[4:5]
	s_xor_b64 s[16:17], exec, s[16:17]
	s_andn2_saveexec_b64 s[16:17], s[16:17]
	s_cbranch_execz .LBB77_30
; %bb.29:
	v_add_u32_e32 v2, v0, v6
	v_lshl_add_u32 v2, v2, 2, 0
	ds_read_b32 v3, v2 offset:64
	ds_read_b32 v2, v2 offset:2144
.LBB77_30:
	s_or_b64 exec, exec, s[16:17]
	s_waitcnt lgkmcnt(1)
	ds_bpermute_b32 v5, v7, v3
	s_waitcnt lgkmcnt(1)
	ds_bpermute_b32 v4, v7, v2
	s_waitcnt lgkmcnt(0)
	v_pk_add_f32 v[2:3], v[2:3], v[4:5]
	ds_bpermute_b32 v5, v8, v3
	ds_bpermute_b32 v4, v8, v2
	s_waitcnt lgkmcnt(0)
	v_pk_add_f32 v[2:3], v[2:3], v[4:5]
	ds_bpermute_b32 v5, v9, v3
	ds_bpermute_b32 v4, v9, v2
	s_waitcnt lgkmcnt(0)
	v_pk_add_f32 v[2:3], v[2:3], v[4:5]
	s_and_saveexec_b64 s[16:17], s[0:1]
	s_cbranch_execz .LBB77_35
; %bb.31:
	s_andn2_b64 vcc, exec, s[10:11]
	s_cbranch_vccnz .LBB77_33
; %bb.32:
	v_cvt_f16_f32_e32 v10, v3
	v_lshl_add_u64 v[4:5], s[2:3], 0, v[0:1]
	v_lshl_add_u64 v[4:5], v[4:5], 1, s[12:13]
	global_store_short v[4:5], v10, off offset:32
.LBB77_33:
	s_andn2_b64 vcc, exec, s[8:9]
	s_cbranch_vccnz .LBB77_35
; %bb.34:
	v_cvt_f16_f32_e32 v10, v2
	v_lshl_add_u64 v[4:5], s[2:3], 0, v[0:1]
	v_lshl_add_u64 v[4:5], v[4:5], 1, s[14:15]
	global_store_short v[4:5], v10, off offset:32
.LBB77_35:
	;; [unrolled: 49-line block ×6, first 2 shown]
	s_or_b64 exec, exec, s[4:5]
	v_cmp_gt_u32_e32 vcc, 8, v0
	s_and_b64 exec, exec, vcc
	s_cbranch_execz .LBB77_75
; %bb.68:
	s_and_saveexec_b64 s[4:5], s[6:7]
	s_cbranch_execz .LBB77_70
; %bb.69:
	v_add_u32_e32 v2, v0, v6
	v_lshl_add_u32 v2, v2, 2, 0
	ds_read_b32 v3, v2 offset:224
	ds_read_b32 v2, v2 offset:2304
.LBB77_70:
	s_or_b64 exec, exec, s[4:5]
	s_waitcnt lgkmcnt(1)
	ds_bpermute_b32 v4, v7, v3
	s_waitcnt lgkmcnt(1)
	ds_bpermute_b32 v5, v7, v2
	s_waitcnt lgkmcnt(1)
	v_add_f32_e32 v3, v3, v4
	s_waitcnt lgkmcnt(0)
	v_add_f32_e32 v2, v2, v5
	ds_bpermute_b32 v4, v8, v3
	ds_bpermute_b32 v5, v8, v2
	s_waitcnt lgkmcnt(1)
	v_add_f32_e32 v4, v3, v4
	s_waitcnt lgkmcnt(0)
	v_add_f32_e32 v2, v2, v5
	ds_bpermute_b32 v5, v9, v4
	ds_bpermute_b32 v3, v9, v2
	s_and_b64 exec, exec, s[0:1]
	s_cbranch_execz .LBB77_75
; %bb.71:
	s_andn2_b64 vcc, exec, s[10:11]
	v_lshl_add_u64 v[0:1], s[2:3], 0, v[0:1]
	s_cbranch_vccnz .LBB77_73
; %bb.72:
	s_waitcnt lgkmcnt(1)
	v_add_f32_e32 v4, v4, v5
	v_cvt_f16_f32_e32 v6, v4
	v_lshl_add_u64 v[4:5], v[0:1], 1, s[12:13]
	global_store_short v[4:5], v6, off offset:112
.LBB77_73:
	s_andn2_b64 vcc, exec, s[8:9]
	s_cbranch_vccnz .LBB77_75
; %bb.74:
	s_waitcnt lgkmcnt(0)
	v_add_f32_e32 v2, v2, v3
	v_cvt_f16_f32_e32 v2, v2
	v_lshl_add_u64 v[0:1], v[0:1], 1, s[14:15]
	global_store_short v[0:1], v2, off offset:112
.LBB77_75:
	s_endpgm
	.section	.rodata,"a",@progbits
	.p2align	6, 0x0
	.amdhsa_kernel _ZN2at6native12_GLOBAL__N_135GammaBetaBackwardCUDAKernelTemplateIN3c104HalfEfLj64ELj8ELj64ELb0ELb1ELb0EEEvllPKT_S7_PKT0_SA_PS5_SB_
		.amdhsa_group_segment_fixed_size 0
		.amdhsa_private_segment_fixed_size 0
		.amdhsa_kernarg_size 320
		.amdhsa_user_sgpr_count 2
		.amdhsa_user_sgpr_dispatch_ptr 0
		.amdhsa_user_sgpr_queue_ptr 0
		.amdhsa_user_sgpr_kernarg_segment_ptr 1
		.amdhsa_user_sgpr_dispatch_id 0
		.amdhsa_user_sgpr_kernarg_preload_length 0
		.amdhsa_user_sgpr_kernarg_preload_offset 0
		.amdhsa_user_sgpr_private_segment_size 0
		.amdhsa_uses_dynamic_stack 0
		.amdhsa_enable_private_segment 0
		.amdhsa_system_sgpr_workgroup_id_x 1
		.amdhsa_system_sgpr_workgroup_id_y 1
		.amdhsa_system_sgpr_workgroup_id_z 0
		.amdhsa_system_sgpr_workgroup_info 0
		.amdhsa_system_vgpr_workitem_id 1
		.amdhsa_next_free_vgpr 56
		.amdhsa_next_free_sgpr 32
		.amdhsa_accum_offset 56
		.amdhsa_reserve_vcc 1
		.amdhsa_float_round_mode_32 0
		.amdhsa_float_round_mode_16_64 0
		.amdhsa_float_denorm_mode_32 3
		.amdhsa_float_denorm_mode_16_64 3
		.amdhsa_dx10_clamp 1
		.amdhsa_ieee_mode 1
		.amdhsa_fp16_overflow 0
		.amdhsa_tg_split 0
		.amdhsa_exception_fp_ieee_invalid_op 0
		.amdhsa_exception_fp_denorm_src 0
		.amdhsa_exception_fp_ieee_div_zero 0
		.amdhsa_exception_fp_ieee_overflow 0
		.amdhsa_exception_fp_ieee_underflow 0
		.amdhsa_exception_fp_ieee_inexact 0
		.amdhsa_exception_int_div_zero 0
	.end_amdhsa_kernel
	.section	.text._ZN2at6native12_GLOBAL__N_135GammaBetaBackwardCUDAKernelTemplateIN3c104HalfEfLj64ELj8ELj64ELb0ELb1ELb0EEEvllPKT_S7_PKT0_SA_PS5_SB_,"axG",@progbits,_ZN2at6native12_GLOBAL__N_135GammaBetaBackwardCUDAKernelTemplateIN3c104HalfEfLj64ELj8ELj64ELb0ELb1ELb0EEEvllPKT_S7_PKT0_SA_PS5_SB_,comdat
.Lfunc_end77:
	.size	_ZN2at6native12_GLOBAL__N_135GammaBetaBackwardCUDAKernelTemplateIN3c104HalfEfLj64ELj8ELj64ELb0ELb1ELb0EEEvllPKT_S7_PKT0_SA_PS5_SB_, .Lfunc_end77-_ZN2at6native12_GLOBAL__N_135GammaBetaBackwardCUDAKernelTemplateIN3c104HalfEfLj64ELj8ELj64ELb0ELb1ELb0EEEvllPKT_S7_PKT0_SA_PS5_SB_
                                        ; -- End function
	.set _ZN2at6native12_GLOBAL__N_135GammaBetaBackwardCUDAKernelTemplateIN3c104HalfEfLj64ELj8ELj64ELb0ELb1ELb0EEEvllPKT_S7_PKT0_SA_PS5_SB_.num_vgpr, 56
	.set _ZN2at6native12_GLOBAL__N_135GammaBetaBackwardCUDAKernelTemplateIN3c104HalfEfLj64ELj8ELj64ELb0ELb1ELb0EEEvllPKT_S7_PKT0_SA_PS5_SB_.num_agpr, 0
	.set _ZN2at6native12_GLOBAL__N_135GammaBetaBackwardCUDAKernelTemplateIN3c104HalfEfLj64ELj8ELj64ELb0ELb1ELb0EEEvllPKT_S7_PKT0_SA_PS5_SB_.numbered_sgpr, 32
	.set _ZN2at6native12_GLOBAL__N_135GammaBetaBackwardCUDAKernelTemplateIN3c104HalfEfLj64ELj8ELj64ELb0ELb1ELb0EEEvllPKT_S7_PKT0_SA_PS5_SB_.num_named_barrier, 0
	.set _ZN2at6native12_GLOBAL__N_135GammaBetaBackwardCUDAKernelTemplateIN3c104HalfEfLj64ELj8ELj64ELb0ELb1ELb0EEEvllPKT_S7_PKT0_SA_PS5_SB_.private_seg_size, 0
	.set _ZN2at6native12_GLOBAL__N_135GammaBetaBackwardCUDAKernelTemplateIN3c104HalfEfLj64ELj8ELj64ELb0ELb1ELb0EEEvllPKT_S7_PKT0_SA_PS5_SB_.uses_vcc, 1
	.set _ZN2at6native12_GLOBAL__N_135GammaBetaBackwardCUDAKernelTemplateIN3c104HalfEfLj64ELj8ELj64ELb0ELb1ELb0EEEvllPKT_S7_PKT0_SA_PS5_SB_.uses_flat_scratch, 0
	.set _ZN2at6native12_GLOBAL__N_135GammaBetaBackwardCUDAKernelTemplateIN3c104HalfEfLj64ELj8ELj64ELb0ELb1ELb0EEEvllPKT_S7_PKT0_SA_PS5_SB_.has_dyn_sized_stack, 0
	.set _ZN2at6native12_GLOBAL__N_135GammaBetaBackwardCUDAKernelTemplateIN3c104HalfEfLj64ELj8ELj64ELb0ELb1ELb0EEEvllPKT_S7_PKT0_SA_PS5_SB_.has_recursion, 0
	.set _ZN2at6native12_GLOBAL__N_135GammaBetaBackwardCUDAKernelTemplateIN3c104HalfEfLj64ELj8ELj64ELb0ELb1ELb0EEEvllPKT_S7_PKT0_SA_PS5_SB_.has_indirect_call, 0
	.section	.AMDGPU.csdata,"",@progbits
; Kernel info:
; codeLenInByte = 3232
; TotalNumSgprs: 38
; NumVgprs: 56
; NumAgprs: 0
; TotalNumVgprs: 56
; ScratchSize: 0
; MemoryBound: 0
; FloatMode: 240
; IeeeMode: 1
; LDSByteSize: 0 bytes/workgroup (compile time only)
; SGPRBlocks: 4
; VGPRBlocks: 6
; NumSGPRsForWavesPerEU: 38
; NumVGPRsForWavesPerEU: 56
; AccumOffset: 56
; Occupancy: 8
; WaveLimiterHint : 0
; COMPUTE_PGM_RSRC2:SCRATCH_EN: 0
; COMPUTE_PGM_RSRC2:USER_SGPR: 2
; COMPUTE_PGM_RSRC2:TRAP_HANDLER: 0
; COMPUTE_PGM_RSRC2:TGID_X_EN: 1
; COMPUTE_PGM_RSRC2:TGID_Y_EN: 1
; COMPUTE_PGM_RSRC2:TGID_Z_EN: 0
; COMPUTE_PGM_RSRC2:TIDIG_COMP_CNT: 1
; COMPUTE_PGM_RSRC3_GFX90A:ACCUM_OFFSET: 13
; COMPUTE_PGM_RSRC3_GFX90A:TG_SPLIT: 0
	.section	.text._ZN2at6native12_GLOBAL__N_135GammaBetaBackwardCUDAKernelTemplateIN3c104HalfEfLj64ELj8ELj64ELb0ELb0ELb0EEEvllPKT_S7_PKT0_SA_PS5_SB_,"axG",@progbits,_ZN2at6native12_GLOBAL__N_135GammaBetaBackwardCUDAKernelTemplateIN3c104HalfEfLj64ELj8ELj64ELb0ELb0ELb0EEEvllPKT_S7_PKT0_SA_PS5_SB_,comdat
	.globl	_ZN2at6native12_GLOBAL__N_135GammaBetaBackwardCUDAKernelTemplateIN3c104HalfEfLj64ELj8ELj64ELb0ELb0ELb0EEEvllPKT_S7_PKT0_SA_PS5_SB_ ; -- Begin function _ZN2at6native12_GLOBAL__N_135GammaBetaBackwardCUDAKernelTemplateIN3c104HalfEfLj64ELj8ELj64ELb0ELb0ELb0EEEvllPKT_S7_PKT0_SA_PS5_SB_
	.p2align	8
	.type	_ZN2at6native12_GLOBAL__N_135GammaBetaBackwardCUDAKernelTemplateIN3c104HalfEfLj64ELj8ELj64ELb0ELb0ELb0EEEvllPKT_S7_PKT0_SA_PS5_SB_,@function
_ZN2at6native12_GLOBAL__N_135GammaBetaBackwardCUDAKernelTemplateIN3c104HalfEfLj64ELj8ELj64ELb0ELb0ELb0EEEvllPKT_S7_PKT0_SA_PS5_SB_: ; @_ZN2at6native12_GLOBAL__N_135GammaBetaBackwardCUDAKernelTemplateIN3c104HalfEfLj64ELj8ELj64ELb0ELb0ELb0EEEvllPKT_S7_PKT0_SA_PS5_SB_
; %bb.0:
	s_load_dwordx8 s[8:15], s[0:1], 0x0
	s_load_dwordx4 s[16:19], s[0:1], 0x20
	s_lshl_b32 s33, s2, 6
	s_mov_b32 s21, 0
	s_lshl_b32 s20, s3, 6
	s_or_b32 s4, s33, 63
	v_mov_b64_e32 v[2:3], s[20:21]
	v_mov_b32_e32 v26, s4
	v_mov_b32_e32 v27, 0
	s_waitcnt lgkmcnt(0)
	v_cmp_gt_i64_e64 s[4:5], s[8:9], v[2:3]
	v_cmp_le_i64_e32 vcc, s[10:11], v[26:27]
	s_nop 0
	v_cndmask_b32_e64 v1, 0, 1, s[4:5]
	v_cmp_ne_u32_e64 s[4:5], 1, v1
	s_cbranch_vccz .LBB78_48
; %bb.1:
	s_and_b64 vcc, exec, s[4:5]
	v_mov_b32_e32 v26, 0
	s_cbranch_vccnz .LBB78_49
; %bb.2:
	v_and_b32_e32 v1, 0x3ff, v0
	v_mov_b32_e32 v2, 0
	v_bfe_u32 v62, v0, 10, 10
	v_add_u32_e32 v4, s33, v1
	v_mov_b32_e32 v5, v2
	v_lshlrev_b32_e32 v20, 3, v62
	v_mov_b32_e32 v21, v2
	v_cmp_gt_i64_e64 s[6:7], s[10:11], v[4:5]
	v_lshlrev_b64 v[22:23], 1, v[4:5]
	v_lshl_add_u64 v[4:5], v[20:21], 0, s[20:21]
	v_mul_lo_u32 v3, s11, v4
	v_mul_lo_u32 v8, s10, v5
	v_mad_u64_u32 v[6:7], s[24:25], s10, v4, 0
	v_add3_u32 v7, v7, v8, v3
	v_lshlrev_b64 v[6:7], 1, v[6:7]
	v_lshl_add_u64 v[24:25], s[12:13], 0, v[6:7]
	v_lshl_add_u64 v[28:29], s[14:15], 0, v[6:7]
	v_lshl_add_u64 v[6:7], v[4:5], 0, 7
	v_mul_lo_u32 v9, s11, v6
	v_mul_lo_u32 v10, s10, v7
	v_mad_u64_u32 v[6:7], s[26:27], s10, v6, 0
	v_add3_u32 v7, v7, v10, v9
	v_lshlrev_b64 v[6:7], 1, v[6:7]
	v_lshl_add_u64 v[30:31], s[12:13], 0, v[6:7]
	v_lshl_add_u64 v[32:33], s[14:15], 0, v[6:7]
	;; [unrolled: 8-line block ×5, first 2 shown]
	v_lshl_add_u64 v[6:7], v[4:5], 0, 3
	v_mul_lo_u32 v9, s11, v6
	v_mul_lo_u32 v10, s10, v7
	v_mad_u64_u32 v[6:7], s[26:27], s10, v6, 0
	v_add3_u32 v7, v7, v10, v9
	s_load_dword s3, s[0:1], 0x44
	v_lshlrev_b64 v[6:7], 1, v[6:7]
	v_lshl_add_u64 v[46:47], s[12:13], 0, v[6:7]
	v_lshl_add_u64 v[48:49], s[14:15], 0, v[6:7]
	v_lshl_add_u64 v[6:7], v[4:5], 0, 2
	v_mul_lo_u32 v5, s11, v6
	v_mul_lo_u32 v9, s10, v7
	v_mad_u64_u32 v[6:7], s[26:27], s10, v6, 0
	v_add3_u32 v7, v7, v9, v5
	s_add_u32 s22, s0, 64
	v_lshlrev_b64 v[6:7], 1, v[6:7]
	s_addc_u32 s23, s1, 0
	s_waitcnt lgkmcnt(0)
	s_lshl_b32 s3, s3, 6
	v_lshl_add_u64 v[50:51], s[12:13], 0, v[6:7]
	v_lshl_add_u64 v[52:53], s[14:15], 0, v[6:7]
	v_mov_b64_e32 v[6:7], s[10:11]
	s_mul_i32 s24, s11, s3
	s_mul_hi_u32 s25, s10, s3
	v_mad_u64_u32 v[4:5], s[26:27], s10, v4, v[6:7]
	s_add_i32 s25, s25, s24
	s_mul_i32 s24, s10, s3
	v_add3_u32 v5, v3, v5, v8
	v_mbcnt_lo_u32_b32 v3, -1, 0
	s_lshl_b64 s[24:25], s[24:25], 1
	v_mbcnt_hi_u32_b32 v3, -1, v3
	v_lshlrev_b64 v[4:5], 1, v[4:5]
	s_add_u32 s26, s20, 63
	s_movk_i32 s28, 0xffc1
	s_movk_i32 s30, 0xffc2
	;; [unrolled: 1-line block ×8, first 2 shown]
	v_lshlrev_b32_e32 v3, 2, v3
	v_lshl_add_u64 v[54:55], s[12:13], 0, v[4:5]
	v_lshl_add_u64 v[56:57], s[14:15], 0, v[4:5]
	s_addc_u32 s27, 0, 0
	s_mov_b32 s29, -1
	s_mov_b32 s31, -1
	;; [unrolled: 1-line block ×8, first 2 shown]
	v_and_b32_e32 v63, 0x100, v3
	s_mov_b64 s[46:47], s[20:21]
	v_mov_b32_e32 v26, 0
	v_mov_b32_e32 v27, v2
	s_branch .LBB78_5
.LBB78_3:                               ;   in Loop: Header=BB78_5 Depth=1
	s_or_b64 exec, exec, s[48:49]
	s_waitcnt vmcnt(1)
	ds_bpermute_b32 v3, v63, v61
	ds_bpermute_b32 v58, v63, v61 offset:4
	s_waitcnt vmcnt(0)
	ds_bpermute_b32 v59, v63, v60
	ds_bpermute_b32 v64, v63, v60 offset:4
	v_mov_b32_e32 v66, v8
	s_waitcnt lgkmcnt(3)
	v_sub_f32_e32 v3, v12, v3
	v_mul_f32_e32 v3, v4, v3
	s_waitcnt lgkmcnt(2)
	v_sub_f32_e32 v12, v13, v58
	s_waitcnt lgkmcnt(1)
	v_mul_f32_e32 v13, v3, v59
	ds_bpermute_b32 v3, v63, v61 offset:8
	v_mul_f32_e32 v12, v5, v12
	s_waitcnt lgkmcnt(1)
	v_mul_f32_e32 v59, v12, v64
	ds_bpermute_b32 v12, v63, v60 offset:8
	ds_bpermute_b32 v58, v63, v61 offset:12
	s_waitcnt lgkmcnt(2)
	v_sub_f32_e32 v3, v14, v3
	ds_bpermute_b32 v14, v63, v60 offset:12
	v_mul_f32_e32 v3, v6, v3
	s_waitcnt lgkmcnt(2)
	v_mul_f32_e32 v65, v3, v12
	s_waitcnt lgkmcnt(1)
	v_sub_f32_e32 v3, v15, v58
	ds_bpermute_b32 v12, v63, v61 offset:16
	v_mul_f32_e32 v3, v7, v3
	s_waitcnt lgkmcnt(1)
	v_mul_f32_e32 v15, v3, v14
	ds_bpermute_b32 v3, v63, v60 offset:16
	ds_bpermute_b32 v14, v63, v61 offset:20
	s_waitcnt lgkmcnt(2)
	v_sub_f32_e32 v12, v16, v12
	ds_bpermute_b32 v16, v63, v60 offset:20
	v_mul_f32_e32 v12, v8, v12
	s_waitcnt lgkmcnt(2)
	v_mul_f32_e32 v67, v12, v3
	v_mov_b32_e32 v12, v4
	s_waitcnt lgkmcnt(1)
	v_sub_f32_e32 v3, v17, v14
	v_pk_add_f32 v[12:13], v[26:27], v[12:13]
	v_mov_b32_e32 v58, v5
	v_mul_f32_e32 v3, v9, v3
	v_pk_add_f32 v[4:5], v[58:59], v[12:13]
	v_mov_b32_e32 v64, v6
	s_waitcnt lgkmcnt(0)
	v_mul_f32_e32 v17, v3, v16
	v_pk_add_f32 v[4:5], v[64:65], v[4:5]
	v_mov_b32_e32 v14, v7
	ds_bpermute_b32 v3, v63, v61 offset:24
	v_pk_add_f32 v[4:5], v[14:15], v[4:5]
	v_mov_b32_e32 v16, v9
	v_pk_add_f32 v[4:5], v[66:67], v[4:5]
	s_waitcnt lgkmcnt(0)
	v_sub_f32_e32 v8, v18, v3
	v_pk_add_f32 v[6:7], v[16:17], v[4:5]
	ds_bpermute_b32 v5, v63, v60 offset:24
	ds_bpermute_b32 v3, v63, v60 offset:28
	ds_bpermute_b32 v4, v63, v61 offset:28
	v_mul_f32_e32 v8, v10, v8
	s_waitcnt lgkmcnt(2)
	v_mul_f32_e32 v9, v8, v5
	v_mov_b32_e32 v8, v10
	v_pk_add_f32 v[60:61], v[8:9], v[6:7]
.LBB78_4:                               ;   in Loop: Header=BB78_5 Depth=1
	s_waitcnt lgkmcnt(0)
	v_sub_f32_e32 v4, v19, v4
	v_mul_f32_e32 v4, v11, v4
	v_mul_f32_e32 v5, v4, v3
	v_mov_b32_e32 v4, v11
	s_add_u32 s46, s46, s3
	v_pk_add_f32 v[26:27], v[60:61], v[4:5]
	s_addc_u32 s47, s47, 0
	v_mov_b64_e32 v[4:5], s[8:9]
	s_add_u32 s26, s26, s3
	v_cmp_lt_i64_e32 vcc, s[46:47], v[4:5]
	v_lshl_add_u64 v[24:25], v[24:25], 0, s[24:25]
	v_lshl_add_u64 v[28:29], v[28:29], 0, s[24:25]
	;; [unrolled: 1-line block ×16, first 2 shown]
	s_addc_u32 s27, s27, 0
	s_cbranch_vccz .LBB78_49
.LBB78_5:                               ; =>This Inner Loop Header: Depth=1
	v_mov_b64_e32 v[4:5], s[8:9]
	v_cmp_ge_i64_e32 vcc, s[26:27], v[4:5]
	v_lshl_add_u64 v[58:59], v[20:21], 0, s[26:27]
	s_mov_b64 s[48:49], -1
	s_and_b64 vcc, exec, vcc
                                        ; implicit-def: $vgpr4_vgpr5_vgpr6_vgpr7_vgpr8_vgpr9_vgpr10_vgpr11
                                        ; implicit-def: $vgpr60_vgpr61
                                        ; implicit-def: $vgpr3
                                        ; implicit-def: $vgpr12_vgpr13_vgpr14_vgpr15_vgpr16_vgpr17_vgpr18_vgpr19
                                        ; implicit-def: $vgpr4
	s_cbranch_vccz .LBB78_27
; %bb.6:                                ;   in Loop: Header=BB78_5 Depth=1
	s_load_dword s48, s[22:23], 0xc
	v_mov_b32_e32 v60, 0
	v_mov_b32_e32 v61, 0
	s_waitcnt lgkmcnt(0)
	s_and_b32 s48, s48, 0xffff
	v_mad_u32_u24 v3, v62, s48, v1
	v_and_b32_e32 v4, 63, v3
	v_cmp_gt_u32_e32 vcc, 8, v4
	s_and_saveexec_b64 s[48:49], vcc
	s_cbranch_execz .LBB78_10
; %bb.7:                                ;   in Loop: Header=BB78_5 Depth=1
	v_mov_b32_e32 v5, v2
	v_lshl_add_u64 v[4:5], v[58:59], 0, v[4:5]
	v_lshl_add_u64 v[4:5], v[4:5], 0, s[28:29]
	v_cmp_gt_i64_e32 vcc, s[8:9], v[4:5]
	v_mov_b32_e32 v61, 0
	v_mov_b32_e32 v60, 0
	s_and_saveexec_b64 s[50:51], vcc
	s_cbranch_execz .LBB78_9
; %bb.8:                                ;   in Loop: Header=BB78_5 Depth=1
	v_lshlrev_b64 v[4:5], 2, v[4:5]
	v_lshl_add_u64 v[6:7], s[18:19], 0, v[4:5]
	v_lshl_add_u64 v[4:5], s[16:17], 0, v[4:5]
	global_load_dword v61, v[4:5], off
	global_load_dword v60, v[6:7], off
.LBB78_9:                               ;   in Loop: Header=BB78_5 Depth=1
	s_or_b64 exec, exec, s[50:51]
.LBB78_10:                              ;   in Loop: Header=BB78_5 Depth=1
	s_or_b64 exec, exec, s[48:49]
	v_lshl_add_u64 v[4:5], v[58:59], 0, s[28:29]
	v_mov_b32_e32 v8, v2
	v_mov_b32_e32 v9, v2
	v_cmp_gt_i64_e32 vcc, s[8:9], v[4:5]
	v_mov_b32_e32 v3, v2
	v_mov_b32_e32 v4, v2
	;; [unrolled: 1-line block ×5, first 2 shown]
	v_mov_b64_e32 v[18:19], v[8:9]
	v_mov_b64_e32 v[16:17], v[6:7]
	;; [unrolled: 1-line block ×5, first 2 shown]
	s_and_b64 s[50:51], s[6:7], vcc
	v_mov_b64_e32 v[8:9], v[6:7]
	v_mov_b64_e32 v[6:7], v[4:5]
	;; [unrolled: 1-line block ×3, first 2 shown]
	s_and_saveexec_b64 s[48:49], s[50:51]
	s_cbranch_execz .LBB78_12
; %bb.11:                               ;   in Loop: Header=BB78_5 Depth=1
	v_lshl_add_u64 v[4:5], v[24:25], 0, v[22:23]
	global_load_ushort v3, v[4:5], off
	v_lshl_add_u64 v[4:5], v[28:29], 0, v[22:23]
	global_load_ushort v12, v[4:5], off
	v_mov_b32_e32 v5, v2
	v_mov_b32_e32 v6, v2
	;; [unrolled: 1-line block ×14, first 2 shown]
	s_waitcnt vmcnt(1)
	v_cvt_f32_f16_e32 v4, v3
	s_waitcnt vmcnt(0)
	v_cvt_f32_f16_e32 v12, v12
.LBB78_12:                              ;   in Loop: Header=BB78_5 Depth=1
	s_or_b64 exec, exec, s[48:49]
	v_lshl_add_u64 v[64:65], v[58:59], 0, s[30:31]
	v_cmp_gt_i64_e32 vcc, s[8:9], v[64:65]
	s_and_b64 s[50:51], s[6:7], vcc
	s_and_saveexec_b64 s[48:49], s[50:51]
	s_cbranch_execz .LBB78_14
; %bb.13:                               ;   in Loop: Header=BB78_5 Depth=1
	v_lshl_add_u64 v[64:65], v[54:55], 0, v[22:23]
	global_load_ushort v3, v[64:65], off
	v_lshl_add_u64 v[64:65], v[56:57], 0, v[22:23]
	global_load_ushort v13, v[64:65], off
	s_waitcnt vmcnt(1)
	v_cvt_f32_f16_e32 v5, v3
	s_waitcnt vmcnt(0)
	v_cvt_f32_f16_e32 v13, v13
.LBB78_14:                              ;   in Loop: Header=BB78_5 Depth=1
	s_or_b64 exec, exec, s[48:49]
	v_lshl_add_u64 v[64:65], v[58:59], 0, s[34:35]
	v_cmp_gt_i64_e32 vcc, s[8:9], v[64:65]
	s_and_b64 s[50:51], s[6:7], vcc
	s_and_saveexec_b64 s[48:49], s[50:51]
	s_cbranch_execz .LBB78_16
; %bb.15:                               ;   in Loop: Header=BB78_5 Depth=1
	v_lshl_add_u64 v[64:65], v[50:51], 0, v[22:23]
	global_load_ushort v3, v[64:65], off
	v_lshl_add_u64 v[64:65], v[52:53], 0, v[22:23]
	global_load_ushort v14, v[64:65], off
	s_waitcnt vmcnt(1)
	v_cvt_f32_f16_e32 v6, v3
	s_waitcnt vmcnt(0)
	v_cvt_f32_f16_e32 v14, v14
.LBB78_16:                              ;   in Loop: Header=BB78_5 Depth=1
	;; [unrolled: 16-line block ×7, first 2 shown]
	s_or_b64 exec, exec, s[48:49]
	s_waitcnt vmcnt(1)
	ds_bpermute_b32 v3, v63, v61
	ds_bpermute_b32 v64, v63, v61 offset:4
	s_waitcnt vmcnt(0)
	ds_bpermute_b32 v65, v63, v60
	ds_bpermute_b32 v66, v63, v60 offset:4
	v_mov_b32_e32 v68, v8
	s_waitcnt lgkmcnt(3)
	v_sub_f32_e32 v3, v12, v3
	v_mul_f32_e32 v3, v4, v3
	s_waitcnt lgkmcnt(2)
	v_sub_f32_e32 v12, v13, v64
	s_waitcnt lgkmcnt(1)
	v_mul_f32_e32 v13, v3, v65
	ds_bpermute_b32 v3, v63, v61 offset:8
	v_mul_f32_e32 v12, v5, v12
	s_waitcnt lgkmcnt(1)
	v_mul_f32_e32 v65, v12, v66
	ds_bpermute_b32 v12, v63, v60 offset:8
	ds_bpermute_b32 v64, v63, v61 offset:12
	s_waitcnt lgkmcnt(2)
	v_sub_f32_e32 v3, v14, v3
	ds_bpermute_b32 v14, v63, v60 offset:12
	v_mul_f32_e32 v3, v6, v3
	s_waitcnt lgkmcnt(2)
	v_mul_f32_e32 v67, v3, v12
	ds_bpermute_b32 v12, v63, v61 offset:16
	s_waitcnt lgkmcnt(2)
	v_sub_f32_e32 v3, v15, v64
	v_mul_f32_e32 v3, v7, v3
	s_waitcnt lgkmcnt(1)
	v_mul_f32_e32 v15, v3, v14
	ds_bpermute_b32 v3, v63, v60 offset:16
	ds_bpermute_b32 v14, v63, v61 offset:20
	s_waitcnt lgkmcnt(2)
	v_sub_f32_e32 v12, v16, v12
	ds_bpermute_b32 v16, v63, v60 offset:20
	v_mul_f32_e32 v12, v8, v12
	s_waitcnt lgkmcnt(2)
	v_mul_f32_e32 v69, v12, v3
	s_waitcnt lgkmcnt(1)
	v_sub_f32_e32 v3, v17, v14
	v_mov_b32_e32 v12, v4
	v_mul_f32_e32 v3, v9, v3
	v_pk_add_f32 v[12:13], v[26:27], v[12:13]
	v_mov_b32_e32 v64, v5
	s_waitcnt lgkmcnt(0)
	v_mul_f32_e32 v17, v3, v16
	v_pk_add_f32 v[4:5], v[64:65], v[12:13]
	v_mov_b32_e32 v66, v6
	ds_bpermute_b32 v3, v63, v61 offset:24
	v_pk_add_f32 v[4:5], v[66:67], v[4:5]
	v_mov_b32_e32 v14, v7
	v_pk_add_f32 v[4:5], v[14:15], v[4:5]
	v_mov_b32_e32 v16, v9
	v_pk_add_f32 v[4:5], v[68:69], v[4:5]
	s_waitcnt lgkmcnt(0)
	v_sub_f32_e32 v3, v18, v3
	v_pk_add_f32 v[6:7], v[16:17], v[4:5]
	ds_bpermute_b32 v5, v63, v60 offset:24
	v_mul_f32_e32 v8, v10, v3
	ds_bpermute_b32 v3, v63, v60 offset:28
	ds_bpermute_b32 v4, v63, v61 offset:28
	s_mov_b64 s[48:49], 0
	s_waitcnt lgkmcnt(2)
	v_mul_f32_e32 v9, v8, v5
	v_mov_b32_e32 v8, v10
	v_pk_add_f32 v[60:61], v[8:9], v[6:7]
.LBB78_27:                              ;   in Loop: Header=BB78_5 Depth=1
	s_and_b64 vcc, exec, s[48:49]
	s_cbranch_vccz .LBB78_4
; %bb.28:                               ;   in Loop: Header=BB78_5 Depth=1
	s_load_dword s48, s[22:23], 0x0
	v_mov_b32_e32 v60, 0
	v_mov_b32_e32 v61, 0
	s_waitcnt lgkmcnt(0)
	s_cmp_lt_u32 s2, s48
	s_cselect_b32 s48, 12, 18
	s_add_u32 s48, s22, s48
	s_addc_u32 s49, s23, 0
	global_load_ushort v3, v2, s[48:49]
	s_waitcnt vmcnt(0)
	v_mad_u32_u24 v3, v62, v3, v1
	v_and_b32_e32 v4, 63, v3
	v_cmp_gt_u32_e32 vcc, 8, v4
	s_and_saveexec_b64 s[48:49], vcc
	s_cbranch_execz .LBB78_32
; %bb.29:                               ;   in Loop: Header=BB78_5 Depth=1
	v_mov_b32_e32 v5, v2
	v_lshl_add_u64 v[4:5], v[58:59], 0, v[4:5]
	v_lshl_add_u64 v[4:5], v[4:5], 0, s[28:29]
	v_cmp_gt_i64_e32 vcc, s[8:9], v[4:5]
	v_mov_b32_e32 v61, 0
	v_mov_b32_e32 v60, 0
	s_and_saveexec_b64 s[50:51], vcc
	s_cbranch_execz .LBB78_31
; %bb.30:                               ;   in Loop: Header=BB78_5 Depth=1
	v_lshlrev_b64 v[4:5], 2, v[4:5]
	v_lshl_add_u64 v[6:7], s[18:19], 0, v[4:5]
	v_lshl_add_u64 v[4:5], s[16:17], 0, v[4:5]
	global_load_dword v61, v[4:5], off
	global_load_dword v60, v[6:7], off
.LBB78_31:                              ;   in Loop: Header=BB78_5 Depth=1
	s_or_b64 exec, exec, s[50:51]
.LBB78_32:                              ;   in Loop: Header=BB78_5 Depth=1
	s_or_b64 exec, exec, s[48:49]
	v_mov_b32_e32 v8, v2
	v_mov_b32_e32 v9, v2
	;; [unrolled: 1-line block ×7, first 2 shown]
	v_mov_b64_e32 v[18:19], v[8:9]
	v_mov_b64_e32 v[16:17], v[6:7]
	;; [unrolled: 1-line block ×8, first 2 shown]
	s_and_saveexec_b64 s[48:49], s[6:7]
	s_cbranch_execnz .LBB78_40
; %bb.33:                               ;   in Loop: Header=BB78_5 Depth=1
	s_or_b64 exec, exec, s[48:49]
	s_and_saveexec_b64 s[48:49], s[6:7]
	s_cbranch_execnz .LBB78_41
.LBB78_34:                              ;   in Loop: Header=BB78_5 Depth=1
	s_or_b64 exec, exec, s[48:49]
	s_and_saveexec_b64 s[48:49], s[6:7]
	s_cbranch_execnz .LBB78_42
.LBB78_35:                              ;   in Loop: Header=BB78_5 Depth=1
	s_or_b64 exec, exec, s[48:49]
	s_and_saveexec_b64 s[48:49], s[6:7]
	s_cbranch_execnz .LBB78_43
.LBB78_36:                              ;   in Loop: Header=BB78_5 Depth=1
	s_or_b64 exec, exec, s[48:49]
	s_and_saveexec_b64 s[48:49], s[6:7]
	s_cbranch_execnz .LBB78_44
.LBB78_37:                              ;   in Loop: Header=BB78_5 Depth=1
	s_or_b64 exec, exec, s[48:49]
	s_and_saveexec_b64 s[48:49], s[6:7]
	s_cbranch_execnz .LBB78_45
.LBB78_38:                              ;   in Loop: Header=BB78_5 Depth=1
	s_or_b64 exec, exec, s[48:49]
	s_and_saveexec_b64 s[48:49], s[6:7]
	s_cbranch_execnz .LBB78_46
.LBB78_39:                              ;   in Loop: Header=BB78_5 Depth=1
	s_or_b64 exec, exec, s[48:49]
	s_and_saveexec_b64 s[48:49], s[6:7]
	s_cbranch_execz .LBB78_3
	s_branch .LBB78_47
.LBB78_40:                              ;   in Loop: Header=BB78_5 Depth=1
	v_lshl_add_u64 v[4:5], v[24:25], 0, v[22:23]
	global_load_ushort v3, v[4:5], off
	v_lshl_add_u64 v[4:5], v[28:29], 0, v[22:23]
	global_load_ushort v12, v[4:5], off
	v_mov_b32_e32 v5, v2
	v_mov_b32_e32 v6, v2
	;; [unrolled: 1-line block ×14, first 2 shown]
	s_waitcnt vmcnt(1)
	v_cvt_f32_f16_e32 v4, v3
	s_waitcnt vmcnt(0)
	v_cvt_f32_f16_e32 v12, v12
	s_or_b64 exec, exec, s[48:49]
	s_and_saveexec_b64 s[48:49], s[6:7]
	s_cbranch_execz .LBB78_34
.LBB78_41:                              ;   in Loop: Header=BB78_5 Depth=1
	v_lshl_add_u64 v[58:59], v[54:55], 0, v[22:23]
	global_load_ushort v3, v[58:59], off
	v_lshl_add_u64 v[58:59], v[56:57], 0, v[22:23]
	global_load_ushort v13, v[58:59], off
	s_waitcnt vmcnt(1)
	v_cvt_f32_f16_e32 v5, v3
	s_waitcnt vmcnt(0)
	v_cvt_f32_f16_e32 v13, v13
	s_or_b64 exec, exec, s[48:49]
	s_and_saveexec_b64 s[48:49], s[6:7]
	s_cbranch_execz .LBB78_35
.LBB78_42:                              ;   in Loop: Header=BB78_5 Depth=1
	v_lshl_add_u64 v[58:59], v[50:51], 0, v[22:23]
	global_load_ushort v3, v[58:59], off
	v_lshl_add_u64 v[58:59], v[52:53], 0, v[22:23]
	global_load_ushort v14, v[58:59], off
	s_waitcnt vmcnt(1)
	v_cvt_f32_f16_e32 v6, v3
	s_waitcnt vmcnt(0)
	v_cvt_f32_f16_e32 v14, v14
	s_or_b64 exec, exec, s[48:49]
	s_and_saveexec_b64 s[48:49], s[6:7]
	s_cbranch_execz .LBB78_36
.LBB78_43:                              ;   in Loop: Header=BB78_5 Depth=1
	v_lshl_add_u64 v[58:59], v[46:47], 0, v[22:23]
	global_load_ushort v3, v[58:59], off
	v_lshl_add_u64 v[58:59], v[48:49], 0, v[22:23]
	global_load_ushort v15, v[58:59], off
	s_waitcnt vmcnt(1)
	v_cvt_f32_f16_e32 v7, v3
	s_waitcnt vmcnt(0)
	v_cvt_f32_f16_e32 v15, v15
	s_or_b64 exec, exec, s[48:49]
	s_and_saveexec_b64 s[48:49], s[6:7]
	s_cbranch_execz .LBB78_37
.LBB78_44:                              ;   in Loop: Header=BB78_5 Depth=1
	v_lshl_add_u64 v[58:59], v[42:43], 0, v[22:23]
	global_load_ushort v3, v[58:59], off
	v_lshl_add_u64 v[58:59], v[44:45], 0, v[22:23]
	global_load_ushort v16, v[58:59], off
	s_waitcnt vmcnt(1)
	v_cvt_f32_f16_e32 v8, v3
	s_waitcnt vmcnt(0)
	v_cvt_f32_f16_e32 v16, v16
	s_or_b64 exec, exec, s[48:49]
	s_and_saveexec_b64 s[48:49], s[6:7]
	s_cbranch_execz .LBB78_38
.LBB78_45:                              ;   in Loop: Header=BB78_5 Depth=1
	v_lshl_add_u64 v[58:59], v[38:39], 0, v[22:23]
	global_load_ushort v3, v[58:59], off
	v_lshl_add_u64 v[58:59], v[40:41], 0, v[22:23]
	global_load_ushort v17, v[58:59], off
	s_waitcnt vmcnt(1)
	v_cvt_f32_f16_e32 v9, v3
	s_waitcnt vmcnt(0)
	v_cvt_f32_f16_e32 v17, v17
	s_or_b64 exec, exec, s[48:49]
	s_and_saveexec_b64 s[48:49], s[6:7]
	s_cbranch_execz .LBB78_39
.LBB78_46:                              ;   in Loop: Header=BB78_5 Depth=1
	v_lshl_add_u64 v[58:59], v[34:35], 0, v[22:23]
	global_load_ushort v3, v[58:59], off
	v_lshl_add_u64 v[58:59], v[36:37], 0, v[22:23]
	global_load_ushort v18, v[58:59], off
	s_waitcnt vmcnt(1)
	v_cvt_f32_f16_e32 v10, v3
	s_waitcnt vmcnt(0)
	v_cvt_f32_f16_e32 v18, v18
	s_or_b64 exec, exec, s[48:49]
	s_and_saveexec_b64 s[48:49], s[6:7]
	s_cbranch_execz .LBB78_3
.LBB78_47:                              ;   in Loop: Header=BB78_5 Depth=1
	v_lshl_add_u64 v[58:59], v[30:31], 0, v[22:23]
	global_load_ushort v3, v[58:59], off
	v_lshl_add_u64 v[58:59], v[32:33], 0, v[22:23]
	global_load_ushort v19, v[58:59], off
	s_waitcnt vmcnt(1)
	v_cvt_f32_f16_e32 v11, v3
	s_waitcnt vmcnt(0)
	v_cvt_f32_f16_e32 v19, v19
	s_branch .LBB78_3
.LBB78_48:
                                        ; implicit-def: $vgpr27
	s_branch .LBB78_50
.LBB78_49:
	s_cbranch_execnz .LBB78_81
.LBB78_50:
	v_mov_b32_e32 v27, 0
	s_and_b64 vcc, exec, s[4:5]
	v_mov_b32_e32 v26, v27
	s_cbranch_vccnz .LBB78_81
; %bb.51:
	v_mov_b32_e32 v2, 0
	v_bfe_u32 v90, v0, 10, 10
	v_lshlrev_b32_e32 v6, 4, v90
	v_mov_b32_e32 v7, v2
	v_lshl_add_u64 v[6:7], s[20:21], 1, v[6:7]
	v_lshl_add_u64 v[8:9], v[6:7], 0, 2
	v_mov_b64_e32 v[10:11], s[12:13]
	v_lshl_add_u64 v[12:13], v[6:7], 0, 4
	v_lshl_add_u64 v[14:15], v[6:7], 0, 6
	v_lshl_add_u64 v[16:17], v[6:7], 0, 8
	v_lshl_add_u64 v[18:19], v[6:7], 0, 10
	v_lshl_add_u64 v[26:27], v[6:7], 0, 12
	v_lshl_add_u64 v[6:7], v[6:7], 0, 14
	v_mad_u64_u32 v[22:23], s[4:5], s10, v8, v[10:11]
	v_mad_u64_u32 v[24:25], s[4:5], s10, v12, v[10:11]
	;; [unrolled: 1-line block ×7, first 2 shown]
	v_mov_b64_e32 v[10:11], s[14:15]
	v_mul_lo_u32 v9, s10, v9
	v_mul_lo_u32 v40, s11, v8
	v_mad_u64_u32 v[38:39], s[4:5], s10, v8, v[10:11]
	v_add3_u32 v23, v40, v23, v9
	v_mul_lo_u32 v13, s10, v13
	v_mul_lo_u32 v42, s11, v12
	v_add3_u32 v39, v40, v39, v9
	v_mad_u64_u32 v[40:41], s[4:5], s10, v12, v[10:11]
	v_add3_u32 v25, v42, v25, v13
	v_mul_lo_u32 v15, s10, v15
	v_mul_lo_u32 v44, s11, v14
	v_add3_u32 v41, v42, v41, v13
	;; [unrolled: 5-line block ×4, first 2 shown]
	v_mad_u64_u32 v[46:47], s[4:5], s10, v18, v[10:11]
	v_lshlrev_b32_e32 v20, 3, v90
	v_mov_b32_e32 v21, v2
	v_add3_u32 v33, v48, v33, v19
	v_mul_lo_u32 v27, s10, v27
	v_mul_lo_u32 v50, s11, v26
	v_add3_u32 v47, v48, v47, v19
	v_mad_u64_u32 v[48:49], s[4:5], s10, v26, v[10:11]
	v_lshl_add_u64 v[4:5], v[20:21], 0, s[20:21]
	v_add3_u32 v35, v50, v35, v27
	v_mul_lo_u32 v7, s10, v7
	v_mul_lo_u32 v8, s11, v6
	v_add3_u32 v49, v50, v49, v27
	v_mad_u64_u32 v[50:51], s[4:5], s10, v6, v[10:11]
	v_add3_u32 v37, v8, v37, v7
	v_add3_u32 v51, v8, v51, v7
	v_lshl_add_u64 v[6:7], v[4:5], 0, 7
	v_mul_lo_u32 v8, s11, v6
	v_mul_lo_u32 v9, s10, v7
	v_mad_u64_u32 v[6:7], s[4:5], s10, v6, 0
	v_add3_u32 v7, v7, v9, v8
	v_lshl_add_u64 v[8:9], v[4:5], 0, 6
	v_mul_lo_u32 v10, s11, v8
	v_mul_lo_u32 v11, s10, v9
	v_mad_u64_u32 v[8:9], s[4:5], s10, v8, 0
	;; [unrolled: 5-line block ×5, first 2 shown]
	v_add3_u32 v15, v15, v17, v16
	v_lshl_add_u64 v[16:17], v[4:5], 0, 2
	v_mul_lo_u32 v52, s10, v5
	v_mul_lo_u32 v5, s11, v16
	;; [unrolled: 1-line block ×3, first 2 shown]
	v_mad_u64_u32 v[16:17], s[4:5], s10, v16, 0
	v_add3_u32 v17, v17, v18, v5
	v_mov_b64_e32 v[18:19], s[10:11]
	v_mul_lo_u32 v3, s11, v4
	v_mad_u64_u32 v[18:19], s[4:5], s10, v4, v[18:19]
	v_mad_u64_u32 v[4:5], s[4:5], s10, v4, 0
	s_load_dword s3, s[0:1], 0x44
	v_add3_u32 v5, v5, v52, v3
	v_lshlrev_b64 v[4:5], 1, v[4:5]
	v_lshl_add_u64 v[54:55], s[12:13], 0, v[4:5]
	v_lshl_add_u64 v[56:57], s[14:15], 0, v[4:5]
	v_lshlrev_b64 v[4:5], 1, v[6:7]
	v_lshl_add_u64 v[58:59], s[12:13], 0, v[4:5]
	v_lshl_add_u64 v[60:61], s[14:15], 0, v[4:5]
	v_lshlrev_b64 v[4:5], 1, v[8:9]
	s_add_u32 s4, s0, 64
	v_lshl_add_u64 v[62:63], s[12:13], 0, v[4:5]
	v_lshl_add_u64 v[64:65], s[14:15], 0, v[4:5]
	v_lshlrev_b64 v[4:5], 1, v[10:11]
	s_addc_u32 s5, s1, 0
	s_waitcnt lgkmcnt(0)
	s_lshl_b32 s3, s3, 6
	v_lshl_add_u64 v[66:67], s[12:13], 0, v[4:5]
	v_lshl_add_u64 v[68:69], s[14:15], 0, v[4:5]
	v_lshlrev_b64 v[4:5], 1, v[12:13]
	s_mul_i32 s6, s11, s3
	s_mul_hi_u32 s7, s10, s3
	v_lshl_add_u64 v[70:71], s[12:13], 0, v[4:5]
	v_lshl_add_u64 v[72:73], s[14:15], 0, v[4:5]
	v_lshlrev_b64 v[4:5], 1, v[14:15]
	v_add3_u32 v19, v3, v19, v52
	s_add_i32 s7, s7, s6
	s_mul_i32 s6, s10, s3
	v_lshl_add_u64 v[74:75], s[12:13], 0, v[4:5]
	v_lshl_add_u64 v[76:77], s[14:15], 0, v[4:5]
	v_lshlrev_b64 v[4:5], 1, v[16:17]
	v_mbcnt_lo_u32_b32 v3, -1, 0
	v_and_b32_e32 v1, 0x3ff, v0
	s_lshl_b64 s[6:7], s[6:7], 1
	v_lshl_add_u64 v[78:79], s[12:13], 0, v[4:5]
	v_lshl_add_u64 v[80:81], s[14:15], 0, v[4:5]
	v_lshlrev_b64 v[4:5], 1, v[18:19]
	v_mbcnt_hi_u32_b32 v3, -1, v3
	v_add_u32_e32 v26, s33, v1
	v_mov_b32_e32 v27, v2
	s_add_u32 s22, s20, 63
	v_lshl_add_u64 v[82:83], s[12:13], 0, v[4:5]
	v_lshl_add_u64 v[84:85], s[14:15], 0, v[4:5]
	s_movk_i32 s12, 0xffc1
	s_movk_i32 s14, 0xffc2
	;; [unrolled: 1-line block ×8, first 2 shown]
	v_lshlrev_b32_e32 v3, 2, v3
	v_lshlrev_b64 v[52:53], 1, v[26:27]
	s_addc_u32 s23, 0, 0
	s_mov_b32 s13, -1
	s_mov_b32 s15, -1
	;; [unrolled: 1-line block ×8, first 2 shown]
	v_and_b32_e32 v91, 0x100, v3
	v_mov_b32_e32 v26, 0
	s_branch .LBB78_55
.LBB78_52:                              ;   in Loop: Header=BB78_55 Depth=1
	s_or_b64 exec, exec, s[40:41]
.LBB78_53:                              ;   in Loop: Header=BB78_55 Depth=1
	s_or_b64 exec, exec, s[38:39]
	v_lshl_add_u64 v[4:5], v[54:55], 0, v[52:53]
	global_load_ushort v7, v[4:5], off
	v_lshl_add_u64 v[4:5], v[56:57], 0, v[52:53]
	global_load_ushort v8, v[4:5], off
	;; [unrolled: 2-line block ×16, first 2 shown]
	s_waitcnt vmcnt(17)
	ds_bpermute_b32 v89, v91, v6
	ds_bpermute_b32 v93, v91, v6 offset:4
	ds_bpermute_b32 v104, v91, v6 offset:28
	s_waitcnt vmcnt(16)
	ds_bpermute_b32 v88, v91, v3
	ds_bpermute_b32 v95, v91, v6 offset:8
	ds_bpermute_b32 v97, v91, v6 offset:12
	;; [unrolled: 1-line block ×12, first 2 shown]
	s_waitcnt vmcnt(15)
	v_cvt_f32_f16_e32 v4, v7
	s_waitcnt vmcnt(14)
	v_cvt_f32_f16_e32 v7, v8
	;; [unrolled: 2-line block ×4, first 2 shown]
	s_waitcnt lgkmcnt(14)
	v_sub_f32_e32 v7, v7, v89
	s_waitcnt vmcnt(11)
	v_cvt_f32_f16_e32 v8, v11
	v_mul_f32_e32 v7, v7, v4
	s_waitcnt vmcnt(10)
	v_cvt_f32_f16_e32 v11, v12
	v_sub_f32_e32 v9, v9, v93
	s_waitcnt vmcnt(9)
	v_cvt_f32_f16_e32 v10, v13
	v_mul_f32_e32 v9, v9, v6
	s_waitcnt vmcnt(8)
	v_cvt_f32_f16_e32 v13, v14
	s_waitcnt lgkmcnt(11)
	v_sub_f32_e32 v11, v11, v95
	s_waitcnt vmcnt(7)
	v_cvt_f32_f16_e32 v12, v15
	v_mul_f32_e32 v11, v11, v8
	s_waitcnt vmcnt(6)
	v_cvt_f32_f16_e32 v15, v16
	s_waitcnt lgkmcnt(10)
	v_sub_f32_e32 v13, v13, v97
	s_waitcnt vmcnt(5)
	v_cvt_f32_f16_e32 v14, v17
	v_mul_f32_e32 v13, v13, v10
	s_waitcnt vmcnt(4)
	v_cvt_f32_f16_e32 v17, v18
	s_waitcnt lgkmcnt(9)
	v_sub_f32_e32 v15, v15, v99
	s_waitcnt vmcnt(3)
	v_cvt_f32_f16_e32 v16, v19
	v_mul_f32_e32 v15, v15, v12
	s_waitcnt vmcnt(2)
	v_cvt_f32_f16_e32 v19, v26
	s_waitcnt lgkmcnt(8)
	v_sub_f32_e32 v17, v17, v101
	s_waitcnt vmcnt(1)
	v_cvt_f32_f16_e32 v18, v27
	v_mul_f32_e32 v17, v17, v14
	s_waitcnt vmcnt(0)
	v_cvt_f32_f16_e32 v5, v5
	s_waitcnt lgkmcnt(7)
	v_sub_f32_e32 v19, v19, v103
	v_mul_f32_e32 v19, v19, v16
	v_sub_f32_e32 v5, v5, v104
	v_mul_f32_e32 v26, v5, v18
	v_mul_f32_e32 v5, v7, v88
	s_waitcnt lgkmcnt(6)
	v_mul_f32_e32 v7, v9, v92
	v_pk_add_f32 v[4:5], v[86:87], v[4:5]
	s_waitcnt lgkmcnt(5)
	v_mul_f32_e32 v9, v11, v94
	v_pk_add_f32 v[4:5], v[4:5], v[6:7]
	;; [unrolled: 3-line block ×7, first 2 shown]
	s_nop 0
	v_pk_add_f32 v[26:27], v[4:5], v[18:19]
.LBB78_54:                              ;   in Loop: Header=BB78_55 Depth=1
	s_add_u32 s20, s20, s3
	s_addc_u32 s21, s21, 0
	v_mov_b64_e32 v[4:5], s[8:9]
	s_add_u32 s22, s22, s3
	v_cmp_ge_i64_e32 vcc, s[20:21], v[4:5]
	v_lshl_add_u64 v[54:55], v[54:55], 0, s[6:7]
	v_lshl_add_u64 v[56:57], v[56:57], 0, s[6:7]
	s_addc_u32 s23, s23, 0
	v_lshl_add_u64 v[22:23], v[22:23], 0, s[6:7]
	v_lshl_add_u64 v[24:25], v[24:25], 0, s[6:7]
	;; [unrolled: 1-line block ×28, first 2 shown]
	s_cbranch_vccnz .LBB78_81
.LBB78_55:                              ; =>This Inner Loop Header: Depth=1
	v_mov_b64_e32 v[4:5], s[8:9]
	v_cmp_ge_i64_e32 vcc, s[22:23], v[4:5]
	v_mov_b32_e32 v86, v26
	v_mov_b32_e32 v87, v27
	v_lshl_add_u64 v[88:89], v[20:21], 0, s[22:23]
	s_mov_b64 s[38:39], -1
                                        ; implicit-def: $vgpr27
	s_cbranch_vccz .LBB78_77
; %bb.56:                               ;   in Loop: Header=BB78_55 Depth=1
	s_load_dword s33, s[4:5], 0xc
	v_mov_b32_e32 v26, 0
	v_mov_b32_e32 v27, 0
	s_waitcnt lgkmcnt(0)
	s_and_b32 s33, s33, 0xffff
	v_mad_u32_u24 v3, v90, s33, v1
	v_and_b32_e32 v4, 63, v3
	v_cmp_gt_u32_e32 vcc, 8, v4
	s_and_saveexec_b64 s[38:39], vcc
	s_cbranch_execz .LBB78_60
; %bb.57:                               ;   in Loop: Header=BB78_55 Depth=1
	v_mov_b32_e32 v5, v2
	v_lshl_add_u64 v[4:5], v[88:89], 0, v[4:5]
	v_lshl_add_u64 v[4:5], v[4:5], 0, s[12:13]
	v_cmp_gt_i64_e32 vcc, s[8:9], v[4:5]
	v_mov_b32_e32 v27, 0
	v_mov_b32_e32 v26, 0
	s_and_saveexec_b64 s[40:41], vcc
	s_cbranch_execz .LBB78_59
; %bb.58:                               ;   in Loop: Header=BB78_55 Depth=1
	v_lshlrev_b64 v[4:5], 2, v[4:5]
	v_lshl_add_u64 v[6:7], s[18:19], 0, v[4:5]
	v_lshl_add_u64 v[4:5], s[16:17], 0, v[4:5]
	global_load_dword v27, v[4:5], off
	global_load_dword v26, v[6:7], off
.LBB78_59:                              ;   in Loop: Header=BB78_55 Depth=1
	s_or_b64 exec, exec, s[40:41]
.LBB78_60:                              ;   in Loop: Header=BB78_55 Depth=1
	s_or_b64 exec, exec, s[38:39]
	v_lshl_add_u64 v[4:5], v[88:89], 0, s[12:13]
	v_mov_b32_e32 v8, v2
	v_mov_b32_e32 v9, v2
	v_cmp_gt_i64_e32 vcc, s[8:9], v[4:5]
	v_mov_b32_e32 v3, v2
	v_mov_b32_e32 v4, v2
	;; [unrolled: 1-line block ×5, first 2 shown]
	v_mov_b64_e32 v[18:19], v[8:9]
	v_mov_b64_e32 v[16:17], v[6:7]
	;; [unrolled: 1-line block ×8, first 2 shown]
	s_and_saveexec_b64 s[38:39], vcc
	s_cbranch_execz .LBB78_62
; %bb.61:                               ;   in Loop: Header=BB78_55 Depth=1
	v_lshl_add_u64 v[4:5], v[54:55], 0, v[52:53]
	global_load_ushort v3, v[4:5], off
	v_lshl_add_u64 v[4:5], v[56:57], 0, v[52:53]
	global_load_ushort v12, v[4:5], off
	v_mov_b32_e32 v5, v2
	v_mov_b32_e32 v6, v2
	;; [unrolled: 1-line block ×14, first 2 shown]
	s_waitcnt vmcnt(1)
	v_cvt_f32_f16_e32 v4, v3
	s_waitcnt vmcnt(0)
	v_cvt_f32_f16_e32 v12, v12
.LBB78_62:                              ;   in Loop: Header=BB78_55 Depth=1
	s_or_b64 exec, exec, s[38:39]
	v_lshl_add_u64 v[92:93], v[88:89], 0, s[14:15]
	v_cmp_gt_i64_e32 vcc, s[8:9], v[92:93]
	s_and_saveexec_b64 s[38:39], vcc
	s_cbranch_execz .LBB78_64
; %bb.63:                               ;   in Loop: Header=BB78_55 Depth=1
	v_lshl_add_u64 v[92:93], v[82:83], 0, v[52:53]
	global_load_ushort v3, v[92:93], off
	v_lshl_add_u64 v[92:93], v[84:85], 0, v[52:53]
	global_load_ushort v13, v[92:93], off
	s_waitcnt vmcnt(1)
	v_cvt_f32_f16_e32 v5, v3
	s_waitcnt vmcnt(0)
	v_cvt_f32_f16_e32 v13, v13
.LBB78_64:                              ;   in Loop: Header=BB78_55 Depth=1
	s_or_b64 exec, exec, s[38:39]
	v_lshl_add_u64 v[92:93], v[88:89], 0, s[24:25]
	v_cmp_gt_i64_e32 vcc, s[8:9], v[92:93]
	s_and_saveexec_b64 s[38:39], vcc
	s_cbranch_execz .LBB78_66
; %bb.65:                               ;   in Loop: Header=BB78_55 Depth=1
	v_lshl_add_u64 v[92:93], v[78:79], 0, v[52:53]
	global_load_ushort v3, v[92:93], off
	v_lshl_add_u64 v[92:93], v[80:81], 0, v[52:53]
	global_load_ushort v14, v[92:93], off
	s_waitcnt vmcnt(1)
	v_cvt_f32_f16_e32 v6, v3
	s_waitcnt vmcnt(0)
	v_cvt_f32_f16_e32 v14, v14
.LBB78_66:                              ;   in Loop: Header=BB78_55 Depth=1
	;; [unrolled: 15-line block ×7, first 2 shown]
	s_or_b64 exec, exec, s[38:39]
	s_waitcnt vmcnt(1)
	ds_bpermute_b32 v3, v91, v27
	s_waitcnt vmcnt(0)
	ds_bpermute_b32 v92, v91, v26
	ds_bpermute_b32 v95, v91, v27 offset:4
	ds_bpermute_b32 v94, v91, v26 offset:4
	;; [unrolled: 1-line block ×3, first 2 shown]
	s_waitcnt lgkmcnt(4)
	v_sub_f32_e32 v3, v12, v3
	v_mul_f32_e32 v3, v4, v3
	ds_bpermute_b32 v12, v91, v26 offset:8
	s_waitcnt lgkmcnt(4)
	v_mul_f32_e32 v93, v3, v92
	s_waitcnt lgkmcnt(3)
	v_sub_f32_e32 v3, v13, v95
	v_mul_f32_e32 v3, v5, v3
	s_waitcnt lgkmcnt(2)
	v_mul_f32_e32 v13, v3, v94
	s_waitcnt lgkmcnt(1)
	v_sub_f32_e32 v3, v14, v96
	ds_bpermute_b32 v14, v91, v27 offset:12
	v_mul_f32_e32 v3, v6, v3
	s_waitcnt lgkmcnt(1)
	v_mul_f32_e32 v95, v3, v12
	ds_bpermute_b32 v3, v91, v26 offset:12
	ds_bpermute_b32 v12, v91, v27 offset:16
	;; [unrolled: 1-line block ×3, first 2 shown]
	s_waitcnt lgkmcnt(3)
	v_sub_f32_e32 v14, v15, v14
	v_mul_f32_e32 v14, v7, v14
	s_waitcnt lgkmcnt(2)
	v_mul_f32_e32 v15, v14, v3
	s_waitcnt lgkmcnt(1)
	v_sub_f32_e32 v3, v16, v12
	ds_bpermute_b32 v12, v91, v27 offset:20
	v_mul_f32_e32 v3, v8, v3
	s_waitcnt lgkmcnt(1)
	v_mul_f32_e32 v97, v3, v92
	ds_bpermute_b32 v3, v91, v26 offset:20
	ds_bpermute_b32 v14, v91, v27 offset:24
	;; [unrolled: 1-line block ×3, first 2 shown]
	s_waitcnt lgkmcnt(3)
	v_sub_f32_e32 v12, v17, v12
	v_mul_f32_e32 v12, v9, v12
	s_waitcnt lgkmcnt(2)
	v_mul_f32_e32 v17, v12, v3
	s_waitcnt lgkmcnt(1)
	v_sub_f32_e32 v3, v18, v14
	v_mul_f32_e32 v3, v10, v3
	s_waitcnt lgkmcnt(0)
	v_mul_f32_e32 v99, v3, v16
	v_mov_b32_e32 v92, v4
	ds_bpermute_b32 v3, v91, v27 offset:28
	v_pk_add_f32 v[92:93], v[86:87], v[92:93]
	v_mov_b32_e32 v12, v5
	v_pk_add_f32 v[4:5], v[12:13], v[92:93]
	v_mov_b32_e32 v94, v6
	ds_bpermute_b32 v6, v91, v26 offset:28
	v_pk_add_f32 v[4:5], v[94:95], v[4:5]
	v_mov_b32_e32 v14, v7
	v_pk_add_f32 v[4:5], v[14:15], v[4:5]
	v_mov_b32_e32 v96, v8
	v_pk_add_f32 v[4:5], v[96:97], v[4:5]
	v_mov_b32_e32 v16, v9
	s_waitcnt lgkmcnt(1)
	v_sub_f32_e32 v3, v19, v3
	v_pk_add_f32 v[4:5], v[16:17], v[4:5]
	v_mov_b32_e32 v98, v10
	v_mul_f32_e32 v3, v11, v3
	v_pk_add_f32 v[4:5], v[98:99], v[4:5]
	s_waitcnt lgkmcnt(0)
	v_mul_f32_e32 v7, v3, v6
	v_mov_b32_e32 v6, v11
	v_pk_add_f32 v[26:27], v[6:7], v[4:5]
	s_mov_b64 s[38:39], 0
.LBB78_77:                              ;   in Loop: Header=BB78_55 Depth=1
	s_and_b64 vcc, exec, s[38:39]
	s_cbranch_vccz .LBB78_54
; %bb.78:                               ;   in Loop: Header=BB78_55 Depth=1
	s_load_dword s33, s[4:5], 0x0
	v_mov_b32_e32 v3, 0
	v_mov_b32_e32 v6, 0
	s_waitcnt lgkmcnt(0)
	s_cmp_lt_u32 s2, s33
	s_cselect_b32 s33, 12, 18
	s_add_u32 s38, s4, s33
	s_addc_u32 s39, s5, 0
	global_load_ushort v4, v2, s[38:39]
	s_waitcnt vmcnt(0)
	v_mad_u32_u24 v4, v90, v4, v1
	v_and_b32_e32 v4, 63, v4
	v_cmp_gt_u32_e32 vcc, 8, v4
	s_and_saveexec_b64 s[38:39], vcc
	s_cbranch_execz .LBB78_53
; %bb.79:                               ;   in Loop: Header=BB78_55 Depth=1
	v_mov_b32_e32 v5, v2
	v_lshl_add_u64 v[4:5], v[88:89], 0, v[4:5]
	v_lshl_add_u64 v[4:5], v[4:5], 0, s[12:13]
	v_cmp_gt_i64_e32 vcc, s[8:9], v[4:5]
	v_mov_b32_e32 v6, 0
	v_mov_b32_e32 v3, 0
	s_and_saveexec_b64 s[40:41], vcc
	s_cbranch_execz .LBB78_52
; %bb.80:                               ;   in Loop: Header=BB78_55 Depth=1
	v_lshlrev_b64 v[4:5], 2, v[4:5]
	v_lshl_add_u64 v[8:9], s[18:19], 0, v[4:5]
	v_lshl_add_u64 v[4:5], s[16:17], 0, v[4:5]
	global_load_dword v6, v[4:5], off
	global_load_dword v3, v[8:9], off
	s_branch .LBB78_52
.LBB78_81:
	v_and_b32_e32 v1, 0x3ff, v0
	v_bfe_u32 v2, v0, 10, 10
	s_movk_i32 s3, 0x41
	v_bfe_u32 v0, v0, 6, 4
	v_mad_u32_u24 v3, v2, s3, v1
	v_add_u32_e32 v0, v0, v2
	v_lshl_add_u32 v3, v3, 2, 0
	v_cmp_gt_u32_e32 vcc, 64, v0
	ds_write_b32 v3, v27
	ds_write_b32 v3, v26 offset:2080
	s_waitcnt lgkmcnt(0)
	s_barrier
	s_and_saveexec_b64 s[4:5], vcc
	s_cbranch_execz .LBB78_145
; %bb.82:
	s_load_dwordx4 s[12:15], s[0:1], 0x30
	v_and_b32_e32 v2, 63, v1
	v_cmp_lt_u32_e64 s[6:7], 7, v2
	v_cmp_gt_u32_e64 s[4:5], 8, v2
	v_mul_u32_u24_e32 v6, 0x41, v2
                                        ; implicit-def: $vgpr2
	s_and_saveexec_b64 s[0:1], s[4:5]
	s_cbranch_execz .LBB78_84
; %bb.83:
	v_add_u32_e32 v2, v0, v6
	v_lshl_add_u32 v2, v2, 2, 0
	ds_read_b32 v3, v2
	ds_read_b32 v2, v2 offset:2080
.LBB78_84:
	s_or_b64 exec, exec, s[0:1]
	v_mbcnt_lo_u32_b32 v4, -1, 0
	v_mbcnt_hi_u32_b32 v9, -1, v4
	v_and_b32_e32 v4, 64, v9
	v_add_u32_e32 v10, 64, v4
	v_cmp_eq_u32_e64 s[0:1], 0, v1
	v_xor_b32_e32 v1, 4, v9
	v_cmp_lt_i32_e32 vcc, v1, v10
	s_mov_b32 s3, 0
	s_lshl_b64 s[2:3], s[2:3], 6
	v_cndmask_b32_e32 v1, v9, v1, vcc
	v_lshlrev_b32_e32 v7, 2, v1
	s_waitcnt lgkmcnt(0)
	ds_bpermute_b32 v5, v7, v3
	ds_bpermute_b32 v4, v7, v2
	v_xor_b32_e32 v1, 2, v9
	v_cmp_lt_i32_e32 vcc, v1, v10
	s_cmp_lg_u64 s[12:13], 0
	s_cselect_b64 s[16:17], -1, 0
	v_cndmask_b32_e32 v1, v9, v1, vcc
	v_lshlrev_b32_e32 v8, 2, v1
	s_waitcnt lgkmcnt(0)
	v_pk_add_f32 v[2:3], v[2:3], v[4:5]
	ds_bpermute_b32 v5, v8, v3
	ds_bpermute_b32 v4, v8, v2
	v_xor_b32_e32 v1, 1, v9
	v_cmp_lt_i32_e32 vcc, v1, v10
	s_cmp_lg_u64 s[14:15], 0
	s_cselect_b64 s[8:9], -1, 0
	v_cndmask_b32_e32 v1, v9, v1, vcc
	v_lshlrev_b32_e32 v9, 2, v1
	s_waitcnt lgkmcnt(0)
	v_pk_add_f32 v[2:3], v[2:3], v[4:5]
	ds_bpermute_b32 v5, v9, v3
	ds_bpermute_b32 v4, v9, v2
	v_mov_b32_e32 v1, 0
	s_waitcnt lgkmcnt(0)
	v_pk_add_f32 v[2:3], v[2:3], v[4:5]
	v_or_b32_e32 v4, s2, v0
	v_mov_b32_e32 v5, s3
	v_cmp_gt_i64_e32 vcc, s[10:11], v[4:5]
	s_and_b64 s[20:21], s[0:1], vcc
	s_and_saveexec_b64 s[18:19], s[20:21]
	s_cbranch_execz .LBB78_89
; %bb.85:
	s_andn2_b64 vcc, exec, s[16:17]
	s_cbranch_vccnz .LBB78_87
; %bb.86:
	v_cvt_f16_f32_e32 v12, v3
	v_lshl_add_u64 v[10:11], v[4:5], 1, s[12:13]
	global_store_short v[10:11], v12, off
.LBB78_87:
	s_andn2_b64 vcc, exec, s[8:9]
	s_cbranch_vccnz .LBB78_89
; %bb.88:
	v_cvt_f16_f32_e32 v10, v2
	v_lshl_add_u64 v[4:5], v[4:5], 1, s[14:15]
	global_store_short v[4:5], v10, off
.LBB78_89:
	s_or_b64 exec, exec, s[18:19]
	v_cmp_gt_u32_e32 vcc, 56, v0
	s_and_b64 exec, exec, vcc
	s_cbranch_execz .LBB78_145
; %bb.90:
	s_and_saveexec_b64 s[18:19], s[6:7]
	s_xor_b64 s[18:19], exec, s[18:19]
	s_andn2_saveexec_b64 s[18:19], s[18:19]
	s_cbranch_execz .LBB78_92
; %bb.91:
	v_add_u32_e32 v2, v0, v6
	v_lshl_add_u32 v2, v2, 2, 0
	ds_read_b32 v3, v2 offset:32
	ds_read_b32 v2, v2 offset:2112
.LBB78_92:
	s_or_b64 exec, exec, s[18:19]
	s_waitcnt lgkmcnt(1)
	ds_bpermute_b32 v5, v7, v3
	s_waitcnt lgkmcnt(1)
	ds_bpermute_b32 v4, v7, v2
	v_add_u32_e32 v10, 8, v0
	v_mov_b32_e32 v11, 0
	v_lshl_add_u64 v[10:11], s[2:3], 0, v[10:11]
	v_cmp_gt_i64_e32 vcc, s[10:11], v[10:11]
	s_waitcnt lgkmcnt(0)
	v_pk_add_f32 v[2:3], v[2:3], v[4:5]
	ds_bpermute_b32 v5, v8, v3
	ds_bpermute_b32 v4, v8, v2
	s_and_b64 s[20:21], s[0:1], vcc
	s_waitcnt lgkmcnt(0)
	v_pk_add_f32 v[2:3], v[2:3], v[4:5]
	ds_bpermute_b32 v5, v9, v3
	ds_bpermute_b32 v4, v9, v2
	s_waitcnt lgkmcnt(0)
	v_pk_add_f32 v[2:3], v[2:3], v[4:5]
	s_and_saveexec_b64 s[18:19], s[20:21]
	s_cbranch_execz .LBB78_97
; %bb.93:
	s_andn2_b64 vcc, exec, s[16:17]
	s_cbranch_vccnz .LBB78_95
; %bb.94:
	v_cvt_f16_f32_e32 v10, v3
	v_lshl_add_u64 v[4:5], s[2:3], 0, v[0:1]
	v_lshl_add_u64 v[4:5], v[4:5], 1, s[12:13]
	global_store_short v[4:5], v10, off offset:16
.LBB78_95:
	s_andn2_b64 vcc, exec, s[8:9]
	s_cbranch_vccnz .LBB78_97
; %bb.96:
	v_cvt_f16_f32_e32 v10, v2
	v_lshl_add_u64 v[4:5], s[2:3], 0, v[0:1]
	v_lshl_add_u64 v[4:5], v[4:5], 1, s[14:15]
	global_store_short v[4:5], v10, off offset:16
.LBB78_97:
	s_or_b64 exec, exec, s[18:19]
	v_cmp_gt_u32_e32 vcc, 48, v0
	s_and_b64 exec, exec, vcc
	s_cbranch_execz .LBB78_145
; %bb.98:
	s_and_saveexec_b64 s[18:19], s[6:7]
	s_xor_b64 s[18:19], exec, s[18:19]
	s_andn2_saveexec_b64 s[18:19], s[18:19]
	s_cbranch_execz .LBB78_100
; %bb.99:
	v_add_u32_e32 v2, v0, v6
	v_lshl_add_u32 v2, v2, 2, 0
	ds_read_b32 v3, v2 offset:64
	ds_read_b32 v2, v2 offset:2144
.LBB78_100:
	s_or_b64 exec, exec, s[18:19]
	s_waitcnt lgkmcnt(1)
	ds_bpermute_b32 v5, v7, v3
	s_waitcnt lgkmcnt(1)
	ds_bpermute_b32 v4, v7, v2
	v_add_u32_e32 v10, 16, v0
	v_mov_b32_e32 v11, 0
	v_lshl_add_u64 v[10:11], s[2:3], 0, v[10:11]
	v_cmp_gt_i64_e32 vcc, s[10:11], v[10:11]
	s_waitcnt lgkmcnt(0)
	v_pk_add_f32 v[2:3], v[2:3], v[4:5]
	ds_bpermute_b32 v5, v8, v3
	ds_bpermute_b32 v4, v8, v2
	s_and_b64 s[20:21], s[0:1], vcc
	s_waitcnt lgkmcnt(0)
	v_pk_add_f32 v[2:3], v[2:3], v[4:5]
	ds_bpermute_b32 v5, v9, v3
	ds_bpermute_b32 v4, v9, v2
	s_waitcnt lgkmcnt(0)
	v_pk_add_f32 v[2:3], v[2:3], v[4:5]
	s_and_saveexec_b64 s[18:19], s[20:21]
	s_cbranch_execz .LBB78_105
; %bb.101:
	s_andn2_b64 vcc, exec, s[16:17]
	s_cbranch_vccnz .LBB78_103
; %bb.102:
	v_cvt_f16_f32_e32 v10, v3
	v_lshl_add_u64 v[4:5], s[2:3], 0, v[0:1]
	v_lshl_add_u64 v[4:5], v[4:5], 1, s[12:13]
	global_store_short v[4:5], v10, off offset:32
.LBB78_103:
	s_andn2_b64 vcc, exec, s[8:9]
	s_cbranch_vccnz .LBB78_105
; %bb.104:
	v_cvt_f16_f32_e32 v10, v2
	v_lshl_add_u64 v[4:5], s[2:3], 0, v[0:1]
	v_lshl_add_u64 v[4:5], v[4:5], 1, s[14:15]
	global_store_short v[4:5], v10, off offset:32
.LBB78_105:
	;; [unrolled: 54-line block ×3, first 2 shown]
	s_or_b64 exec, exec, s[18:19]
	v_cmp_gt_u32_e32 vcc, 32, v0
	s_and_b64 exec, exec, vcc
	s_cbranch_execz .LBB78_145
; %bb.114:
	s_and_saveexec_b64 s[18:19], s[6:7]
	s_xor_b64 s[18:19], exec, s[18:19]
	s_andn2_saveexec_b64 s[18:19], s[18:19]
	s_cbranch_execz .LBB78_116
; %bb.115:
	v_add_u32_e32 v2, v0, v6
	v_lshl_add_u32 v2, v2, 2, 0
	ds_read_b32 v3, v2 offset:128
	ds_read_b32 v2, v2 offset:2208
.LBB78_116:
	s_or_b64 exec, exec, s[18:19]
	s_waitcnt lgkmcnt(1)
	ds_bpermute_b32 v5, v7, v3
	s_waitcnt lgkmcnt(1)
	ds_bpermute_b32 v4, v7, v2
	v_add_u32_e32 v10, 32, v0
	v_mov_b32_e32 v11, s3
	v_or_b32_e32 v10, s2, v10
	v_cmp_gt_i64_e32 vcc, s[10:11], v[10:11]
	s_waitcnt lgkmcnt(0)
	v_pk_add_f32 v[2:3], v[2:3], v[4:5]
	ds_bpermute_b32 v5, v8, v3
	ds_bpermute_b32 v4, v8, v2
	s_and_b64 s[20:21], s[0:1], vcc
	s_waitcnt lgkmcnt(0)
	v_pk_add_f32 v[2:3], v[2:3], v[4:5]
	ds_bpermute_b32 v5, v9, v3
	ds_bpermute_b32 v4, v9, v2
	s_waitcnt lgkmcnt(0)
	v_pk_add_f32 v[2:3], v[2:3], v[4:5]
	s_and_saveexec_b64 s[18:19], s[20:21]
	s_cbranch_execz .LBB78_121
; %bb.117:
	s_andn2_b64 vcc, exec, s[16:17]
	s_cbranch_vccnz .LBB78_119
; %bb.118:
	v_cvt_f16_f32_e32 v10, v3
	v_lshl_add_u64 v[4:5], s[2:3], 0, v[0:1]
	v_lshl_add_u64 v[4:5], v[4:5], 1, s[12:13]
	global_store_short v[4:5], v10, off offset:64
.LBB78_119:
	s_andn2_b64 vcc, exec, s[8:9]
	s_cbranch_vccnz .LBB78_121
; %bb.120:
	v_cvt_f16_f32_e32 v10, v2
	v_lshl_add_u64 v[4:5], s[2:3], 0, v[0:1]
	v_lshl_add_u64 v[4:5], v[4:5], 1, s[14:15]
	global_store_short v[4:5], v10, off offset:64
.LBB78_121:
	s_or_b64 exec, exec, s[18:19]
	v_cmp_gt_u32_e32 vcc, 24, v0
	s_and_b64 exec, exec, vcc
	s_cbranch_execz .LBB78_145
; %bb.122:
	s_and_saveexec_b64 s[18:19], s[6:7]
	s_xor_b64 s[18:19], exec, s[18:19]
	s_andn2_saveexec_b64 s[18:19], s[18:19]
	s_cbranch_execz .LBB78_124
; %bb.123:
	v_add_u32_e32 v2, v0, v6
	v_lshl_add_u32 v2, v2, 2, 0
	ds_read_b32 v3, v2 offset:160
	ds_read_b32 v2, v2 offset:2240
.LBB78_124:
	s_or_b64 exec, exec, s[18:19]
	s_waitcnt lgkmcnt(1)
	ds_bpermute_b32 v5, v7, v3
	s_waitcnt lgkmcnt(1)
	ds_bpermute_b32 v4, v7, v2
	v_add_u32_e32 v10, 40, v0
	v_mov_b32_e32 v11, 0
	v_lshl_add_u64 v[10:11], s[2:3], 0, v[10:11]
	v_cmp_gt_i64_e32 vcc, s[10:11], v[10:11]
	s_waitcnt lgkmcnt(0)
	v_pk_add_f32 v[2:3], v[2:3], v[4:5]
	ds_bpermute_b32 v5, v8, v3
	ds_bpermute_b32 v4, v8, v2
	s_and_b64 s[20:21], s[0:1], vcc
	s_waitcnt lgkmcnt(0)
	v_pk_add_f32 v[2:3], v[2:3], v[4:5]
	ds_bpermute_b32 v5, v9, v3
	ds_bpermute_b32 v4, v9, v2
	s_waitcnt lgkmcnt(0)
	v_pk_add_f32 v[2:3], v[2:3], v[4:5]
	s_and_saveexec_b64 s[18:19], s[20:21]
	s_cbranch_execz .LBB78_129
; %bb.125:
	s_andn2_b64 vcc, exec, s[16:17]
	s_cbranch_vccnz .LBB78_127
; %bb.126:
	v_cvt_f16_f32_e32 v10, v3
	v_lshl_add_u64 v[4:5], s[2:3], 0, v[0:1]
	v_lshl_add_u64 v[4:5], v[4:5], 1, s[12:13]
	global_store_short v[4:5], v10, off offset:80
.LBB78_127:
	s_andn2_b64 vcc, exec, s[8:9]
	s_cbranch_vccnz .LBB78_129
; %bb.128:
	v_cvt_f16_f32_e32 v10, v2
	v_lshl_add_u64 v[4:5], s[2:3], 0, v[0:1]
	v_lshl_add_u64 v[4:5], v[4:5], 1, s[14:15]
	global_store_short v[4:5], v10, off offset:80
.LBB78_129:
	s_or_b64 exec, exec, s[18:19]
	v_cmp_gt_u32_e32 vcc, 16, v0
	s_and_b64 exec, exec, vcc
	s_cbranch_execz .LBB78_145
; %bb.130:
	s_and_saveexec_b64 s[18:19], s[6:7]
	s_xor_b64 s[6:7], exec, s[18:19]
	s_andn2_saveexec_b64 s[6:7], s[6:7]
	s_cbranch_execz .LBB78_132
; %bb.131:
	v_add_u32_e32 v2, v0, v6
	v_lshl_add_u32 v2, v2, 2, 0
	ds_read_b32 v3, v2 offset:192
	ds_read_b32 v2, v2 offset:2272
.LBB78_132:
	s_or_b64 exec, exec, s[6:7]
	s_waitcnt lgkmcnt(1)
	ds_bpermute_b32 v5, v7, v3
	s_waitcnt lgkmcnt(1)
	ds_bpermute_b32 v4, v7, v2
	v_add_u32_e32 v10, 48, v0
	v_mov_b32_e32 v11, s3
	v_or_b32_e32 v10, s2, v10
	v_cmp_gt_i64_e32 vcc, s[10:11], v[10:11]
	s_waitcnt lgkmcnt(0)
	v_pk_add_f32 v[2:3], v[2:3], v[4:5]
	ds_bpermute_b32 v5, v8, v3
	ds_bpermute_b32 v4, v8, v2
	s_and_b64 s[18:19], s[0:1], vcc
	s_waitcnt lgkmcnt(0)
	v_pk_add_f32 v[2:3], v[2:3], v[4:5]
	ds_bpermute_b32 v5, v9, v3
	ds_bpermute_b32 v4, v9, v2
	s_waitcnt lgkmcnt(0)
	v_pk_add_f32 v[2:3], v[2:3], v[4:5]
	s_and_saveexec_b64 s[6:7], s[18:19]
	s_cbranch_execz .LBB78_137
; %bb.133:
	s_andn2_b64 vcc, exec, s[16:17]
	s_cbranch_vccnz .LBB78_135
; %bb.134:
	v_cvt_f16_f32_e32 v10, v3
	v_lshl_add_u64 v[4:5], s[2:3], 0, v[0:1]
	v_lshl_add_u64 v[4:5], v[4:5], 1, s[12:13]
	global_store_short v[4:5], v10, off offset:96
.LBB78_135:
	s_andn2_b64 vcc, exec, s[8:9]
	s_cbranch_vccnz .LBB78_137
; %bb.136:
	v_cvt_f16_f32_e32 v10, v2
	v_lshl_add_u64 v[4:5], s[2:3], 0, v[0:1]
	v_lshl_add_u64 v[4:5], v[4:5], 1, s[14:15]
	global_store_short v[4:5], v10, off offset:96
.LBB78_137:
	s_or_b64 exec, exec, s[6:7]
	v_cmp_gt_u32_e32 vcc, 8, v0
	s_and_b64 exec, exec, vcc
	s_cbranch_execz .LBB78_145
; %bb.138:
	s_and_saveexec_b64 s[6:7], s[4:5]
	s_cbranch_execz .LBB78_140
; %bb.139:
	v_add_u32_e32 v2, v0, v6
	v_lshl_add_u32 v2, v2, 2, 0
	ds_read_b32 v3, v2 offset:224
	ds_read_b32 v2, v2 offset:2304
.LBB78_140:
	s_or_b64 exec, exec, s[6:7]
	s_waitcnt lgkmcnt(1)
	ds_bpermute_b32 v4, v7, v3
	s_waitcnt lgkmcnt(1)
	ds_bpermute_b32 v5, v7, v2
	v_add_u32_e32 v6, 56, v0
	v_or_b32_e32 v6, s2, v6
	v_mov_b32_e32 v7, s3
	s_waitcnt lgkmcnt(1)
	v_add_f32_e32 v3, v3, v4
	s_waitcnt lgkmcnt(0)
	v_add_f32_e32 v2, v2, v5
	ds_bpermute_b32 v4, v8, v3
	ds_bpermute_b32 v5, v8, v2
	v_cmp_gt_i64_e32 vcc, s[10:11], v[6:7]
	s_and_b64 s[0:1], s[0:1], vcc
	s_waitcnt lgkmcnt(1)
	v_add_f32_e32 v4, v3, v4
	s_waitcnt lgkmcnt(0)
	v_add_f32_e32 v2, v2, v5
	ds_bpermute_b32 v5, v9, v4
	ds_bpermute_b32 v3, v9, v2
	s_and_b64 exec, exec, s[0:1]
	s_cbranch_execz .LBB78_145
; %bb.141:
	s_andn2_b64 vcc, exec, s[16:17]
	v_lshl_add_u64 v[0:1], s[2:3], 0, v[0:1]
	s_cbranch_vccnz .LBB78_143
; %bb.142:
	s_waitcnt lgkmcnt(1)
	v_add_f32_e32 v4, v4, v5
	v_cvt_f16_f32_e32 v6, v4
	v_lshl_add_u64 v[4:5], v[0:1], 1, s[12:13]
	global_store_short v[4:5], v6, off offset:112
.LBB78_143:
	s_andn2_b64 vcc, exec, s[8:9]
	s_cbranch_vccnz .LBB78_145
; %bb.144:
	s_waitcnt lgkmcnt(0)
	v_add_f32_e32 v2, v2, v3
	v_cvt_f16_f32_e32 v2, v2
	v_lshl_add_u64 v[0:1], v[0:1], 1, s[14:15]
	global_store_short v[0:1], v2, off offset:112
.LBB78_145:
	s_endpgm
	.section	.rodata,"a",@progbits
	.p2align	6, 0x0
	.amdhsa_kernel _ZN2at6native12_GLOBAL__N_135GammaBetaBackwardCUDAKernelTemplateIN3c104HalfEfLj64ELj8ELj64ELb0ELb0ELb0EEEvllPKT_S7_PKT0_SA_PS5_SB_
		.amdhsa_group_segment_fixed_size 0
		.amdhsa_private_segment_fixed_size 0
		.amdhsa_kernarg_size 320
		.amdhsa_user_sgpr_count 2
		.amdhsa_user_sgpr_dispatch_ptr 0
		.amdhsa_user_sgpr_queue_ptr 0
		.amdhsa_user_sgpr_kernarg_segment_ptr 1
		.amdhsa_user_sgpr_dispatch_id 0
		.amdhsa_user_sgpr_kernarg_preload_length 0
		.amdhsa_user_sgpr_kernarg_preload_offset 0
		.amdhsa_user_sgpr_private_segment_size 0
		.amdhsa_uses_dynamic_stack 0
		.amdhsa_enable_private_segment 0
		.amdhsa_system_sgpr_workgroup_id_x 1
		.amdhsa_system_sgpr_workgroup_id_y 1
		.amdhsa_system_sgpr_workgroup_id_z 0
		.amdhsa_system_sgpr_workgroup_info 0
		.amdhsa_system_vgpr_workitem_id 1
		.amdhsa_next_free_vgpr 105
		.amdhsa_next_free_sgpr 52
		.amdhsa_accum_offset 108
		.amdhsa_reserve_vcc 1
		.amdhsa_float_round_mode_32 0
		.amdhsa_float_round_mode_16_64 0
		.amdhsa_float_denorm_mode_32 3
		.amdhsa_float_denorm_mode_16_64 3
		.amdhsa_dx10_clamp 1
		.amdhsa_ieee_mode 1
		.amdhsa_fp16_overflow 0
		.amdhsa_tg_split 0
		.amdhsa_exception_fp_ieee_invalid_op 0
		.amdhsa_exception_fp_denorm_src 0
		.amdhsa_exception_fp_ieee_div_zero 0
		.amdhsa_exception_fp_ieee_overflow 0
		.amdhsa_exception_fp_ieee_underflow 0
		.amdhsa_exception_fp_ieee_inexact 0
		.amdhsa_exception_int_div_zero 0
	.end_amdhsa_kernel
	.section	.text._ZN2at6native12_GLOBAL__N_135GammaBetaBackwardCUDAKernelTemplateIN3c104HalfEfLj64ELj8ELj64ELb0ELb0ELb0EEEvllPKT_S7_PKT0_SA_PS5_SB_,"axG",@progbits,_ZN2at6native12_GLOBAL__N_135GammaBetaBackwardCUDAKernelTemplateIN3c104HalfEfLj64ELj8ELj64ELb0ELb0ELb0EEEvllPKT_S7_PKT0_SA_PS5_SB_,comdat
.Lfunc_end78:
	.size	_ZN2at6native12_GLOBAL__N_135GammaBetaBackwardCUDAKernelTemplateIN3c104HalfEfLj64ELj8ELj64ELb0ELb0ELb0EEEvllPKT_S7_PKT0_SA_PS5_SB_, .Lfunc_end78-_ZN2at6native12_GLOBAL__N_135GammaBetaBackwardCUDAKernelTemplateIN3c104HalfEfLj64ELj8ELj64ELb0ELb0ELb0EEEvllPKT_S7_PKT0_SA_PS5_SB_
                                        ; -- End function
	.set _ZN2at6native12_GLOBAL__N_135GammaBetaBackwardCUDAKernelTemplateIN3c104HalfEfLj64ELj8ELj64ELb0ELb0ELb0EEEvllPKT_S7_PKT0_SA_PS5_SB_.num_vgpr, 105
	.set _ZN2at6native12_GLOBAL__N_135GammaBetaBackwardCUDAKernelTemplateIN3c104HalfEfLj64ELj8ELj64ELb0ELb0ELb0EEEvllPKT_S7_PKT0_SA_PS5_SB_.num_agpr, 0
	.set _ZN2at6native12_GLOBAL__N_135GammaBetaBackwardCUDAKernelTemplateIN3c104HalfEfLj64ELj8ELj64ELb0ELb0ELb0EEEvllPKT_S7_PKT0_SA_PS5_SB_.numbered_sgpr, 52
	.set _ZN2at6native12_GLOBAL__N_135GammaBetaBackwardCUDAKernelTemplateIN3c104HalfEfLj64ELj8ELj64ELb0ELb0ELb0EEEvllPKT_S7_PKT0_SA_PS5_SB_.num_named_barrier, 0
	.set _ZN2at6native12_GLOBAL__N_135GammaBetaBackwardCUDAKernelTemplateIN3c104HalfEfLj64ELj8ELj64ELb0ELb0ELb0EEEvllPKT_S7_PKT0_SA_PS5_SB_.private_seg_size, 0
	.set _ZN2at6native12_GLOBAL__N_135GammaBetaBackwardCUDAKernelTemplateIN3c104HalfEfLj64ELj8ELj64ELb0ELb0ELb0EEEvllPKT_S7_PKT0_SA_PS5_SB_.uses_vcc, 1
	.set _ZN2at6native12_GLOBAL__N_135GammaBetaBackwardCUDAKernelTemplateIN3c104HalfEfLj64ELj8ELj64ELb0ELb0ELb0EEEvllPKT_S7_PKT0_SA_PS5_SB_.uses_flat_scratch, 0
	.set _ZN2at6native12_GLOBAL__N_135GammaBetaBackwardCUDAKernelTemplateIN3c104HalfEfLj64ELj8ELj64ELb0ELb0ELb0EEEvllPKT_S7_PKT0_SA_PS5_SB_.has_dyn_sized_stack, 0
	.set _ZN2at6native12_GLOBAL__N_135GammaBetaBackwardCUDAKernelTemplateIN3c104HalfEfLj64ELj8ELj64ELb0ELb0ELb0EEEvllPKT_S7_PKT0_SA_PS5_SB_.has_recursion, 0
	.set _ZN2at6native12_GLOBAL__N_135GammaBetaBackwardCUDAKernelTemplateIN3c104HalfEfLj64ELj8ELj64ELb0ELb0ELb0EEEvllPKT_S7_PKT0_SA_PS5_SB_.has_indirect_call, 0
	.section	.AMDGPU.csdata,"",@progbits
; Kernel info:
; codeLenInByte = 9264
; TotalNumSgprs: 58
; NumVgprs: 105
; NumAgprs: 0
; TotalNumVgprs: 105
; ScratchSize: 0
; MemoryBound: 0
; FloatMode: 240
; IeeeMode: 1
; LDSByteSize: 0 bytes/workgroup (compile time only)
; SGPRBlocks: 7
; VGPRBlocks: 13
; NumSGPRsForWavesPerEU: 58
; NumVGPRsForWavesPerEU: 105
; AccumOffset: 108
; Occupancy: 4
; WaveLimiterHint : 0
; COMPUTE_PGM_RSRC2:SCRATCH_EN: 0
; COMPUTE_PGM_RSRC2:USER_SGPR: 2
; COMPUTE_PGM_RSRC2:TRAP_HANDLER: 0
; COMPUTE_PGM_RSRC2:TGID_X_EN: 1
; COMPUTE_PGM_RSRC2:TGID_Y_EN: 1
; COMPUTE_PGM_RSRC2:TGID_Z_EN: 0
; COMPUTE_PGM_RSRC2:TIDIG_COMP_CNT: 1
; COMPUTE_PGM_RSRC3_GFX90A:ACCUM_OFFSET: 26
; COMPUTE_PGM_RSRC3_GFX90A:TG_SPLIT: 0
	.section	.text._ZN2at6native12_GLOBAL__N_135GammaBetaBackwardCUDAKernelTemplateIN3c104HalfEfLj64ELj16ELj128ELb0ELb1ELb0EEEvllPKT_S7_PKT0_SA_PS5_SB_,"axG",@progbits,_ZN2at6native12_GLOBAL__N_135GammaBetaBackwardCUDAKernelTemplateIN3c104HalfEfLj64ELj16ELj128ELb0ELb1ELb0EEEvllPKT_S7_PKT0_SA_PS5_SB_,comdat
	.globl	_ZN2at6native12_GLOBAL__N_135GammaBetaBackwardCUDAKernelTemplateIN3c104HalfEfLj64ELj16ELj128ELb0ELb1ELb0EEEvllPKT_S7_PKT0_SA_PS5_SB_ ; -- Begin function _ZN2at6native12_GLOBAL__N_135GammaBetaBackwardCUDAKernelTemplateIN3c104HalfEfLj64ELj16ELj128ELb0ELb1ELb0EEEvllPKT_S7_PKT0_SA_PS5_SB_
	.p2align	8
	.type	_ZN2at6native12_GLOBAL__N_135GammaBetaBackwardCUDAKernelTemplateIN3c104HalfEfLj64ELj16ELj128ELb0ELb1ELb0EEEvllPKT_S7_PKT0_SA_PS5_SB_,@function
_ZN2at6native12_GLOBAL__N_135GammaBetaBackwardCUDAKernelTemplateIN3c104HalfEfLj64ELj16ELj128ELb0ELb1ELb0EEEvllPKT_S7_PKT0_SA_PS5_SB_: ; @_ZN2at6native12_GLOBAL__N_135GammaBetaBackwardCUDAKernelTemplateIN3c104HalfEfLj64ELj16ELj128ELb0ELb1ELb0EEEvllPKT_S7_PKT0_SA_PS5_SB_
; %bb.0:
	s_load_dwordx4 s[16:19], s[0:1], 0x0
	s_lshl_b32 s20, s3, 7
	s_mov_b32 s21, 0
	v_mov_b64_e32 v[2:3], s[20:21]
	v_bfe_u32 v12, v0, 10, 10
	s_waitcnt lgkmcnt(0)
	v_cmp_gt_i64_e32 vcc, s[16:17], v[2:3]
	s_cbranch_vccnz .LBB79_2
; %bb.1:
	s_mov_b64 s[4:5], 0
	v_bfe_u32 v2, v0, 10, 10
	s_branch .LBB79_3
.LBB79_2:
	s_mov_b64 s[4:5], -1
                                        ; implicit-def: $vgpr2
.LBB79_3:
	s_load_dwordx4 s[12:15], s[0:1], 0x30
	v_mov_b32_e32 v1, 0
	v_and_b32_e32 v10, 0x3ff, v0
	s_andn2_b64 vcc, exec, s[4:5]
	v_mbcnt_lo_u32_b32 v11, -1, 0
	v_mov_b32_e32 v0, v1
	s_cbranch_vccnz .LBB79_11
; %bb.4:
	s_load_dword s3, s[0:1], 0x4c
	s_load_dword s22, s[0:1], 0x44
	s_load_dwordx8 s[4:11], s[0:1], 0x10
	v_lshlrev_b32_e32 v0, 3, v12
	v_mbcnt_hi_u32_b32 v4, -1, v11
	s_waitcnt lgkmcnt(0)
	s_and_b32 s0, s3, 0xffff
	v_mad_u32_u24 v1, v12, s0, v10
	v_and_b32_e32 v2, 63, v1
	v_mov_b32_e32 v1, 0
	v_mov_b32_e32 v3, v1
	v_lshl_add_u64 v[8:9], v[0:1], 0, s[20:21]
	v_cmp_gt_u32_e64 s[0:1], 8, v2
	s_lshl_b32 s22, s22, 7
	v_lshl_add_u64 v[2:3], v[8:9], 0, v[2:3]
	v_mul_lo_u32 v0, s19, v8
	v_mul_lo_u32 v21, s18, v9
	v_mad_u64_u32 v[8:9], s[26:27], s18, v8, 0
	v_lshl_add_u32 v6, s2, 6, v10
	v_mov_b32_e32 v7, v1
	v_lshlrev_b32_e32 v4, 2, v4
	s_mul_i32 s3, s19, s22
	s_mul_hi_u32 s26, s18, s22
	s_mov_b32 s23, 0
	v_and_b32_e32 v13, 0x100, v4
	v_add3_u32 v9, v9, v21, v0
	v_lshlrev_b64 v[6:7], 1, v[6:7]
	s_add_i32 s27, s26, s3
	s_mul_i32 s26, s18, s22
	v_or_b32_e32 v14, 4, v13
	v_or_b32_e32 v15, 8, v13
	;; [unrolled: 1-line block ×7, first 2 shown]
	v_lshlrev_b64 v[4:5], 2, v[2:3]
	s_lshl_b64 s[24:25], s[22:23], 2
	v_lshl_add_u64 v[6:7], v[8:9], 1, v[6:7]
	s_lshl_b64 s[26:27], s[26:27], 1
	s_lshl_b64 s[18:19], s[18:19], 1
	v_mov_b64_e32 v[8:9], s[16:17]
	v_mov_b32_e32 v0, v1
	s_branch .LBB79_7
.LBB79_5:                               ;   in Loop: Header=BB79_7 Depth=1
	s_or_b64 exec, exec, s[30:31]
.LBB79_6:                               ;   in Loop: Header=BB79_7 Depth=1
	s_or_b64 exec, exec, s[28:29]
	v_lshl_add_u64 v[24:25], s[4:5], 0, v[6:7]
	global_load_ushort v23, v[24:25], off
	v_lshl_add_u64 v[26:27], s[6:7], 0, v[6:7]
	v_lshl_add_u64 v[24:25], v[24:25], 0, s[18:19]
	global_load_ushort v28, v[26:27], off
	global_load_ushort v29, v[24:25], off
	v_lshl_add_u64 v[26:27], v[26:27], 0, s[18:19]
	v_lshl_add_u64 v[24:25], v[24:25], 0, s[18:19]
	global_load_ushort v30, v[26:27], off
	;; [unrolled: 4-line block ×7, first 2 shown]
	global_load_ushort v41, v[24:25], off
	v_lshl_add_u64 v[24:25], v[26:27], 0, s[18:19]
	global_load_ushort v25, v[24:25], off
	s_waitcnt vmcnt(17)
	ds_bpermute_b32 v42, v13, v21
	s_waitcnt vmcnt(16)
	ds_bpermute_b32 v27, v13, v22
	ds_bpermute_b32 v43, v14, v22
	;; [unrolled: 1-line block ×15, first 2 shown]
	s_add_u32 s20, s20, s22
	s_addc_u32 s21, s21, 0
	v_cmp_lt_i64_e32 vcc, s[20:21], v[8:9]
	v_lshl_add_u64 v[4:5], v[4:5], 0, s[24:25]
	v_lshl_add_u64 v[2:3], v[2:3], 0, s[22:23]
	;; [unrolled: 1-line block ×3, first 2 shown]
	s_and_b64 vcc, exec, vcc
	s_waitcnt vmcnt(15)
	v_cvt_f32_f16_e32 v22, v23
	s_waitcnt vmcnt(14)
	v_cvt_f32_f16_e32 v23, v28
	;; [unrolled: 2-line block ×5, first 2 shown]
	s_waitcnt lgkmcnt(14)
	v_sub_f32_e32 v23, v23, v42
	v_mul_f32_e32 v23, v23, v22
	s_waitcnt vmcnt(10)
	v_cvt_f32_f16_e32 v31, v32
	s_waitcnt vmcnt(9)
	v_cvt_f32_f16_e32 v28, v33
	s_waitcnt lgkmcnt(12)
	v_sub_f32_e32 v29, v29, v44
	v_mul_f32_e32 v23, v23, v27
	s_waitcnt vmcnt(8)
	v_cvt_f32_f16_e32 v33, v34
	s_waitcnt vmcnt(7)
	v_cvt_f32_f16_e32 v30, v35
	v_mul_f32_e32 v27, v29, v24
	s_waitcnt lgkmcnt(5)
	v_sub_f32_e32 v29, v31, v46
	s_waitcnt vmcnt(6)
	v_cvt_f32_f16_e32 v35, v36
	s_waitcnt vmcnt(5)
	v_cvt_f32_f16_e32 v32, v37
	v_pk_add_f32 v[0:1], v[0:1], v[22:23]
	s_waitcnt vmcnt(4)
	v_cvt_f32_f16_e32 v37, v38
	s_waitcnt vmcnt(3)
	v_cvt_f32_f16_e32 v34, v39
	s_waitcnt lgkmcnt(3)
	v_sub_f32_e32 v23, v35, v50
	s_waitcnt vmcnt(2)
	v_cvt_f32_f16_e32 v38, v40
	s_waitcnt vmcnt(1)
	v_cvt_f32_f16_e32 v36, v41
	s_waitcnt vmcnt(0)
	v_cvt_f32_f16_e32 v39, v25
	v_mul_f32_e32 v25, v27, v43
	v_mul_f32_e32 v27, v29, v26
	v_sub_f32_e32 v29, v33, v48
	v_mul_f32_e32 v27, v27, v45
	v_mul_f32_e32 v22, v29, v28
	v_pk_add_f32 v[0:1], v[0:1], v[24:25]
	v_mul_f32_e32 v29, v22, v47
	v_mul_f32_e32 v22, v23, v30
	s_waitcnt lgkmcnt(2)
	v_sub_f32_e32 v23, v37, v52
	v_pk_add_f32 v[0:1], v[0:1], v[26:27]
	v_mul_f32_e32 v31, v22, v49
	v_mul_f32_e32 v22, v23, v32
	s_waitcnt lgkmcnt(1)
	v_sub_f32_e32 v23, v38, v54
	v_pk_add_f32 v[0:1], v[0:1], v[28:29]
	v_mul_f32_e32 v33, v22, v51
	v_mul_f32_e32 v22, v23, v34
	v_pk_add_f32 v[0:1], v[0:1], v[30:31]
	s_waitcnt lgkmcnt(0)
	v_sub_f32_e32 v21, v39, v21
	v_mul_f32_e32 v35, v22, v53
	v_pk_add_f32 v[0:1], v[0:1], v[32:33]
	v_mul_f32_e32 v21, v21, v36
	v_pk_add_f32 v[0:1], v[0:1], v[34:35]
	v_mul_f32_e32 v37, v21, v55
	v_pk_add_f32 v[0:1], v[0:1], v[36:37]
	s_cbranch_vccz .LBB79_10
.LBB79_7:                               ; =>This Inner Loop Header: Depth=1
	v_mov_b32_e32 v22, 0
	v_mov_b32_e32 v21, 0
	s_and_saveexec_b64 s[28:29], s[0:1]
	s_cbranch_execz .LBB79_6
; %bb.8:                                ;   in Loop: Header=BB79_7 Depth=1
	v_cmp_gt_i64_e32 vcc, s[16:17], v[2:3]
	v_mov_b32_e32 v21, 0
	v_mov_b32_e32 v22, 0
	s_and_saveexec_b64 s[30:31], vcc
	s_cbranch_execz .LBB79_5
; %bb.9:                                ;   in Loop: Header=BB79_7 Depth=1
	v_lshl_add_u64 v[26:27], s[8:9], 0, v[4:5]
	v_lshl_add_u64 v[24:25], s[10:11], 0, v[4:5]
	global_load_dword v21, v[26:27], off
	global_load_dword v22, v[24:25], off
	s_branch .LBB79_5
.LBB79_10:
	v_mov_b32_e32 v2, v12
.LBB79_11:
	s_movk_i32 s0, 0x41
	v_mad_u32_u24 v3, v2, s0, v10
	v_lshl_add_u32 v3, v3, 2, 0
	ds_write_b32 v3, v1
	ds_write_b32 v3, v0 offset:4160
	v_lshrrev_b32_e32 v0, 6, v10
	v_add_u32_e32 v0, v0, v2
	v_cmp_gt_u32_e32 vcc, 64, v0
	s_waitcnt lgkmcnt(0)
	s_barrier
	s_and_saveexec_b64 s[0:1], vcc
	s_cbranch_execz .LBB79_43
; %bb.12:
	v_and_b32_e32 v1, 63, v10
	v_cmp_lt_u32_e64 s[4:5], 15, v1
	v_cmp_gt_u32_e64 s[0:1], 16, v1
	v_mul_u32_u24_e32 v6, 0x41, v1
                                        ; implicit-def: $vgpr2
	s_and_saveexec_b64 s[6:7], s[0:1]
	s_cbranch_execz .LBB79_14
; %bb.13:
	v_add_u32_e32 v1, v0, v6
	v_lshl_add_u32 v1, v1, 2, 0
	ds_read_b32 v3, v1
	ds_read_b32 v2, v1 offset:4160
.LBB79_14:
	s_or_b64 exec, exec, s[6:7]
	v_mbcnt_hi_u32_b32 v1, -1, v11
	v_and_b32_e32 v4, 64, v1
	v_add_u32_e32 v11, 64, v4
	v_xor_b32_e32 v4, 8, v1
	v_cmp_lt_i32_e32 vcc, v4, v11
	v_xor_b32_e32 v8, 4, v1
	v_xor_b32_e32 v9, 2, v1
	v_cndmask_b32_e32 v4, v1, v4, vcc
	v_lshlrev_b32_e32 v7, 2, v4
	s_waitcnt lgkmcnt(1)
	ds_bpermute_b32 v5, v7, v3
	s_waitcnt lgkmcnt(1)
	ds_bpermute_b32 v4, v7, v2
	v_cmp_lt_i32_e32 vcc, v8, v11
	s_mov_b32 s3, 0
	s_lshl_b64 s[6:7], s[2:3], 6
	v_cndmask_b32_e32 v8, v1, v8, vcc
	v_lshlrev_b32_e32 v8, 2, v8
	s_waitcnt lgkmcnt(0)
	v_pk_add_f32 v[2:3], v[2:3], v[4:5]
	ds_bpermute_b32 v5, v8, v3
	ds_bpermute_b32 v4, v8, v2
	v_cmp_lt_i32_e32 vcc, v9, v11
	v_cmp_eq_u32_e64 s[2:3], 0, v10
	s_cmp_lg_u64 s[12:13], 0
	v_cndmask_b32_e32 v9, v1, v9, vcc
	v_lshlrev_b32_e32 v9, 2, v9
	s_waitcnt lgkmcnt(0)
	v_pk_add_f32 v[2:3], v[2:3], v[4:5]
	ds_bpermute_b32 v5, v9, v3
	ds_bpermute_b32 v4, v9, v2
	s_cselect_b64 s[10:11], -1, 0
	s_cmp_lg_u64 s[14:15], 0
	s_cselect_b64 s[8:9], -1, 0
	s_waitcnt lgkmcnt(0)
	v_pk_add_f32 v[2:3], v[2:3], v[4:5]
	v_xor_b32_e32 v4, 1, v1
	v_cmp_lt_i32_e32 vcc, v4, v11
	s_nop 1
	v_cndmask_b32_e32 v1, v1, v4, vcc
	v_lshlrev_b32_e32 v10, 2, v1
	ds_bpermute_b32 v5, v10, v3
	ds_bpermute_b32 v4, v10, v2
	v_mov_b32_e32 v1, 0
	s_waitcnt lgkmcnt(0)
	v_pk_add_f32 v[2:3], v[2:3], v[4:5]
	s_and_saveexec_b64 s[16:17], s[2:3]
	s_cbranch_execz .LBB79_19
; %bb.15:
	v_mov_b32_e32 v5, s7
	s_andn2_b64 vcc, exec, s[10:11]
	v_or_b32_e32 v4, s6, v0
	s_cbranch_vccnz .LBB79_17
; %bb.16:
	v_cvt_f16_f32_e32 v11, v3
	v_lshl_add_u64 v[12:13], v[4:5], 1, s[12:13]
	global_store_short v[12:13], v11, off
.LBB79_17:
	s_andn2_b64 vcc, exec, s[8:9]
	s_cbranch_vccnz .LBB79_19
; %bb.18:
	v_cvt_f16_f32_e32 v11, v2
	v_lshl_add_u64 v[4:5], v[4:5], 1, s[14:15]
	global_store_short v[4:5], v11, off
.LBB79_19:
	s_or_b64 exec, exec, s[16:17]
	v_cmp_gt_u32_e32 vcc, 48, v0
	s_and_b64 exec, exec, vcc
	s_cbranch_execz .LBB79_43
; %bb.20:
	s_and_saveexec_b64 s[16:17], s[4:5]
	s_xor_b64 s[16:17], exec, s[16:17]
	s_andn2_saveexec_b64 s[16:17], s[16:17]
	s_cbranch_execz .LBB79_22
; %bb.21:
	v_add_u32_e32 v2, v0, v6
	v_lshl_add_u32 v2, v2, 2, 0
	ds_read_b32 v3, v2 offset:64
	ds_read_b32 v2, v2 offset:4224
.LBB79_22:
	s_or_b64 exec, exec, s[16:17]
	s_waitcnt lgkmcnt(1)
	ds_bpermute_b32 v5, v7, v3
	s_waitcnt lgkmcnt(1)
	ds_bpermute_b32 v4, v7, v2
	s_waitcnt lgkmcnt(0)
	v_pk_add_f32 v[2:3], v[2:3], v[4:5]
	ds_bpermute_b32 v5, v8, v3
	ds_bpermute_b32 v4, v8, v2
	s_waitcnt lgkmcnt(0)
	v_pk_add_f32 v[2:3], v[2:3], v[4:5]
	ds_bpermute_b32 v5, v9, v3
	;; [unrolled: 4-line block ×3, first 2 shown]
	ds_bpermute_b32 v4, v10, v2
	s_waitcnt lgkmcnt(0)
	v_pk_add_f32 v[2:3], v[2:3], v[4:5]
	s_and_saveexec_b64 s[16:17], s[2:3]
	s_cbranch_execz .LBB79_27
; %bb.23:
	s_andn2_b64 vcc, exec, s[10:11]
	s_cbranch_vccnz .LBB79_25
; %bb.24:
	v_cvt_f16_f32_e32 v11, v3
	v_lshl_add_u64 v[4:5], s[6:7], 0, v[0:1]
	v_lshl_add_u64 v[4:5], v[4:5], 1, s[12:13]
	global_store_short v[4:5], v11, off offset:32
.LBB79_25:
	s_andn2_b64 vcc, exec, s[8:9]
	s_cbranch_vccnz .LBB79_27
; %bb.26:
	v_cvt_f16_f32_e32 v11, v2
	v_lshl_add_u64 v[4:5], s[6:7], 0, v[0:1]
	v_lshl_add_u64 v[4:5], v[4:5], 1, s[14:15]
	global_store_short v[4:5], v11, off offset:32
.LBB79_27:
	s_or_b64 exec, exec, s[16:17]
	v_cmp_gt_u32_e32 vcc, 32, v0
	s_and_b64 exec, exec, vcc
	s_cbranch_execz .LBB79_43
; %bb.28:
	s_and_saveexec_b64 s[16:17], s[4:5]
	s_xor_b64 s[4:5], exec, s[16:17]
	s_andn2_saveexec_b64 s[4:5], s[4:5]
	s_cbranch_execz .LBB79_30
; %bb.29:
	v_add_u32_e32 v2, v0, v6
	v_lshl_add_u32 v2, v2, 2, 0
	ds_read_b32 v3, v2 offset:128
	ds_read_b32 v2, v2 offset:4288
.LBB79_30:
	s_or_b64 exec, exec, s[4:5]
	s_waitcnt lgkmcnt(1)
	ds_bpermute_b32 v5, v7, v3
	s_waitcnt lgkmcnt(1)
	ds_bpermute_b32 v4, v7, v2
	s_waitcnt lgkmcnt(0)
	v_pk_add_f32 v[2:3], v[2:3], v[4:5]
	ds_bpermute_b32 v5, v8, v3
	ds_bpermute_b32 v4, v8, v2
	s_waitcnt lgkmcnt(0)
	v_pk_add_f32 v[2:3], v[2:3], v[4:5]
	ds_bpermute_b32 v5, v9, v3
	;; [unrolled: 4-line block ×3, first 2 shown]
	ds_bpermute_b32 v4, v10, v2
	s_waitcnt lgkmcnt(0)
	v_pk_add_f32 v[2:3], v[2:3], v[4:5]
	s_and_saveexec_b64 s[4:5], s[2:3]
	s_cbranch_execz .LBB79_35
; %bb.31:
	s_andn2_b64 vcc, exec, s[10:11]
	s_cbranch_vccnz .LBB79_33
; %bb.32:
	v_cvt_f16_f32_e32 v11, v3
	v_lshl_add_u64 v[4:5], s[6:7], 0, v[0:1]
	v_lshl_add_u64 v[4:5], v[4:5], 1, s[12:13]
	global_store_short v[4:5], v11, off offset:64
.LBB79_33:
	s_andn2_b64 vcc, exec, s[8:9]
	s_cbranch_vccnz .LBB79_35
; %bb.34:
	v_cvt_f16_f32_e32 v11, v2
	v_lshl_add_u64 v[4:5], s[6:7], 0, v[0:1]
	v_lshl_add_u64 v[4:5], v[4:5], 1, s[14:15]
	global_store_short v[4:5], v11, off offset:64
.LBB79_35:
	s_or_b64 exec, exec, s[4:5]
	v_cmp_gt_u32_e32 vcc, 16, v0
	s_and_b64 exec, exec, vcc
	s_cbranch_execz .LBB79_43
; %bb.36:
	s_and_saveexec_b64 s[4:5], s[0:1]
	s_cbranch_execz .LBB79_38
; %bb.37:
	v_add_u32_e32 v2, v0, v6
	v_lshl_add_u32 v2, v2, 2, 0
	ds_read_b32 v3, v2 offset:192
	ds_read_b32 v2, v2 offset:4352
.LBB79_38:
	s_or_b64 exec, exec, s[4:5]
	s_waitcnt lgkmcnt(1)
	ds_bpermute_b32 v4, v7, v3
	s_waitcnt lgkmcnt(1)
	ds_bpermute_b32 v5, v7, v2
	s_waitcnt lgkmcnt(1)
	v_add_f32_e32 v3, v3, v4
	s_waitcnt lgkmcnt(0)
	v_add_f32_e32 v2, v2, v5
	ds_bpermute_b32 v4, v8, v3
	ds_bpermute_b32 v5, v8, v2
	s_waitcnt lgkmcnt(1)
	v_add_f32_e32 v3, v3, v4
	s_waitcnt lgkmcnt(0)
	v_add_f32_e32 v2, v2, v5
	ds_bpermute_b32 v4, v9, v3
	;; [unrolled: 6-line block ×3, first 2 shown]
	ds_bpermute_b32 v3, v10, v2
	s_and_b64 exec, exec, s[2:3]
	s_cbranch_execz .LBB79_43
; %bb.39:
	s_andn2_b64 vcc, exec, s[10:11]
	v_lshl_add_u64 v[0:1], s[6:7], 0, v[0:1]
	s_cbranch_vccnz .LBB79_41
; %bb.40:
	s_waitcnt lgkmcnt(1)
	v_add_f32_e32 v4, v4, v5
	v_cvt_f16_f32_e32 v6, v4
	v_lshl_add_u64 v[4:5], v[0:1], 1, s[12:13]
	global_store_short v[4:5], v6, off offset:96
.LBB79_41:
	s_andn2_b64 vcc, exec, s[8:9]
	s_cbranch_vccnz .LBB79_43
; %bb.42:
	s_waitcnt lgkmcnt(0)
	v_add_f32_e32 v2, v2, v3
	v_cvt_f16_f32_e32 v2, v2
	v_lshl_add_u64 v[0:1], v[0:1], 1, s[14:15]
	global_store_short v[0:1], v2, off offset:96
.LBB79_43:
	s_endpgm
	.section	.rodata,"a",@progbits
	.p2align	6, 0x0
	.amdhsa_kernel _ZN2at6native12_GLOBAL__N_135GammaBetaBackwardCUDAKernelTemplateIN3c104HalfEfLj64ELj16ELj128ELb0ELb1ELb0EEEvllPKT_S7_PKT0_SA_PS5_SB_
		.amdhsa_group_segment_fixed_size 0
		.amdhsa_private_segment_fixed_size 0
		.amdhsa_kernarg_size 320
		.amdhsa_user_sgpr_count 2
		.amdhsa_user_sgpr_dispatch_ptr 0
		.amdhsa_user_sgpr_queue_ptr 0
		.amdhsa_user_sgpr_kernarg_segment_ptr 1
		.amdhsa_user_sgpr_dispatch_id 0
		.amdhsa_user_sgpr_kernarg_preload_length 0
		.amdhsa_user_sgpr_kernarg_preload_offset 0
		.amdhsa_user_sgpr_private_segment_size 0
		.amdhsa_uses_dynamic_stack 0
		.amdhsa_enable_private_segment 0
		.amdhsa_system_sgpr_workgroup_id_x 1
		.amdhsa_system_sgpr_workgroup_id_y 1
		.amdhsa_system_sgpr_workgroup_id_z 0
		.amdhsa_system_sgpr_workgroup_info 0
		.amdhsa_system_vgpr_workitem_id 1
		.amdhsa_next_free_vgpr 56
		.amdhsa_next_free_sgpr 32
		.amdhsa_accum_offset 56
		.amdhsa_reserve_vcc 1
		.amdhsa_float_round_mode_32 0
		.amdhsa_float_round_mode_16_64 0
		.amdhsa_float_denorm_mode_32 3
		.amdhsa_float_denorm_mode_16_64 3
		.amdhsa_dx10_clamp 1
		.amdhsa_ieee_mode 1
		.amdhsa_fp16_overflow 0
		.amdhsa_tg_split 0
		.amdhsa_exception_fp_ieee_invalid_op 0
		.amdhsa_exception_fp_denorm_src 0
		.amdhsa_exception_fp_ieee_div_zero 0
		.amdhsa_exception_fp_ieee_overflow 0
		.amdhsa_exception_fp_ieee_underflow 0
		.amdhsa_exception_fp_ieee_inexact 0
		.amdhsa_exception_int_div_zero 0
	.end_amdhsa_kernel
	.section	.text._ZN2at6native12_GLOBAL__N_135GammaBetaBackwardCUDAKernelTemplateIN3c104HalfEfLj64ELj16ELj128ELb0ELb1ELb0EEEvllPKT_S7_PKT0_SA_PS5_SB_,"axG",@progbits,_ZN2at6native12_GLOBAL__N_135GammaBetaBackwardCUDAKernelTemplateIN3c104HalfEfLj64ELj16ELj128ELb0ELb1ELb0EEEvllPKT_S7_PKT0_SA_PS5_SB_,comdat
.Lfunc_end79:
	.size	_ZN2at6native12_GLOBAL__N_135GammaBetaBackwardCUDAKernelTemplateIN3c104HalfEfLj64ELj16ELj128ELb0ELb1ELb0EEEvllPKT_S7_PKT0_SA_PS5_SB_, .Lfunc_end79-_ZN2at6native12_GLOBAL__N_135GammaBetaBackwardCUDAKernelTemplateIN3c104HalfEfLj64ELj16ELj128ELb0ELb1ELb0EEEvllPKT_S7_PKT0_SA_PS5_SB_
                                        ; -- End function
	.set _ZN2at6native12_GLOBAL__N_135GammaBetaBackwardCUDAKernelTemplateIN3c104HalfEfLj64ELj16ELj128ELb0ELb1ELb0EEEvllPKT_S7_PKT0_SA_PS5_SB_.num_vgpr, 56
	.set _ZN2at6native12_GLOBAL__N_135GammaBetaBackwardCUDAKernelTemplateIN3c104HalfEfLj64ELj16ELj128ELb0ELb1ELb0EEEvllPKT_S7_PKT0_SA_PS5_SB_.num_agpr, 0
	.set _ZN2at6native12_GLOBAL__N_135GammaBetaBackwardCUDAKernelTemplateIN3c104HalfEfLj64ELj16ELj128ELb0ELb1ELb0EEEvllPKT_S7_PKT0_SA_PS5_SB_.numbered_sgpr, 32
	.set _ZN2at6native12_GLOBAL__N_135GammaBetaBackwardCUDAKernelTemplateIN3c104HalfEfLj64ELj16ELj128ELb0ELb1ELb0EEEvllPKT_S7_PKT0_SA_PS5_SB_.num_named_barrier, 0
	.set _ZN2at6native12_GLOBAL__N_135GammaBetaBackwardCUDAKernelTemplateIN3c104HalfEfLj64ELj16ELj128ELb0ELb1ELb0EEEvllPKT_S7_PKT0_SA_PS5_SB_.private_seg_size, 0
	.set _ZN2at6native12_GLOBAL__N_135GammaBetaBackwardCUDAKernelTemplateIN3c104HalfEfLj64ELj16ELj128ELb0ELb1ELb0EEEvllPKT_S7_PKT0_SA_PS5_SB_.uses_vcc, 1
	.set _ZN2at6native12_GLOBAL__N_135GammaBetaBackwardCUDAKernelTemplateIN3c104HalfEfLj64ELj16ELj128ELb0ELb1ELb0EEEvllPKT_S7_PKT0_SA_PS5_SB_.uses_flat_scratch, 0
	.set _ZN2at6native12_GLOBAL__N_135GammaBetaBackwardCUDAKernelTemplateIN3c104HalfEfLj64ELj16ELj128ELb0ELb1ELb0EEEvllPKT_S7_PKT0_SA_PS5_SB_.has_dyn_sized_stack, 0
	.set _ZN2at6native12_GLOBAL__N_135GammaBetaBackwardCUDAKernelTemplateIN3c104HalfEfLj64ELj16ELj128ELb0ELb1ELb0EEEvllPKT_S7_PKT0_SA_PS5_SB_.has_recursion, 0
	.set _ZN2at6native12_GLOBAL__N_135GammaBetaBackwardCUDAKernelTemplateIN3c104HalfEfLj64ELj16ELj128ELb0ELb1ELb0EEEvllPKT_S7_PKT0_SA_PS5_SB_.has_indirect_call, 0
	.section	.AMDGPU.csdata,"",@progbits
; Kernel info:
; codeLenInByte = 2424
; TotalNumSgprs: 38
; NumVgprs: 56
; NumAgprs: 0
; TotalNumVgprs: 56
; ScratchSize: 0
; MemoryBound: 0
; FloatMode: 240
; IeeeMode: 1
; LDSByteSize: 0 bytes/workgroup (compile time only)
; SGPRBlocks: 4
; VGPRBlocks: 6
; NumSGPRsForWavesPerEU: 38
; NumVGPRsForWavesPerEU: 56
; AccumOffset: 56
; Occupancy: 8
; WaveLimiterHint : 0
; COMPUTE_PGM_RSRC2:SCRATCH_EN: 0
; COMPUTE_PGM_RSRC2:USER_SGPR: 2
; COMPUTE_PGM_RSRC2:TRAP_HANDLER: 0
; COMPUTE_PGM_RSRC2:TGID_X_EN: 1
; COMPUTE_PGM_RSRC2:TGID_Y_EN: 1
; COMPUTE_PGM_RSRC2:TGID_Z_EN: 0
; COMPUTE_PGM_RSRC2:TIDIG_COMP_CNT: 1
; COMPUTE_PGM_RSRC3_GFX90A:ACCUM_OFFSET: 13
; COMPUTE_PGM_RSRC3_GFX90A:TG_SPLIT: 0
	.section	.text._ZN2at6native12_GLOBAL__N_135GammaBetaBackwardCUDAKernelTemplateIN3c104HalfEfLj64ELj16ELj128ELb0ELb0ELb0EEEvllPKT_S7_PKT0_SA_PS5_SB_,"axG",@progbits,_ZN2at6native12_GLOBAL__N_135GammaBetaBackwardCUDAKernelTemplateIN3c104HalfEfLj64ELj16ELj128ELb0ELb0ELb0EEEvllPKT_S7_PKT0_SA_PS5_SB_,comdat
	.globl	_ZN2at6native12_GLOBAL__N_135GammaBetaBackwardCUDAKernelTemplateIN3c104HalfEfLj64ELj16ELj128ELb0ELb0ELb0EEEvllPKT_S7_PKT0_SA_PS5_SB_ ; -- Begin function _ZN2at6native12_GLOBAL__N_135GammaBetaBackwardCUDAKernelTemplateIN3c104HalfEfLj64ELj16ELj128ELb0ELb0ELb0EEEvllPKT_S7_PKT0_SA_PS5_SB_
	.p2align	8
	.type	_ZN2at6native12_GLOBAL__N_135GammaBetaBackwardCUDAKernelTemplateIN3c104HalfEfLj64ELj16ELj128ELb0ELb0ELb0EEEvllPKT_S7_PKT0_SA_PS5_SB_,@function
_ZN2at6native12_GLOBAL__N_135GammaBetaBackwardCUDAKernelTemplateIN3c104HalfEfLj64ELj16ELj128ELb0ELb0ELb0EEEvllPKT_S7_PKT0_SA_PS5_SB_: ; @_ZN2at6native12_GLOBAL__N_135GammaBetaBackwardCUDAKernelTemplateIN3c104HalfEfLj64ELj16ELj128ELb0ELb0ELb0EEEvllPKT_S7_PKT0_SA_PS5_SB_
; %bb.0:
	s_load_dwordx8 s[8:15], s[0:1], 0x0
	s_load_dwordx4 s[16:19], s[0:1], 0x20
	s_lshl_b32 s33, s2, 6
	s_mov_b32 s21, 0
	s_lshl_b32 s20, s3, 7
	s_or_b32 s4, s33, 63
	v_mov_b64_e32 v[2:3], s[20:21]
	v_mov_b32_e32 v26, s4
	v_mov_b32_e32 v27, 0
	s_waitcnt lgkmcnt(0)
	v_cmp_gt_i64_e64 s[4:5], s[8:9], v[2:3]
	v_cmp_le_i64_e32 vcc, s[10:11], v[26:27]
	s_nop 0
	v_cndmask_b32_e64 v1, 0, 1, s[4:5]
	v_cmp_ne_u32_e64 s[4:5], 1, v1
	s_cbranch_vccz .LBB80_48
; %bb.1:
	s_and_b64 vcc, exec, s[4:5]
	v_mov_b32_e32 v26, 0
	s_cbranch_vccnz .LBB80_49
; %bb.2:
	v_and_b32_e32 v1, 0x3ff, v0
	v_mov_b32_e32 v2, 0
	v_bfe_u32 v62, v0, 10, 10
	v_add_u32_e32 v4, s33, v1
	v_mov_b32_e32 v5, v2
	v_lshlrev_b32_e32 v20, 3, v62
	v_mov_b32_e32 v21, v2
	v_cmp_gt_i64_e64 s[6:7], s[10:11], v[4:5]
	v_lshlrev_b64 v[22:23], 1, v[4:5]
	v_lshl_add_u64 v[4:5], v[20:21], 0, s[20:21]
	v_mul_lo_u32 v3, s11, v4
	v_mul_lo_u32 v8, s10, v5
	v_mad_u64_u32 v[6:7], s[24:25], s10, v4, 0
	v_add3_u32 v7, v7, v8, v3
	v_lshlrev_b64 v[6:7], 1, v[6:7]
	v_lshl_add_u64 v[24:25], s[12:13], 0, v[6:7]
	v_lshl_add_u64 v[28:29], s[14:15], 0, v[6:7]
	v_lshl_add_u64 v[6:7], v[4:5], 0, 7
	v_mul_lo_u32 v9, s11, v6
	v_mul_lo_u32 v10, s10, v7
	v_mad_u64_u32 v[6:7], s[26:27], s10, v6, 0
	v_add3_u32 v7, v7, v10, v9
	v_lshlrev_b64 v[6:7], 1, v[6:7]
	v_lshl_add_u64 v[30:31], s[12:13], 0, v[6:7]
	v_lshl_add_u64 v[32:33], s[14:15], 0, v[6:7]
	;; [unrolled: 8-line block ×5, first 2 shown]
	v_lshl_add_u64 v[6:7], v[4:5], 0, 3
	v_mul_lo_u32 v9, s11, v6
	v_mul_lo_u32 v10, s10, v7
	v_mad_u64_u32 v[6:7], s[26:27], s10, v6, 0
	v_add3_u32 v7, v7, v10, v9
	s_load_dword s3, s[0:1], 0x44
	v_lshlrev_b64 v[6:7], 1, v[6:7]
	v_lshl_add_u64 v[46:47], s[12:13], 0, v[6:7]
	v_lshl_add_u64 v[48:49], s[14:15], 0, v[6:7]
	;; [unrolled: 1-line block ×3, first 2 shown]
	v_mul_lo_u32 v5, s11, v6
	v_mul_lo_u32 v9, s10, v7
	v_mad_u64_u32 v[6:7], s[26:27], s10, v6, 0
	v_add3_u32 v7, v7, v9, v5
	s_add_u32 s22, s0, 64
	v_lshlrev_b64 v[6:7], 1, v[6:7]
	s_addc_u32 s23, s1, 0
	s_waitcnt lgkmcnt(0)
	s_lshl_b32 s3, s3, 7
	v_lshl_add_u64 v[50:51], s[12:13], 0, v[6:7]
	v_lshl_add_u64 v[52:53], s[14:15], 0, v[6:7]
	v_mov_b64_e32 v[6:7], s[10:11]
	s_mul_i32 s24, s11, s3
	s_mul_hi_u32 s25, s10, s3
	v_mad_u64_u32 v[4:5], s[26:27], s10, v4, v[6:7]
	s_add_i32 s25, s25, s24
	s_mul_i32 s24, s10, s3
	v_add3_u32 v5, v3, v5, v8
	v_mbcnt_lo_u32_b32 v3, -1, 0
	s_lshl_b64 s[24:25], s[24:25], 1
	v_mbcnt_hi_u32_b32 v3, -1, v3
	v_lshlrev_b64 v[4:5], 1, v[4:5]
	s_add_u32 s26, s20, 0x7f
	s_movk_i32 s28, 0xff81
	s_movk_i32 s30, 0xff82
	;; [unrolled: 1-line block ×8, first 2 shown]
	v_lshlrev_b32_e32 v3, 2, v3
	v_lshl_add_u64 v[54:55], s[12:13], 0, v[4:5]
	v_lshl_add_u64 v[56:57], s[14:15], 0, v[4:5]
	s_addc_u32 s27, 0, 0
	s_mov_b32 s29, -1
	s_mov_b32 s31, -1
	;; [unrolled: 1-line block ×8, first 2 shown]
	v_and_b32_e32 v63, 0x100, v3
	s_mov_b64 s[46:47], s[20:21]
	v_mov_b32_e32 v26, 0
	v_mov_b32_e32 v27, v2
	s_branch .LBB80_5
.LBB80_3:                               ;   in Loop: Header=BB80_5 Depth=1
	s_or_b64 exec, exec, s[48:49]
	s_waitcnt vmcnt(1)
	ds_bpermute_b32 v3, v63, v61
	ds_bpermute_b32 v58, v63, v61 offset:4
	s_waitcnt vmcnt(0)
	ds_bpermute_b32 v59, v63, v60
	ds_bpermute_b32 v64, v63, v60 offset:4
	v_mov_b32_e32 v66, v8
	s_waitcnt lgkmcnt(3)
	v_sub_f32_e32 v3, v12, v3
	v_mul_f32_e32 v3, v4, v3
	s_waitcnt lgkmcnt(2)
	v_sub_f32_e32 v12, v13, v58
	s_waitcnt lgkmcnt(1)
	v_mul_f32_e32 v13, v3, v59
	ds_bpermute_b32 v3, v63, v61 offset:8
	v_mul_f32_e32 v12, v5, v12
	s_waitcnt lgkmcnt(1)
	v_mul_f32_e32 v59, v12, v64
	ds_bpermute_b32 v12, v63, v60 offset:8
	ds_bpermute_b32 v58, v63, v61 offset:12
	s_waitcnt lgkmcnt(2)
	v_sub_f32_e32 v3, v14, v3
	ds_bpermute_b32 v14, v63, v60 offset:12
	v_mul_f32_e32 v3, v6, v3
	s_waitcnt lgkmcnt(2)
	v_mul_f32_e32 v65, v3, v12
	s_waitcnt lgkmcnt(1)
	v_sub_f32_e32 v3, v15, v58
	ds_bpermute_b32 v12, v63, v61 offset:16
	v_mul_f32_e32 v3, v7, v3
	s_waitcnt lgkmcnt(1)
	v_mul_f32_e32 v15, v3, v14
	ds_bpermute_b32 v3, v63, v60 offset:16
	ds_bpermute_b32 v14, v63, v61 offset:20
	s_waitcnt lgkmcnt(2)
	v_sub_f32_e32 v12, v16, v12
	ds_bpermute_b32 v16, v63, v60 offset:20
	v_mul_f32_e32 v12, v8, v12
	s_waitcnt lgkmcnt(2)
	v_mul_f32_e32 v67, v12, v3
	v_mov_b32_e32 v12, v4
	s_waitcnt lgkmcnt(1)
	v_sub_f32_e32 v3, v17, v14
	v_pk_add_f32 v[12:13], v[26:27], v[12:13]
	v_mov_b32_e32 v58, v5
	v_mul_f32_e32 v3, v9, v3
	v_pk_add_f32 v[4:5], v[58:59], v[12:13]
	v_mov_b32_e32 v64, v6
	s_waitcnt lgkmcnt(0)
	v_mul_f32_e32 v17, v3, v16
	v_pk_add_f32 v[4:5], v[64:65], v[4:5]
	v_mov_b32_e32 v14, v7
	ds_bpermute_b32 v3, v63, v61 offset:24
	v_pk_add_f32 v[4:5], v[14:15], v[4:5]
	v_mov_b32_e32 v16, v9
	v_pk_add_f32 v[4:5], v[66:67], v[4:5]
	s_waitcnt lgkmcnt(0)
	v_sub_f32_e32 v8, v18, v3
	v_pk_add_f32 v[6:7], v[16:17], v[4:5]
	ds_bpermute_b32 v5, v63, v60 offset:24
	ds_bpermute_b32 v3, v63, v60 offset:28
	ds_bpermute_b32 v4, v63, v61 offset:28
	v_mul_f32_e32 v8, v10, v8
	s_waitcnt lgkmcnt(2)
	v_mul_f32_e32 v9, v8, v5
	v_mov_b32_e32 v8, v10
	v_pk_add_f32 v[60:61], v[8:9], v[6:7]
.LBB80_4:                               ;   in Loop: Header=BB80_5 Depth=1
	s_waitcnt lgkmcnt(0)
	v_sub_f32_e32 v4, v19, v4
	v_mul_f32_e32 v4, v11, v4
	v_mul_f32_e32 v5, v4, v3
	v_mov_b32_e32 v4, v11
	s_add_u32 s46, s46, s3
	v_pk_add_f32 v[26:27], v[60:61], v[4:5]
	s_addc_u32 s47, s47, 0
	v_mov_b64_e32 v[4:5], s[8:9]
	s_add_u32 s26, s26, s3
	v_cmp_lt_i64_e32 vcc, s[46:47], v[4:5]
	v_lshl_add_u64 v[24:25], v[24:25], 0, s[24:25]
	v_lshl_add_u64 v[28:29], v[28:29], 0, s[24:25]
	;; [unrolled: 1-line block ×16, first 2 shown]
	s_addc_u32 s27, s27, 0
	s_cbranch_vccz .LBB80_49
.LBB80_5:                               ; =>This Inner Loop Header: Depth=1
	v_mov_b64_e32 v[4:5], s[8:9]
	v_cmp_ge_i64_e32 vcc, s[26:27], v[4:5]
	v_lshl_add_u64 v[58:59], v[20:21], 0, s[26:27]
	s_mov_b64 s[48:49], -1
	s_and_b64 vcc, exec, vcc
                                        ; implicit-def: $vgpr4_vgpr5_vgpr6_vgpr7_vgpr8_vgpr9_vgpr10_vgpr11
                                        ; implicit-def: $vgpr60_vgpr61
                                        ; implicit-def: $vgpr3
                                        ; implicit-def: $vgpr12_vgpr13_vgpr14_vgpr15_vgpr16_vgpr17_vgpr18_vgpr19
                                        ; implicit-def: $vgpr4
	s_cbranch_vccz .LBB80_27
; %bb.6:                                ;   in Loop: Header=BB80_5 Depth=1
	s_load_dword s48, s[22:23], 0xc
	v_mov_b32_e32 v60, 0
	v_mov_b32_e32 v61, 0
	s_waitcnt lgkmcnt(0)
	s_and_b32 s48, s48, 0xffff
	v_mad_u32_u24 v3, v62, s48, v1
	v_and_b32_e32 v4, 63, v3
	v_cmp_gt_u32_e32 vcc, 8, v4
	s_and_saveexec_b64 s[48:49], vcc
	s_cbranch_execz .LBB80_10
; %bb.7:                                ;   in Loop: Header=BB80_5 Depth=1
	v_mov_b32_e32 v5, v2
	v_lshl_add_u64 v[4:5], v[58:59], 0, v[4:5]
	v_lshl_add_u64 v[4:5], v[4:5], 0, s[28:29]
	v_cmp_gt_i64_e32 vcc, s[8:9], v[4:5]
	v_mov_b32_e32 v61, 0
	v_mov_b32_e32 v60, 0
	s_and_saveexec_b64 s[50:51], vcc
	s_cbranch_execz .LBB80_9
; %bb.8:                                ;   in Loop: Header=BB80_5 Depth=1
	v_lshlrev_b64 v[4:5], 2, v[4:5]
	v_lshl_add_u64 v[6:7], s[18:19], 0, v[4:5]
	v_lshl_add_u64 v[4:5], s[16:17], 0, v[4:5]
	global_load_dword v61, v[4:5], off
	global_load_dword v60, v[6:7], off
.LBB80_9:                               ;   in Loop: Header=BB80_5 Depth=1
	s_or_b64 exec, exec, s[50:51]
.LBB80_10:                              ;   in Loop: Header=BB80_5 Depth=1
	s_or_b64 exec, exec, s[48:49]
	v_lshl_add_u64 v[4:5], v[58:59], 0, s[28:29]
	v_mov_b32_e32 v8, v2
	v_mov_b32_e32 v9, v2
	v_cmp_gt_i64_e32 vcc, s[8:9], v[4:5]
	v_mov_b32_e32 v3, v2
	v_mov_b32_e32 v4, v2
	;; [unrolled: 1-line block ×5, first 2 shown]
	v_mov_b64_e32 v[18:19], v[8:9]
	v_mov_b64_e32 v[16:17], v[6:7]
	;; [unrolled: 1-line block ×5, first 2 shown]
	s_and_b64 s[50:51], s[6:7], vcc
	v_mov_b64_e32 v[8:9], v[6:7]
	v_mov_b64_e32 v[6:7], v[4:5]
	;; [unrolled: 1-line block ×3, first 2 shown]
	s_and_saveexec_b64 s[48:49], s[50:51]
	s_cbranch_execz .LBB80_12
; %bb.11:                               ;   in Loop: Header=BB80_5 Depth=1
	v_lshl_add_u64 v[4:5], v[24:25], 0, v[22:23]
	global_load_ushort v3, v[4:5], off
	v_lshl_add_u64 v[4:5], v[28:29], 0, v[22:23]
	global_load_ushort v12, v[4:5], off
	v_mov_b32_e32 v5, v2
	v_mov_b32_e32 v6, v2
	;; [unrolled: 1-line block ×14, first 2 shown]
	s_waitcnt vmcnt(1)
	v_cvt_f32_f16_e32 v4, v3
	s_waitcnt vmcnt(0)
	v_cvt_f32_f16_e32 v12, v12
.LBB80_12:                              ;   in Loop: Header=BB80_5 Depth=1
	s_or_b64 exec, exec, s[48:49]
	v_lshl_add_u64 v[64:65], v[58:59], 0, s[30:31]
	v_cmp_gt_i64_e32 vcc, s[8:9], v[64:65]
	s_and_b64 s[50:51], s[6:7], vcc
	s_and_saveexec_b64 s[48:49], s[50:51]
	s_cbranch_execz .LBB80_14
; %bb.13:                               ;   in Loop: Header=BB80_5 Depth=1
	v_lshl_add_u64 v[64:65], v[54:55], 0, v[22:23]
	global_load_ushort v3, v[64:65], off
	v_lshl_add_u64 v[64:65], v[56:57], 0, v[22:23]
	global_load_ushort v13, v[64:65], off
	s_waitcnt vmcnt(1)
	v_cvt_f32_f16_e32 v5, v3
	s_waitcnt vmcnt(0)
	v_cvt_f32_f16_e32 v13, v13
.LBB80_14:                              ;   in Loop: Header=BB80_5 Depth=1
	s_or_b64 exec, exec, s[48:49]
	v_lshl_add_u64 v[64:65], v[58:59], 0, s[34:35]
	v_cmp_gt_i64_e32 vcc, s[8:9], v[64:65]
	s_and_b64 s[50:51], s[6:7], vcc
	s_and_saveexec_b64 s[48:49], s[50:51]
	s_cbranch_execz .LBB80_16
; %bb.15:                               ;   in Loop: Header=BB80_5 Depth=1
	v_lshl_add_u64 v[64:65], v[50:51], 0, v[22:23]
	global_load_ushort v3, v[64:65], off
	v_lshl_add_u64 v[64:65], v[52:53], 0, v[22:23]
	global_load_ushort v14, v[64:65], off
	s_waitcnt vmcnt(1)
	v_cvt_f32_f16_e32 v6, v3
	s_waitcnt vmcnt(0)
	v_cvt_f32_f16_e32 v14, v14
.LBB80_16:                              ;   in Loop: Header=BB80_5 Depth=1
	;; [unrolled: 16-line block ×7, first 2 shown]
	s_or_b64 exec, exec, s[48:49]
	s_waitcnt vmcnt(1)
	ds_bpermute_b32 v3, v63, v61
	ds_bpermute_b32 v64, v63, v61 offset:4
	s_waitcnt vmcnt(0)
	ds_bpermute_b32 v65, v63, v60
	ds_bpermute_b32 v66, v63, v60 offset:4
	v_mov_b32_e32 v68, v8
	s_waitcnt lgkmcnt(3)
	v_sub_f32_e32 v3, v12, v3
	v_mul_f32_e32 v3, v4, v3
	s_waitcnt lgkmcnt(2)
	v_sub_f32_e32 v12, v13, v64
	s_waitcnt lgkmcnt(1)
	v_mul_f32_e32 v13, v3, v65
	ds_bpermute_b32 v3, v63, v61 offset:8
	v_mul_f32_e32 v12, v5, v12
	s_waitcnt lgkmcnt(1)
	v_mul_f32_e32 v65, v12, v66
	ds_bpermute_b32 v12, v63, v60 offset:8
	ds_bpermute_b32 v64, v63, v61 offset:12
	s_waitcnt lgkmcnt(2)
	v_sub_f32_e32 v3, v14, v3
	ds_bpermute_b32 v14, v63, v60 offset:12
	v_mul_f32_e32 v3, v6, v3
	s_waitcnt lgkmcnt(2)
	v_mul_f32_e32 v67, v3, v12
	ds_bpermute_b32 v12, v63, v61 offset:16
	s_waitcnt lgkmcnt(2)
	v_sub_f32_e32 v3, v15, v64
	v_mul_f32_e32 v3, v7, v3
	s_waitcnt lgkmcnt(1)
	v_mul_f32_e32 v15, v3, v14
	ds_bpermute_b32 v3, v63, v60 offset:16
	ds_bpermute_b32 v14, v63, v61 offset:20
	s_waitcnt lgkmcnt(2)
	v_sub_f32_e32 v12, v16, v12
	ds_bpermute_b32 v16, v63, v60 offset:20
	v_mul_f32_e32 v12, v8, v12
	s_waitcnt lgkmcnt(2)
	v_mul_f32_e32 v69, v12, v3
	s_waitcnt lgkmcnt(1)
	v_sub_f32_e32 v3, v17, v14
	v_mov_b32_e32 v12, v4
	v_mul_f32_e32 v3, v9, v3
	v_pk_add_f32 v[12:13], v[26:27], v[12:13]
	v_mov_b32_e32 v64, v5
	s_waitcnt lgkmcnt(0)
	v_mul_f32_e32 v17, v3, v16
	v_pk_add_f32 v[4:5], v[64:65], v[12:13]
	v_mov_b32_e32 v66, v6
	ds_bpermute_b32 v3, v63, v61 offset:24
	v_pk_add_f32 v[4:5], v[66:67], v[4:5]
	v_mov_b32_e32 v14, v7
	v_pk_add_f32 v[4:5], v[14:15], v[4:5]
	v_mov_b32_e32 v16, v9
	v_pk_add_f32 v[4:5], v[68:69], v[4:5]
	s_waitcnt lgkmcnt(0)
	v_sub_f32_e32 v3, v18, v3
	v_pk_add_f32 v[6:7], v[16:17], v[4:5]
	ds_bpermute_b32 v5, v63, v60 offset:24
	v_mul_f32_e32 v8, v10, v3
	ds_bpermute_b32 v3, v63, v60 offset:28
	ds_bpermute_b32 v4, v63, v61 offset:28
	s_mov_b64 s[48:49], 0
	s_waitcnt lgkmcnt(2)
	v_mul_f32_e32 v9, v8, v5
	v_mov_b32_e32 v8, v10
	v_pk_add_f32 v[60:61], v[8:9], v[6:7]
.LBB80_27:                              ;   in Loop: Header=BB80_5 Depth=1
	s_and_b64 vcc, exec, s[48:49]
	s_cbranch_vccz .LBB80_4
; %bb.28:                               ;   in Loop: Header=BB80_5 Depth=1
	s_load_dword s48, s[22:23], 0x0
	v_mov_b32_e32 v60, 0
	v_mov_b32_e32 v61, 0
	s_waitcnt lgkmcnt(0)
	s_cmp_lt_u32 s2, s48
	s_cselect_b32 s48, 12, 18
	s_add_u32 s48, s22, s48
	s_addc_u32 s49, s23, 0
	global_load_ushort v3, v2, s[48:49]
	s_waitcnt vmcnt(0)
	v_mad_u32_u24 v3, v62, v3, v1
	v_and_b32_e32 v4, 63, v3
	v_cmp_gt_u32_e32 vcc, 8, v4
	s_and_saveexec_b64 s[48:49], vcc
	s_cbranch_execz .LBB80_32
; %bb.29:                               ;   in Loop: Header=BB80_5 Depth=1
	v_mov_b32_e32 v5, v2
	v_lshl_add_u64 v[4:5], v[58:59], 0, v[4:5]
	v_lshl_add_u64 v[4:5], v[4:5], 0, s[28:29]
	v_cmp_gt_i64_e32 vcc, s[8:9], v[4:5]
	v_mov_b32_e32 v61, 0
	v_mov_b32_e32 v60, 0
	s_and_saveexec_b64 s[50:51], vcc
	s_cbranch_execz .LBB80_31
; %bb.30:                               ;   in Loop: Header=BB80_5 Depth=1
	v_lshlrev_b64 v[4:5], 2, v[4:5]
	v_lshl_add_u64 v[6:7], s[18:19], 0, v[4:5]
	v_lshl_add_u64 v[4:5], s[16:17], 0, v[4:5]
	global_load_dword v61, v[4:5], off
	global_load_dword v60, v[6:7], off
.LBB80_31:                              ;   in Loop: Header=BB80_5 Depth=1
	s_or_b64 exec, exec, s[50:51]
.LBB80_32:                              ;   in Loop: Header=BB80_5 Depth=1
	s_or_b64 exec, exec, s[48:49]
	v_mov_b32_e32 v8, v2
	v_mov_b32_e32 v9, v2
	;; [unrolled: 1-line block ×7, first 2 shown]
	v_mov_b64_e32 v[18:19], v[8:9]
	v_mov_b64_e32 v[16:17], v[6:7]
	;; [unrolled: 1-line block ×8, first 2 shown]
	s_and_saveexec_b64 s[48:49], s[6:7]
	s_cbranch_execnz .LBB80_40
; %bb.33:                               ;   in Loop: Header=BB80_5 Depth=1
	s_or_b64 exec, exec, s[48:49]
	s_and_saveexec_b64 s[48:49], s[6:7]
	s_cbranch_execnz .LBB80_41
.LBB80_34:                              ;   in Loop: Header=BB80_5 Depth=1
	s_or_b64 exec, exec, s[48:49]
	s_and_saveexec_b64 s[48:49], s[6:7]
	s_cbranch_execnz .LBB80_42
.LBB80_35:                              ;   in Loop: Header=BB80_5 Depth=1
	s_or_b64 exec, exec, s[48:49]
	s_and_saveexec_b64 s[48:49], s[6:7]
	s_cbranch_execnz .LBB80_43
.LBB80_36:                              ;   in Loop: Header=BB80_5 Depth=1
	s_or_b64 exec, exec, s[48:49]
	s_and_saveexec_b64 s[48:49], s[6:7]
	s_cbranch_execnz .LBB80_44
.LBB80_37:                              ;   in Loop: Header=BB80_5 Depth=1
	s_or_b64 exec, exec, s[48:49]
	s_and_saveexec_b64 s[48:49], s[6:7]
	s_cbranch_execnz .LBB80_45
.LBB80_38:                              ;   in Loop: Header=BB80_5 Depth=1
	s_or_b64 exec, exec, s[48:49]
	s_and_saveexec_b64 s[48:49], s[6:7]
	s_cbranch_execnz .LBB80_46
.LBB80_39:                              ;   in Loop: Header=BB80_5 Depth=1
	s_or_b64 exec, exec, s[48:49]
	s_and_saveexec_b64 s[48:49], s[6:7]
	s_cbranch_execz .LBB80_3
	s_branch .LBB80_47
.LBB80_40:                              ;   in Loop: Header=BB80_5 Depth=1
	v_lshl_add_u64 v[4:5], v[24:25], 0, v[22:23]
	global_load_ushort v3, v[4:5], off
	v_lshl_add_u64 v[4:5], v[28:29], 0, v[22:23]
	global_load_ushort v12, v[4:5], off
	v_mov_b32_e32 v5, v2
	v_mov_b32_e32 v6, v2
	;; [unrolled: 1-line block ×14, first 2 shown]
	s_waitcnt vmcnt(1)
	v_cvt_f32_f16_e32 v4, v3
	s_waitcnt vmcnt(0)
	v_cvt_f32_f16_e32 v12, v12
	s_or_b64 exec, exec, s[48:49]
	s_and_saveexec_b64 s[48:49], s[6:7]
	s_cbranch_execz .LBB80_34
.LBB80_41:                              ;   in Loop: Header=BB80_5 Depth=1
	v_lshl_add_u64 v[58:59], v[54:55], 0, v[22:23]
	global_load_ushort v3, v[58:59], off
	v_lshl_add_u64 v[58:59], v[56:57], 0, v[22:23]
	global_load_ushort v13, v[58:59], off
	s_waitcnt vmcnt(1)
	v_cvt_f32_f16_e32 v5, v3
	s_waitcnt vmcnt(0)
	v_cvt_f32_f16_e32 v13, v13
	s_or_b64 exec, exec, s[48:49]
	s_and_saveexec_b64 s[48:49], s[6:7]
	s_cbranch_execz .LBB80_35
.LBB80_42:                              ;   in Loop: Header=BB80_5 Depth=1
	v_lshl_add_u64 v[58:59], v[50:51], 0, v[22:23]
	global_load_ushort v3, v[58:59], off
	v_lshl_add_u64 v[58:59], v[52:53], 0, v[22:23]
	global_load_ushort v14, v[58:59], off
	s_waitcnt vmcnt(1)
	v_cvt_f32_f16_e32 v6, v3
	s_waitcnt vmcnt(0)
	v_cvt_f32_f16_e32 v14, v14
	s_or_b64 exec, exec, s[48:49]
	s_and_saveexec_b64 s[48:49], s[6:7]
	s_cbranch_execz .LBB80_36
.LBB80_43:                              ;   in Loop: Header=BB80_5 Depth=1
	v_lshl_add_u64 v[58:59], v[46:47], 0, v[22:23]
	global_load_ushort v3, v[58:59], off
	v_lshl_add_u64 v[58:59], v[48:49], 0, v[22:23]
	global_load_ushort v15, v[58:59], off
	s_waitcnt vmcnt(1)
	v_cvt_f32_f16_e32 v7, v3
	s_waitcnt vmcnt(0)
	v_cvt_f32_f16_e32 v15, v15
	s_or_b64 exec, exec, s[48:49]
	s_and_saveexec_b64 s[48:49], s[6:7]
	s_cbranch_execz .LBB80_37
.LBB80_44:                              ;   in Loop: Header=BB80_5 Depth=1
	v_lshl_add_u64 v[58:59], v[42:43], 0, v[22:23]
	global_load_ushort v3, v[58:59], off
	v_lshl_add_u64 v[58:59], v[44:45], 0, v[22:23]
	global_load_ushort v16, v[58:59], off
	s_waitcnt vmcnt(1)
	v_cvt_f32_f16_e32 v8, v3
	s_waitcnt vmcnt(0)
	v_cvt_f32_f16_e32 v16, v16
	s_or_b64 exec, exec, s[48:49]
	s_and_saveexec_b64 s[48:49], s[6:7]
	s_cbranch_execz .LBB80_38
.LBB80_45:                              ;   in Loop: Header=BB80_5 Depth=1
	v_lshl_add_u64 v[58:59], v[38:39], 0, v[22:23]
	global_load_ushort v3, v[58:59], off
	v_lshl_add_u64 v[58:59], v[40:41], 0, v[22:23]
	global_load_ushort v17, v[58:59], off
	s_waitcnt vmcnt(1)
	v_cvt_f32_f16_e32 v9, v3
	s_waitcnt vmcnt(0)
	v_cvt_f32_f16_e32 v17, v17
	s_or_b64 exec, exec, s[48:49]
	s_and_saveexec_b64 s[48:49], s[6:7]
	s_cbranch_execz .LBB80_39
.LBB80_46:                              ;   in Loop: Header=BB80_5 Depth=1
	v_lshl_add_u64 v[58:59], v[34:35], 0, v[22:23]
	global_load_ushort v3, v[58:59], off
	v_lshl_add_u64 v[58:59], v[36:37], 0, v[22:23]
	global_load_ushort v18, v[58:59], off
	s_waitcnt vmcnt(1)
	v_cvt_f32_f16_e32 v10, v3
	s_waitcnt vmcnt(0)
	v_cvt_f32_f16_e32 v18, v18
	s_or_b64 exec, exec, s[48:49]
	s_and_saveexec_b64 s[48:49], s[6:7]
	s_cbranch_execz .LBB80_3
.LBB80_47:                              ;   in Loop: Header=BB80_5 Depth=1
	v_lshl_add_u64 v[58:59], v[30:31], 0, v[22:23]
	global_load_ushort v3, v[58:59], off
	v_lshl_add_u64 v[58:59], v[32:33], 0, v[22:23]
	global_load_ushort v19, v[58:59], off
	s_waitcnt vmcnt(1)
	v_cvt_f32_f16_e32 v11, v3
	s_waitcnt vmcnt(0)
	v_cvt_f32_f16_e32 v19, v19
	s_branch .LBB80_3
.LBB80_48:
                                        ; implicit-def: $vgpr27
	s_branch .LBB80_50
.LBB80_49:
	s_cbranch_execnz .LBB80_81
.LBB80_50:
	v_mov_b32_e32 v27, 0
	s_and_b64 vcc, exec, s[4:5]
	v_mov_b32_e32 v26, v27
	s_cbranch_vccnz .LBB80_81
; %bb.51:
	v_mov_b32_e32 v2, 0
	v_bfe_u32 v90, v0, 10, 10
	v_lshlrev_b32_e32 v6, 4, v90
	v_mov_b32_e32 v7, v2
	v_lshl_add_u64 v[6:7], s[20:21], 1, v[6:7]
	v_lshl_add_u64 v[8:9], v[6:7], 0, 2
	v_mov_b64_e32 v[10:11], s[12:13]
	v_lshl_add_u64 v[12:13], v[6:7], 0, 4
	v_lshl_add_u64 v[14:15], v[6:7], 0, 6
	;; [unrolled: 1-line block ×6, first 2 shown]
	v_mad_u64_u32 v[22:23], s[4:5], s10, v8, v[10:11]
	v_mad_u64_u32 v[24:25], s[4:5], s10, v12, v[10:11]
	;; [unrolled: 1-line block ×7, first 2 shown]
	v_mov_b64_e32 v[10:11], s[14:15]
	v_mul_lo_u32 v9, s10, v9
	v_mul_lo_u32 v40, s11, v8
	v_mad_u64_u32 v[38:39], s[4:5], s10, v8, v[10:11]
	v_add3_u32 v23, v40, v23, v9
	v_mul_lo_u32 v13, s10, v13
	v_mul_lo_u32 v42, s11, v12
	v_add3_u32 v39, v40, v39, v9
	v_mad_u64_u32 v[40:41], s[4:5], s10, v12, v[10:11]
	v_add3_u32 v25, v42, v25, v13
	v_mul_lo_u32 v15, s10, v15
	v_mul_lo_u32 v44, s11, v14
	v_add3_u32 v41, v42, v41, v13
	v_mad_u64_u32 v[42:43], s[4:5], s10, v14, v[10:11]
	v_add3_u32 v29, v44, v29, v15
	v_mul_lo_u32 v17, s10, v17
	v_mul_lo_u32 v46, s11, v16
	v_add3_u32 v43, v44, v43, v15
	v_mad_u64_u32 v[44:45], s[4:5], s10, v16, v[10:11]
	v_add3_u32 v31, v46, v31, v17
	v_mul_lo_u32 v19, s10, v19
	v_mul_lo_u32 v48, s11, v18
	v_add3_u32 v45, v46, v45, v17
	v_mad_u64_u32 v[46:47], s[4:5], s10, v18, v[10:11]
	v_lshlrev_b32_e32 v20, 3, v90
	v_mov_b32_e32 v21, v2
	v_add3_u32 v33, v48, v33, v19
	v_mul_lo_u32 v27, s10, v27
	v_mul_lo_u32 v50, s11, v26
	v_add3_u32 v47, v48, v47, v19
	v_mad_u64_u32 v[48:49], s[4:5], s10, v26, v[10:11]
	v_lshl_add_u64 v[4:5], v[20:21], 0, s[20:21]
	v_add3_u32 v35, v50, v35, v27
	v_mul_lo_u32 v7, s10, v7
	v_mul_lo_u32 v8, s11, v6
	v_add3_u32 v49, v50, v49, v27
	v_mad_u64_u32 v[50:51], s[4:5], s10, v6, v[10:11]
	v_add3_u32 v37, v8, v37, v7
	v_add3_u32 v51, v8, v51, v7
	v_lshl_add_u64 v[6:7], v[4:5], 0, 7
	v_mul_lo_u32 v8, s11, v6
	v_mul_lo_u32 v9, s10, v7
	v_mad_u64_u32 v[6:7], s[4:5], s10, v6, 0
	v_add3_u32 v7, v7, v9, v8
	v_lshl_add_u64 v[8:9], v[4:5], 0, 6
	v_mul_lo_u32 v10, s11, v8
	v_mul_lo_u32 v11, s10, v9
	v_mad_u64_u32 v[8:9], s[4:5], s10, v8, 0
	v_add3_u32 v9, v9, v11, v10
	v_lshl_add_u64 v[10:11], v[4:5], 0, 5
	v_mul_lo_u32 v12, s11, v10
	v_mul_lo_u32 v13, s10, v11
	v_mad_u64_u32 v[10:11], s[4:5], s10, v10, 0
	v_add3_u32 v11, v11, v13, v12
	v_lshl_add_u64 v[12:13], v[4:5], 0, 4
	v_mul_lo_u32 v14, s11, v12
	v_mul_lo_u32 v15, s10, v13
	v_mad_u64_u32 v[12:13], s[4:5], s10, v12, 0
	v_add3_u32 v13, v13, v15, v14
	v_lshl_add_u64 v[14:15], v[4:5], 0, 3
	v_mul_lo_u32 v16, s11, v14
	v_mul_lo_u32 v17, s10, v15
	v_mad_u64_u32 v[14:15], s[4:5], s10, v14, 0
	v_add3_u32 v15, v15, v17, v16
	v_lshl_add_u64 v[16:17], v[4:5], 0, 2
	v_mul_lo_u32 v52, s10, v5
	v_mul_lo_u32 v5, s11, v16
	;; [unrolled: 1-line block ×3, first 2 shown]
	v_mad_u64_u32 v[16:17], s[4:5], s10, v16, 0
	v_add3_u32 v17, v17, v18, v5
	v_mov_b64_e32 v[18:19], s[10:11]
	v_mul_lo_u32 v3, s11, v4
	v_mad_u64_u32 v[18:19], s[4:5], s10, v4, v[18:19]
	v_mad_u64_u32 v[4:5], s[4:5], s10, v4, 0
	s_load_dword s3, s[0:1], 0x44
	v_add3_u32 v5, v5, v52, v3
	v_lshlrev_b64 v[4:5], 1, v[4:5]
	v_lshl_add_u64 v[54:55], s[12:13], 0, v[4:5]
	v_lshl_add_u64 v[56:57], s[14:15], 0, v[4:5]
	v_lshlrev_b64 v[4:5], 1, v[6:7]
	v_lshl_add_u64 v[58:59], s[12:13], 0, v[4:5]
	v_lshl_add_u64 v[60:61], s[14:15], 0, v[4:5]
	v_lshlrev_b64 v[4:5], 1, v[8:9]
	s_add_u32 s4, s0, 64
	v_lshl_add_u64 v[62:63], s[12:13], 0, v[4:5]
	v_lshl_add_u64 v[64:65], s[14:15], 0, v[4:5]
	v_lshlrev_b64 v[4:5], 1, v[10:11]
	s_addc_u32 s5, s1, 0
	s_waitcnt lgkmcnt(0)
	s_lshl_b32 s3, s3, 7
	v_lshl_add_u64 v[66:67], s[12:13], 0, v[4:5]
	v_lshl_add_u64 v[68:69], s[14:15], 0, v[4:5]
	v_lshlrev_b64 v[4:5], 1, v[12:13]
	s_mul_i32 s6, s11, s3
	s_mul_hi_u32 s7, s10, s3
	v_lshl_add_u64 v[70:71], s[12:13], 0, v[4:5]
	v_lshl_add_u64 v[72:73], s[14:15], 0, v[4:5]
	v_lshlrev_b64 v[4:5], 1, v[14:15]
	v_add3_u32 v19, v3, v19, v52
	s_add_i32 s7, s7, s6
	s_mul_i32 s6, s10, s3
	v_lshl_add_u64 v[74:75], s[12:13], 0, v[4:5]
	v_lshl_add_u64 v[76:77], s[14:15], 0, v[4:5]
	v_lshlrev_b64 v[4:5], 1, v[16:17]
	v_mbcnt_lo_u32_b32 v3, -1, 0
	v_and_b32_e32 v1, 0x3ff, v0
	s_lshl_b64 s[6:7], s[6:7], 1
	v_lshl_add_u64 v[78:79], s[12:13], 0, v[4:5]
	v_lshl_add_u64 v[80:81], s[14:15], 0, v[4:5]
	v_lshlrev_b64 v[4:5], 1, v[18:19]
	v_mbcnt_hi_u32_b32 v3, -1, v3
	v_add_u32_e32 v26, s33, v1
	v_mov_b32_e32 v27, v2
	s_add_u32 s22, s20, 0x7f
	v_lshl_add_u64 v[82:83], s[12:13], 0, v[4:5]
	v_lshl_add_u64 v[84:85], s[14:15], 0, v[4:5]
	s_movk_i32 s12, 0xff81
	s_movk_i32 s14, 0xff82
	;; [unrolled: 1-line block ×8, first 2 shown]
	v_lshlrev_b32_e32 v3, 2, v3
	v_lshlrev_b64 v[52:53], 1, v[26:27]
	s_addc_u32 s23, 0, 0
	s_mov_b32 s13, -1
	s_mov_b32 s15, -1
	;; [unrolled: 1-line block ×8, first 2 shown]
	v_and_b32_e32 v91, 0x100, v3
	v_mov_b32_e32 v26, 0
	s_branch .LBB80_55
.LBB80_52:                              ;   in Loop: Header=BB80_55 Depth=1
	s_or_b64 exec, exec, s[40:41]
.LBB80_53:                              ;   in Loop: Header=BB80_55 Depth=1
	s_or_b64 exec, exec, s[38:39]
	v_lshl_add_u64 v[4:5], v[54:55], 0, v[52:53]
	global_load_ushort v7, v[4:5], off
	v_lshl_add_u64 v[4:5], v[56:57], 0, v[52:53]
	global_load_ushort v8, v[4:5], off
	;; [unrolled: 2-line block ×16, first 2 shown]
	s_waitcnt vmcnt(17)
	ds_bpermute_b32 v89, v91, v6
	ds_bpermute_b32 v93, v91, v6 offset:4
	ds_bpermute_b32 v104, v91, v6 offset:28
	s_waitcnt vmcnt(16)
	ds_bpermute_b32 v88, v91, v3
	ds_bpermute_b32 v95, v91, v6 offset:8
	ds_bpermute_b32 v97, v91, v6 offset:12
	;; [unrolled: 1-line block ×12, first 2 shown]
	s_waitcnt vmcnt(15)
	v_cvt_f32_f16_e32 v4, v7
	s_waitcnt vmcnt(14)
	v_cvt_f32_f16_e32 v7, v8
	;; [unrolled: 2-line block ×4, first 2 shown]
	s_waitcnt lgkmcnt(14)
	v_sub_f32_e32 v7, v7, v89
	s_waitcnt vmcnt(11)
	v_cvt_f32_f16_e32 v8, v11
	v_mul_f32_e32 v7, v7, v4
	s_waitcnt vmcnt(10)
	v_cvt_f32_f16_e32 v11, v12
	v_sub_f32_e32 v9, v9, v93
	s_waitcnt vmcnt(9)
	v_cvt_f32_f16_e32 v10, v13
	v_mul_f32_e32 v9, v9, v6
	s_waitcnt vmcnt(8)
	v_cvt_f32_f16_e32 v13, v14
	s_waitcnt lgkmcnt(11)
	v_sub_f32_e32 v11, v11, v95
	s_waitcnt vmcnt(7)
	v_cvt_f32_f16_e32 v12, v15
	v_mul_f32_e32 v11, v11, v8
	s_waitcnt vmcnt(6)
	v_cvt_f32_f16_e32 v15, v16
	s_waitcnt lgkmcnt(10)
	;; [unrolled: 7-line block ×5, first 2 shown]
	v_sub_f32_e32 v19, v19, v103
	v_mul_f32_e32 v19, v19, v16
	v_sub_f32_e32 v5, v5, v104
	v_mul_f32_e32 v26, v5, v18
	v_mul_f32_e32 v5, v7, v88
	s_waitcnt lgkmcnt(6)
	v_mul_f32_e32 v7, v9, v92
	v_pk_add_f32 v[4:5], v[86:87], v[4:5]
	s_waitcnt lgkmcnt(5)
	v_mul_f32_e32 v9, v11, v94
	v_pk_add_f32 v[4:5], v[4:5], v[6:7]
	;; [unrolled: 3-line block ×7, first 2 shown]
	s_nop 0
	v_pk_add_f32 v[26:27], v[4:5], v[18:19]
.LBB80_54:                              ;   in Loop: Header=BB80_55 Depth=1
	s_add_u32 s20, s20, s3
	s_addc_u32 s21, s21, 0
	v_mov_b64_e32 v[4:5], s[8:9]
	s_add_u32 s22, s22, s3
	v_cmp_ge_i64_e32 vcc, s[20:21], v[4:5]
	v_lshl_add_u64 v[54:55], v[54:55], 0, s[6:7]
	v_lshl_add_u64 v[56:57], v[56:57], 0, s[6:7]
	s_addc_u32 s23, s23, 0
	v_lshl_add_u64 v[22:23], v[22:23], 0, s[6:7]
	v_lshl_add_u64 v[24:25], v[24:25], 0, s[6:7]
	;; [unrolled: 1-line block ×28, first 2 shown]
	s_cbranch_vccnz .LBB80_81
.LBB80_55:                              ; =>This Inner Loop Header: Depth=1
	v_mov_b64_e32 v[4:5], s[8:9]
	v_cmp_ge_i64_e32 vcc, s[22:23], v[4:5]
	v_mov_b32_e32 v86, v26
	v_mov_b32_e32 v87, v27
	v_lshl_add_u64 v[88:89], v[20:21], 0, s[22:23]
	s_mov_b64 s[38:39], -1
                                        ; implicit-def: $vgpr27
	s_cbranch_vccz .LBB80_77
; %bb.56:                               ;   in Loop: Header=BB80_55 Depth=1
	s_load_dword s33, s[4:5], 0xc
	v_mov_b32_e32 v26, 0
	v_mov_b32_e32 v27, 0
	s_waitcnt lgkmcnt(0)
	s_and_b32 s33, s33, 0xffff
	v_mad_u32_u24 v3, v90, s33, v1
	v_and_b32_e32 v4, 63, v3
	v_cmp_gt_u32_e32 vcc, 8, v4
	s_and_saveexec_b64 s[38:39], vcc
	s_cbranch_execz .LBB80_60
; %bb.57:                               ;   in Loop: Header=BB80_55 Depth=1
	v_mov_b32_e32 v5, v2
	v_lshl_add_u64 v[4:5], v[88:89], 0, v[4:5]
	v_lshl_add_u64 v[4:5], v[4:5], 0, s[12:13]
	v_cmp_gt_i64_e32 vcc, s[8:9], v[4:5]
	v_mov_b32_e32 v27, 0
	v_mov_b32_e32 v26, 0
	s_and_saveexec_b64 s[40:41], vcc
	s_cbranch_execz .LBB80_59
; %bb.58:                               ;   in Loop: Header=BB80_55 Depth=1
	v_lshlrev_b64 v[4:5], 2, v[4:5]
	v_lshl_add_u64 v[6:7], s[18:19], 0, v[4:5]
	v_lshl_add_u64 v[4:5], s[16:17], 0, v[4:5]
	global_load_dword v27, v[4:5], off
	global_load_dword v26, v[6:7], off
.LBB80_59:                              ;   in Loop: Header=BB80_55 Depth=1
	s_or_b64 exec, exec, s[40:41]
.LBB80_60:                              ;   in Loop: Header=BB80_55 Depth=1
	s_or_b64 exec, exec, s[38:39]
	v_lshl_add_u64 v[4:5], v[88:89], 0, s[12:13]
	v_mov_b32_e32 v8, v2
	v_mov_b32_e32 v9, v2
	v_cmp_gt_i64_e32 vcc, s[8:9], v[4:5]
	v_mov_b32_e32 v3, v2
	v_mov_b32_e32 v4, v2
	;; [unrolled: 1-line block ×5, first 2 shown]
	v_mov_b64_e32 v[18:19], v[8:9]
	v_mov_b64_e32 v[16:17], v[6:7]
	;; [unrolled: 1-line block ×8, first 2 shown]
	s_and_saveexec_b64 s[38:39], vcc
	s_cbranch_execz .LBB80_62
; %bb.61:                               ;   in Loop: Header=BB80_55 Depth=1
	v_lshl_add_u64 v[4:5], v[54:55], 0, v[52:53]
	global_load_ushort v3, v[4:5], off
	v_lshl_add_u64 v[4:5], v[56:57], 0, v[52:53]
	global_load_ushort v12, v[4:5], off
	v_mov_b32_e32 v5, v2
	v_mov_b32_e32 v6, v2
	;; [unrolled: 1-line block ×14, first 2 shown]
	s_waitcnt vmcnt(1)
	v_cvt_f32_f16_e32 v4, v3
	s_waitcnt vmcnt(0)
	v_cvt_f32_f16_e32 v12, v12
.LBB80_62:                              ;   in Loop: Header=BB80_55 Depth=1
	s_or_b64 exec, exec, s[38:39]
	v_lshl_add_u64 v[92:93], v[88:89], 0, s[14:15]
	v_cmp_gt_i64_e32 vcc, s[8:9], v[92:93]
	s_and_saveexec_b64 s[38:39], vcc
	s_cbranch_execz .LBB80_64
; %bb.63:                               ;   in Loop: Header=BB80_55 Depth=1
	v_lshl_add_u64 v[92:93], v[82:83], 0, v[52:53]
	global_load_ushort v3, v[92:93], off
	v_lshl_add_u64 v[92:93], v[84:85], 0, v[52:53]
	global_load_ushort v13, v[92:93], off
	s_waitcnt vmcnt(1)
	v_cvt_f32_f16_e32 v5, v3
	s_waitcnt vmcnt(0)
	v_cvt_f32_f16_e32 v13, v13
.LBB80_64:                              ;   in Loop: Header=BB80_55 Depth=1
	s_or_b64 exec, exec, s[38:39]
	v_lshl_add_u64 v[92:93], v[88:89], 0, s[24:25]
	v_cmp_gt_i64_e32 vcc, s[8:9], v[92:93]
	s_and_saveexec_b64 s[38:39], vcc
	s_cbranch_execz .LBB80_66
; %bb.65:                               ;   in Loop: Header=BB80_55 Depth=1
	v_lshl_add_u64 v[92:93], v[78:79], 0, v[52:53]
	global_load_ushort v3, v[92:93], off
	v_lshl_add_u64 v[92:93], v[80:81], 0, v[52:53]
	global_load_ushort v14, v[92:93], off
	s_waitcnt vmcnt(1)
	v_cvt_f32_f16_e32 v6, v3
	s_waitcnt vmcnt(0)
	v_cvt_f32_f16_e32 v14, v14
.LBB80_66:                              ;   in Loop: Header=BB80_55 Depth=1
	;; [unrolled: 15-line block ×7, first 2 shown]
	s_or_b64 exec, exec, s[38:39]
	s_waitcnt vmcnt(1)
	ds_bpermute_b32 v3, v91, v27
	s_waitcnt vmcnt(0)
	ds_bpermute_b32 v92, v91, v26
	ds_bpermute_b32 v95, v91, v27 offset:4
	ds_bpermute_b32 v94, v91, v26 offset:4
	;; [unrolled: 1-line block ×3, first 2 shown]
	s_waitcnt lgkmcnt(4)
	v_sub_f32_e32 v3, v12, v3
	v_mul_f32_e32 v3, v4, v3
	ds_bpermute_b32 v12, v91, v26 offset:8
	s_waitcnt lgkmcnt(4)
	v_mul_f32_e32 v93, v3, v92
	s_waitcnt lgkmcnt(3)
	v_sub_f32_e32 v3, v13, v95
	v_mul_f32_e32 v3, v5, v3
	s_waitcnt lgkmcnt(2)
	v_mul_f32_e32 v13, v3, v94
	s_waitcnt lgkmcnt(1)
	v_sub_f32_e32 v3, v14, v96
	ds_bpermute_b32 v14, v91, v27 offset:12
	v_mul_f32_e32 v3, v6, v3
	s_waitcnt lgkmcnt(1)
	v_mul_f32_e32 v95, v3, v12
	ds_bpermute_b32 v3, v91, v26 offset:12
	ds_bpermute_b32 v12, v91, v27 offset:16
	;; [unrolled: 1-line block ×3, first 2 shown]
	s_waitcnt lgkmcnt(3)
	v_sub_f32_e32 v14, v15, v14
	v_mul_f32_e32 v14, v7, v14
	s_waitcnt lgkmcnt(2)
	v_mul_f32_e32 v15, v14, v3
	s_waitcnt lgkmcnt(1)
	v_sub_f32_e32 v3, v16, v12
	ds_bpermute_b32 v12, v91, v27 offset:20
	v_mul_f32_e32 v3, v8, v3
	s_waitcnt lgkmcnt(1)
	v_mul_f32_e32 v97, v3, v92
	ds_bpermute_b32 v3, v91, v26 offset:20
	ds_bpermute_b32 v14, v91, v27 offset:24
	;; [unrolled: 1-line block ×3, first 2 shown]
	s_waitcnt lgkmcnt(3)
	v_sub_f32_e32 v12, v17, v12
	v_mul_f32_e32 v12, v9, v12
	s_waitcnt lgkmcnt(2)
	v_mul_f32_e32 v17, v12, v3
	s_waitcnt lgkmcnt(1)
	v_sub_f32_e32 v3, v18, v14
	v_mul_f32_e32 v3, v10, v3
	s_waitcnt lgkmcnt(0)
	v_mul_f32_e32 v99, v3, v16
	v_mov_b32_e32 v92, v4
	ds_bpermute_b32 v3, v91, v27 offset:28
	v_pk_add_f32 v[92:93], v[86:87], v[92:93]
	v_mov_b32_e32 v12, v5
	v_pk_add_f32 v[4:5], v[12:13], v[92:93]
	v_mov_b32_e32 v94, v6
	ds_bpermute_b32 v6, v91, v26 offset:28
	v_pk_add_f32 v[4:5], v[94:95], v[4:5]
	v_mov_b32_e32 v14, v7
	v_pk_add_f32 v[4:5], v[14:15], v[4:5]
	v_mov_b32_e32 v96, v8
	;; [unrolled: 2-line block ×3, first 2 shown]
	s_waitcnt lgkmcnt(1)
	v_sub_f32_e32 v3, v19, v3
	v_pk_add_f32 v[4:5], v[16:17], v[4:5]
	v_mov_b32_e32 v98, v10
	v_mul_f32_e32 v3, v11, v3
	v_pk_add_f32 v[4:5], v[98:99], v[4:5]
	s_waitcnt lgkmcnt(0)
	v_mul_f32_e32 v7, v3, v6
	v_mov_b32_e32 v6, v11
	v_pk_add_f32 v[26:27], v[6:7], v[4:5]
	s_mov_b64 s[38:39], 0
.LBB80_77:                              ;   in Loop: Header=BB80_55 Depth=1
	s_and_b64 vcc, exec, s[38:39]
	s_cbranch_vccz .LBB80_54
; %bb.78:                               ;   in Loop: Header=BB80_55 Depth=1
	s_load_dword s33, s[4:5], 0x0
	v_mov_b32_e32 v3, 0
	v_mov_b32_e32 v6, 0
	s_waitcnt lgkmcnt(0)
	s_cmp_lt_u32 s2, s33
	s_cselect_b32 s33, 12, 18
	s_add_u32 s38, s4, s33
	s_addc_u32 s39, s5, 0
	global_load_ushort v4, v2, s[38:39]
	s_waitcnt vmcnt(0)
	v_mad_u32_u24 v4, v90, v4, v1
	v_and_b32_e32 v4, 63, v4
	v_cmp_gt_u32_e32 vcc, 8, v4
	s_and_saveexec_b64 s[38:39], vcc
	s_cbranch_execz .LBB80_53
; %bb.79:                               ;   in Loop: Header=BB80_55 Depth=1
	v_mov_b32_e32 v5, v2
	v_lshl_add_u64 v[4:5], v[88:89], 0, v[4:5]
	v_lshl_add_u64 v[4:5], v[4:5], 0, s[12:13]
	v_cmp_gt_i64_e32 vcc, s[8:9], v[4:5]
	v_mov_b32_e32 v6, 0
	v_mov_b32_e32 v3, 0
	s_and_saveexec_b64 s[40:41], vcc
	s_cbranch_execz .LBB80_52
; %bb.80:                               ;   in Loop: Header=BB80_55 Depth=1
	v_lshlrev_b64 v[4:5], 2, v[4:5]
	v_lshl_add_u64 v[8:9], s[18:19], 0, v[4:5]
	v_lshl_add_u64 v[4:5], s[16:17], 0, v[4:5]
	global_load_dword v6, v[4:5], off
	global_load_dword v3, v[8:9], off
	s_branch .LBB80_52
.LBB80_81:
	v_and_b32_e32 v1, 0x3ff, v0
	v_bfe_u32 v2, v0, 10, 10
	s_movk_i32 s3, 0x41
	v_bfe_u32 v0, v0, 6, 4
	v_mad_u32_u24 v3, v2, s3, v1
	v_add_u32_e32 v0, v0, v2
	v_lshl_add_u32 v3, v3, 2, 0
	v_cmp_gt_u32_e32 vcc, 64, v0
	ds_write_b32 v3, v27
	ds_write_b32 v3, v26 offset:4160
	s_waitcnt lgkmcnt(0)
	s_barrier
	s_and_saveexec_b64 s[4:5], vcc
	s_cbranch_execz .LBB80_113
; %bb.82:
	s_load_dwordx4 s[12:15], s[0:1], 0x30
	v_and_b32_e32 v2, 63, v1
	v_cmp_lt_u32_e64 s[4:5], 15, v2
	v_cmp_gt_u32_e64 s[0:1], 16, v2
	v_mul_u32_u24_e32 v6, 0x41, v2
                                        ; implicit-def: $vgpr2
	s_and_saveexec_b64 s[6:7], s[0:1]
	s_cbranch_execz .LBB80_84
; %bb.83:
	v_add_u32_e32 v2, v0, v6
	v_lshl_add_u32 v2, v2, 2, 0
	ds_read_b32 v3, v2
	ds_read_b32 v2, v2 offset:4160
.LBB80_84:
	s_or_b64 exec, exec, s[6:7]
	v_mbcnt_lo_u32_b32 v4, -1, 0
	v_mbcnt_hi_u32_b32 v10, -1, v4
	v_and_b32_e32 v4, 64, v10
	v_add_u32_e32 v11, 64, v4
	v_xor_b32_e32 v4, 8, v10
	v_cmp_lt_i32_e32 vcc, v4, v11
	v_xor_b32_e32 v8, 4, v10
	v_xor_b32_e32 v9, 2, v10
	v_cndmask_b32_e32 v4, v10, v4, vcc
	v_lshlrev_b32_e32 v7, 2, v4
	s_waitcnt lgkmcnt(0)
	ds_bpermute_b32 v5, v7, v3
	ds_bpermute_b32 v4, v7, v2
	v_cmp_lt_i32_e32 vcc, v8, v11
	s_mov_b32 s3, 0
	s_lshl_b64 s[6:7], s[2:3], 6
	v_cndmask_b32_e32 v8, v10, v8, vcc
	v_lshlrev_b32_e32 v8, 2, v8
	s_waitcnt lgkmcnt(0)
	v_pk_add_f32 v[2:3], v[2:3], v[4:5]
	ds_bpermute_b32 v5, v8, v3
	ds_bpermute_b32 v4, v8, v2
	v_cmp_lt_i32_e32 vcc, v9, v11
	v_cmp_eq_u32_e64 s[2:3], 0, v1
	v_xor_b32_e32 v1, 1, v10
	v_cndmask_b32_e32 v9, v10, v9, vcc
	v_lshlrev_b32_e32 v9, 2, v9
	s_waitcnt lgkmcnt(0)
	v_pk_add_f32 v[2:3], v[2:3], v[4:5]
	ds_bpermute_b32 v5, v9, v3
	ds_bpermute_b32 v4, v9, v2
	v_cmp_lt_i32_e32 vcc, v1, v11
	s_cmp_lg_u64 s[12:13], 0
	s_cselect_b64 s[16:17], -1, 0
	v_cndmask_b32_e32 v1, v10, v1, vcc
	s_waitcnt lgkmcnt(0)
	v_pk_add_f32 v[2:3], v[2:3], v[4:5]
	v_lshlrev_b32_e32 v10, 2, v1
	ds_bpermute_b32 v5, v10, v3
	ds_bpermute_b32 v4, v10, v2
	s_cmp_lg_u64 s[14:15], 0
	s_cselect_b64 s[8:9], -1, 0
	v_mov_b32_e32 v1, 0
	s_waitcnt lgkmcnt(0)
	v_pk_add_f32 v[2:3], v[2:3], v[4:5]
	v_or_b32_e32 v4, s6, v0
	v_mov_b32_e32 v5, s7
	v_cmp_gt_i64_e32 vcc, s[10:11], v[4:5]
	s_and_b64 s[20:21], s[2:3], vcc
	s_and_saveexec_b64 s[18:19], s[20:21]
	s_cbranch_execz .LBB80_89
; %bb.85:
	s_andn2_b64 vcc, exec, s[16:17]
	s_cbranch_vccnz .LBB80_87
; %bb.86:
	v_cvt_f16_f32_e32 v11, v3
	v_lshl_add_u64 v[12:13], v[4:5], 1, s[12:13]
	global_store_short v[12:13], v11, off
.LBB80_87:
	s_andn2_b64 vcc, exec, s[8:9]
	s_cbranch_vccnz .LBB80_89
; %bb.88:
	v_cvt_f16_f32_e32 v11, v2
	v_lshl_add_u64 v[4:5], v[4:5], 1, s[14:15]
	global_store_short v[4:5], v11, off
.LBB80_89:
	s_or_b64 exec, exec, s[18:19]
	v_cmp_gt_u32_e32 vcc, 48, v0
	s_and_b64 exec, exec, vcc
	s_cbranch_execz .LBB80_113
; %bb.90:
	s_and_saveexec_b64 s[18:19], s[4:5]
	s_xor_b64 s[18:19], exec, s[18:19]
	s_andn2_saveexec_b64 s[18:19], s[18:19]
	s_cbranch_execz .LBB80_92
; %bb.91:
	v_add_u32_e32 v2, v0, v6
	v_lshl_add_u32 v2, v2, 2, 0
	ds_read_b32 v3, v2 offset:64
	ds_read_b32 v2, v2 offset:4224
.LBB80_92:
	s_or_b64 exec, exec, s[18:19]
	s_waitcnt lgkmcnt(1)
	ds_bpermute_b32 v5, v7, v3
	s_waitcnt lgkmcnt(1)
	ds_bpermute_b32 v4, v7, v2
	v_add_u32_e32 v12, 16, v0
	v_mov_b32_e32 v13, 0
	v_lshl_add_u64 v[12:13], s[6:7], 0, v[12:13]
	v_cmp_gt_i64_e32 vcc, s[10:11], v[12:13]
	s_waitcnt lgkmcnt(0)
	v_pk_add_f32 v[2:3], v[2:3], v[4:5]
	ds_bpermute_b32 v5, v8, v3
	ds_bpermute_b32 v4, v8, v2
	s_and_b64 s[20:21], s[2:3], vcc
	s_waitcnt lgkmcnt(0)
	v_pk_add_f32 v[2:3], v[2:3], v[4:5]
	ds_bpermute_b32 v5, v9, v3
	ds_bpermute_b32 v4, v9, v2
	s_waitcnt lgkmcnt(0)
	v_pk_add_f32 v[2:3], v[2:3], v[4:5]
	ds_bpermute_b32 v5, v10, v3
	ds_bpermute_b32 v4, v10, v2
	s_waitcnt lgkmcnt(0)
	v_pk_add_f32 v[2:3], v[2:3], v[4:5]
	s_and_saveexec_b64 s[18:19], s[20:21]
	s_cbranch_execz .LBB80_97
; %bb.93:
	s_andn2_b64 vcc, exec, s[16:17]
	s_cbranch_vccnz .LBB80_95
; %bb.94:
	v_cvt_f16_f32_e32 v11, v3
	v_lshl_add_u64 v[4:5], s[6:7], 0, v[0:1]
	v_lshl_add_u64 v[4:5], v[4:5], 1, s[12:13]
	global_store_short v[4:5], v11, off offset:32
.LBB80_95:
	s_andn2_b64 vcc, exec, s[8:9]
	s_cbranch_vccnz .LBB80_97
; %bb.96:
	v_cvt_f16_f32_e32 v11, v2
	v_lshl_add_u64 v[4:5], s[6:7], 0, v[0:1]
	v_lshl_add_u64 v[4:5], v[4:5], 1, s[14:15]
	global_store_short v[4:5], v11, off offset:32
.LBB80_97:
	s_or_b64 exec, exec, s[18:19]
	v_cmp_gt_u32_e32 vcc, 32, v0
	s_and_b64 exec, exec, vcc
	s_cbranch_execz .LBB80_113
; %bb.98:
	s_and_saveexec_b64 s[18:19], s[4:5]
	s_xor_b64 s[4:5], exec, s[18:19]
	s_andn2_saveexec_b64 s[4:5], s[4:5]
	s_cbranch_execz .LBB80_100
; %bb.99:
	v_add_u32_e32 v2, v0, v6
	v_lshl_add_u32 v2, v2, 2, 0
	ds_read_b32 v3, v2 offset:128
	ds_read_b32 v2, v2 offset:4288
.LBB80_100:
	s_or_b64 exec, exec, s[4:5]
	s_waitcnt lgkmcnt(1)
	ds_bpermute_b32 v5, v7, v3
	s_waitcnt lgkmcnt(1)
	ds_bpermute_b32 v4, v7, v2
	v_add_u32_e32 v11, 32, v0
	v_mov_b32_e32 v13, s7
	v_or_b32_e32 v12, s6, v11
	v_cmp_gt_i64_e32 vcc, s[10:11], v[12:13]
	s_waitcnt lgkmcnt(0)
	v_pk_add_f32 v[2:3], v[2:3], v[4:5]
	ds_bpermute_b32 v5, v8, v3
	ds_bpermute_b32 v4, v8, v2
	s_and_b64 s[18:19], s[2:3], vcc
	s_waitcnt lgkmcnt(0)
	v_pk_add_f32 v[2:3], v[2:3], v[4:5]
	ds_bpermute_b32 v5, v9, v3
	ds_bpermute_b32 v4, v9, v2
	s_waitcnt lgkmcnt(0)
	v_pk_add_f32 v[2:3], v[2:3], v[4:5]
	ds_bpermute_b32 v5, v10, v3
	ds_bpermute_b32 v4, v10, v2
	s_waitcnt lgkmcnt(0)
	v_pk_add_f32 v[2:3], v[2:3], v[4:5]
	s_and_saveexec_b64 s[4:5], s[18:19]
	s_cbranch_execz .LBB80_105
; %bb.101:
	s_andn2_b64 vcc, exec, s[16:17]
	s_cbranch_vccnz .LBB80_103
; %bb.102:
	v_cvt_f16_f32_e32 v11, v3
	v_lshl_add_u64 v[4:5], s[6:7], 0, v[0:1]
	v_lshl_add_u64 v[4:5], v[4:5], 1, s[12:13]
	global_store_short v[4:5], v11, off offset:64
.LBB80_103:
	s_andn2_b64 vcc, exec, s[8:9]
	s_cbranch_vccnz .LBB80_105
; %bb.104:
	v_cvt_f16_f32_e32 v11, v2
	v_lshl_add_u64 v[4:5], s[6:7], 0, v[0:1]
	v_lshl_add_u64 v[4:5], v[4:5], 1, s[14:15]
	global_store_short v[4:5], v11, off offset:64
.LBB80_105:
	s_or_b64 exec, exec, s[4:5]
	v_cmp_gt_u32_e32 vcc, 16, v0
	s_and_b64 exec, exec, vcc
	s_cbranch_execz .LBB80_113
; %bb.106:
	s_and_saveexec_b64 s[4:5], s[0:1]
	s_cbranch_execz .LBB80_108
; %bb.107:
	v_add_u32_e32 v2, v0, v6
	v_lshl_add_u32 v2, v2, 2, 0
	ds_read_b32 v3, v2 offset:192
	ds_read_b32 v2, v2 offset:4352
.LBB80_108:
	s_or_b64 exec, exec, s[4:5]
	s_waitcnt lgkmcnt(1)
	ds_bpermute_b32 v4, v7, v3
	s_waitcnt lgkmcnt(1)
	ds_bpermute_b32 v5, v7, v2
	v_add_u32_e32 v6, 48, v0
	v_or_b32_e32 v6, s6, v6
	v_mov_b32_e32 v7, s7
	s_waitcnt lgkmcnt(1)
	v_add_f32_e32 v3, v3, v4
	s_waitcnt lgkmcnt(0)
	v_add_f32_e32 v2, v2, v5
	ds_bpermute_b32 v4, v8, v3
	ds_bpermute_b32 v5, v8, v2
	v_cmp_gt_i64_e32 vcc, s[10:11], v[6:7]
	s_and_b64 s[0:1], s[2:3], vcc
	s_waitcnt lgkmcnt(1)
	v_add_f32_e32 v3, v3, v4
	s_waitcnt lgkmcnt(0)
	v_add_f32_e32 v2, v2, v5
	ds_bpermute_b32 v4, v9, v3
	ds_bpermute_b32 v5, v9, v2
	s_waitcnt lgkmcnt(1)
	v_add_f32_e32 v4, v3, v4
	s_waitcnt lgkmcnt(0)
	v_add_f32_e32 v2, v2, v5
	ds_bpermute_b32 v5, v10, v4
	ds_bpermute_b32 v3, v10, v2
	s_and_b64 exec, exec, s[0:1]
	s_cbranch_execz .LBB80_113
; %bb.109:
	s_andn2_b64 vcc, exec, s[16:17]
	v_lshl_add_u64 v[0:1], s[6:7], 0, v[0:1]
	s_cbranch_vccnz .LBB80_111
; %bb.110:
	s_waitcnt lgkmcnt(1)
	v_add_f32_e32 v4, v4, v5
	v_cvt_f16_f32_e32 v6, v4
	v_lshl_add_u64 v[4:5], v[0:1], 1, s[12:13]
	global_store_short v[4:5], v6, off offset:96
.LBB80_111:
	s_andn2_b64 vcc, exec, s[8:9]
	s_cbranch_vccnz .LBB80_113
; %bb.112:
	s_waitcnt lgkmcnt(0)
	v_add_f32_e32 v2, v2, v3
	v_cvt_f16_f32_e32 v2, v2
	v_lshl_add_u64 v[0:1], v[0:1], 1, s[14:15]
	global_store_short v[0:1], v2, off offset:96
.LBB80_113:
	s_endpgm
	.section	.rodata,"a",@progbits
	.p2align	6, 0x0
	.amdhsa_kernel _ZN2at6native12_GLOBAL__N_135GammaBetaBackwardCUDAKernelTemplateIN3c104HalfEfLj64ELj16ELj128ELb0ELb0ELb0EEEvllPKT_S7_PKT0_SA_PS5_SB_
		.amdhsa_group_segment_fixed_size 0
		.amdhsa_private_segment_fixed_size 0
		.amdhsa_kernarg_size 320
		.amdhsa_user_sgpr_count 2
		.amdhsa_user_sgpr_dispatch_ptr 0
		.amdhsa_user_sgpr_queue_ptr 0
		.amdhsa_user_sgpr_kernarg_segment_ptr 1
		.amdhsa_user_sgpr_dispatch_id 0
		.amdhsa_user_sgpr_kernarg_preload_length 0
		.amdhsa_user_sgpr_kernarg_preload_offset 0
		.amdhsa_user_sgpr_private_segment_size 0
		.amdhsa_uses_dynamic_stack 0
		.amdhsa_enable_private_segment 0
		.amdhsa_system_sgpr_workgroup_id_x 1
		.amdhsa_system_sgpr_workgroup_id_y 1
		.amdhsa_system_sgpr_workgroup_id_z 0
		.amdhsa_system_sgpr_workgroup_info 0
		.amdhsa_system_vgpr_workitem_id 1
		.amdhsa_next_free_vgpr 105
		.amdhsa_next_free_sgpr 52
		.amdhsa_accum_offset 108
		.amdhsa_reserve_vcc 1
		.amdhsa_float_round_mode_32 0
		.amdhsa_float_round_mode_16_64 0
		.amdhsa_float_denorm_mode_32 3
		.amdhsa_float_denorm_mode_16_64 3
		.amdhsa_dx10_clamp 1
		.amdhsa_ieee_mode 1
		.amdhsa_fp16_overflow 0
		.amdhsa_tg_split 0
		.amdhsa_exception_fp_ieee_invalid_op 0
		.amdhsa_exception_fp_denorm_src 0
		.amdhsa_exception_fp_ieee_div_zero 0
		.amdhsa_exception_fp_ieee_overflow 0
		.amdhsa_exception_fp_ieee_underflow 0
		.amdhsa_exception_fp_ieee_inexact 0
		.amdhsa_exception_int_div_zero 0
	.end_amdhsa_kernel
	.section	.text._ZN2at6native12_GLOBAL__N_135GammaBetaBackwardCUDAKernelTemplateIN3c104HalfEfLj64ELj16ELj128ELb0ELb0ELb0EEEvllPKT_S7_PKT0_SA_PS5_SB_,"axG",@progbits,_ZN2at6native12_GLOBAL__N_135GammaBetaBackwardCUDAKernelTemplateIN3c104HalfEfLj64ELj16ELj128ELb0ELb0ELb0EEEvllPKT_S7_PKT0_SA_PS5_SB_,comdat
.Lfunc_end80:
	.size	_ZN2at6native12_GLOBAL__N_135GammaBetaBackwardCUDAKernelTemplateIN3c104HalfEfLj64ELj16ELj128ELb0ELb0ELb0EEEvllPKT_S7_PKT0_SA_PS5_SB_, .Lfunc_end80-_ZN2at6native12_GLOBAL__N_135GammaBetaBackwardCUDAKernelTemplateIN3c104HalfEfLj64ELj16ELj128ELb0ELb0ELb0EEEvllPKT_S7_PKT0_SA_PS5_SB_
                                        ; -- End function
	.set _ZN2at6native12_GLOBAL__N_135GammaBetaBackwardCUDAKernelTemplateIN3c104HalfEfLj64ELj16ELj128ELb0ELb0ELb0EEEvllPKT_S7_PKT0_SA_PS5_SB_.num_vgpr, 105
	.set _ZN2at6native12_GLOBAL__N_135GammaBetaBackwardCUDAKernelTemplateIN3c104HalfEfLj64ELj16ELj128ELb0ELb0ELb0EEEvllPKT_S7_PKT0_SA_PS5_SB_.num_agpr, 0
	.set _ZN2at6native12_GLOBAL__N_135GammaBetaBackwardCUDAKernelTemplateIN3c104HalfEfLj64ELj16ELj128ELb0ELb0ELb0EEEvllPKT_S7_PKT0_SA_PS5_SB_.numbered_sgpr, 52
	.set _ZN2at6native12_GLOBAL__N_135GammaBetaBackwardCUDAKernelTemplateIN3c104HalfEfLj64ELj16ELj128ELb0ELb0ELb0EEEvllPKT_S7_PKT0_SA_PS5_SB_.num_named_barrier, 0
	.set _ZN2at6native12_GLOBAL__N_135GammaBetaBackwardCUDAKernelTemplateIN3c104HalfEfLj64ELj16ELj128ELb0ELb0ELb0EEEvllPKT_S7_PKT0_SA_PS5_SB_.private_seg_size, 0
	.set _ZN2at6native12_GLOBAL__N_135GammaBetaBackwardCUDAKernelTemplateIN3c104HalfEfLj64ELj16ELj128ELb0ELb0ELb0EEEvllPKT_S7_PKT0_SA_PS5_SB_.uses_vcc, 1
	.set _ZN2at6native12_GLOBAL__N_135GammaBetaBackwardCUDAKernelTemplateIN3c104HalfEfLj64ELj16ELj128ELb0ELb0ELb0EEEvllPKT_S7_PKT0_SA_PS5_SB_.uses_flat_scratch, 0
	.set _ZN2at6native12_GLOBAL__N_135GammaBetaBackwardCUDAKernelTemplateIN3c104HalfEfLj64ELj16ELj128ELb0ELb0ELb0EEEvllPKT_S7_PKT0_SA_PS5_SB_.has_dyn_sized_stack, 0
	.set _ZN2at6native12_GLOBAL__N_135GammaBetaBackwardCUDAKernelTemplateIN3c104HalfEfLj64ELj16ELj128ELb0ELb0ELb0EEEvllPKT_S7_PKT0_SA_PS5_SB_.has_recursion, 0
	.set _ZN2at6native12_GLOBAL__N_135GammaBetaBackwardCUDAKernelTemplateIN3c104HalfEfLj64ELj16ELj128ELb0ELb0ELb0EEEvllPKT_S7_PKT0_SA_PS5_SB_.has_indirect_call, 0
	.section	.AMDGPU.csdata,"",@progbits
; Kernel info:
; codeLenInByte = 8368
; TotalNumSgprs: 58
; NumVgprs: 105
; NumAgprs: 0
; TotalNumVgprs: 105
; ScratchSize: 0
; MemoryBound: 0
; FloatMode: 240
; IeeeMode: 1
; LDSByteSize: 0 bytes/workgroup (compile time only)
; SGPRBlocks: 7
; VGPRBlocks: 13
; NumSGPRsForWavesPerEU: 58
; NumVGPRsForWavesPerEU: 105
; AccumOffset: 108
; Occupancy: 4
; WaveLimiterHint : 0
; COMPUTE_PGM_RSRC2:SCRATCH_EN: 0
; COMPUTE_PGM_RSRC2:USER_SGPR: 2
; COMPUTE_PGM_RSRC2:TRAP_HANDLER: 0
; COMPUTE_PGM_RSRC2:TGID_X_EN: 1
; COMPUTE_PGM_RSRC2:TGID_Y_EN: 1
; COMPUTE_PGM_RSRC2:TGID_Z_EN: 0
; COMPUTE_PGM_RSRC2:TIDIG_COMP_CNT: 1
; COMPUTE_PGM_RSRC3_GFX90A:ACCUM_OFFSET: 26
; COMPUTE_PGM_RSRC3_GFX90A:TG_SPLIT: 0
	.section	.text._ZN2at6native12_GLOBAL__N_135GammaBetaBackwardCUDAKernelTemplateIN3c104HalfEfLj64ELj16ELj256ELb0ELb1ELb0EEEvllPKT_S7_PKT0_SA_PS5_SB_,"axG",@progbits,_ZN2at6native12_GLOBAL__N_135GammaBetaBackwardCUDAKernelTemplateIN3c104HalfEfLj64ELj16ELj256ELb0ELb1ELb0EEEvllPKT_S7_PKT0_SA_PS5_SB_,comdat
	.globl	_ZN2at6native12_GLOBAL__N_135GammaBetaBackwardCUDAKernelTemplateIN3c104HalfEfLj64ELj16ELj256ELb0ELb1ELb0EEEvllPKT_S7_PKT0_SA_PS5_SB_ ; -- Begin function _ZN2at6native12_GLOBAL__N_135GammaBetaBackwardCUDAKernelTemplateIN3c104HalfEfLj64ELj16ELj256ELb0ELb1ELb0EEEvllPKT_S7_PKT0_SA_PS5_SB_
	.p2align	8
	.type	_ZN2at6native12_GLOBAL__N_135GammaBetaBackwardCUDAKernelTemplateIN3c104HalfEfLj64ELj16ELj256ELb0ELb1ELb0EEEvllPKT_S7_PKT0_SA_PS5_SB_,@function
_ZN2at6native12_GLOBAL__N_135GammaBetaBackwardCUDAKernelTemplateIN3c104HalfEfLj64ELj16ELj256ELb0ELb1ELb0EEEvllPKT_S7_PKT0_SA_PS5_SB_: ; @_ZN2at6native12_GLOBAL__N_135GammaBetaBackwardCUDAKernelTemplateIN3c104HalfEfLj64ELj16ELj256ELb0ELb1ELb0EEEvllPKT_S7_PKT0_SA_PS5_SB_
; %bb.0:
	s_load_dwordx4 s[16:19], s[0:1], 0x0
	s_lshl_b32 s20, s3, 8
	s_mov_b32 s21, 0
	v_mov_b64_e32 v[2:3], s[20:21]
	v_bfe_u32 v12, v0, 10, 10
	s_waitcnt lgkmcnt(0)
	v_cmp_gt_i64_e32 vcc, s[16:17], v[2:3]
	s_cbranch_vccnz .LBB81_2
; %bb.1:
	s_mov_b64 s[4:5], 0
	v_bfe_u32 v1, v0, 10, 10
	s_branch .LBB81_3
.LBB81_2:
	s_mov_b64 s[4:5], -1
                                        ; implicit-def: $vgpr1
.LBB81_3:
	s_load_dwordx4 s[12:15], s[0:1], 0x30
	v_mov_b32_e32 v9, 0
	v_and_b32_e32 v10, 0x3ff, v0
	s_andn2_b64 vcc, exec, s[4:5]
	v_mbcnt_lo_u32_b32 v11, -1, 0
	v_mov_b32_e32 v8, v9
	s_cbranch_vccnz .LBB81_11
; %bb.4:
	s_load_dword s3, s[0:1], 0x4c
	s_load_dword s22, s[0:1], 0x44
	s_load_dwordx8 s[4:11], s[0:1], 0x10
	v_lshlrev_b32_e32 v8, 4, v12
	v_mov_b32_e32 v9, 0
	s_waitcnt lgkmcnt(0)
	s_and_b32 s0, s3, 0xffff
	v_mad_u32_u24 v0, v12, s0, v10
	v_and_b32_e32 v0, 63, v0
	v_mov_b32_e32 v1, v9
	v_lshl_add_u64 v[6:7], v[8:9], 0, s[20:21]
	v_cmp_gt_u32_e64 s[0:1], 16, v0
	v_mbcnt_hi_u32_b32 v2, -1, v11
	s_lshl_b32 s22, s22, 8
	v_lshl_add_u64 v[0:1], v[6:7], 0, v[0:1]
	v_mul_lo_u32 v8, s19, v6
	v_mul_lo_u32 v29, s18, v7
	v_mad_u64_u32 v[6:7], s[26:27], s18, v6, 0
	v_lshl_add_u32 v4, s2, 6, v10
	v_mov_b32_e32 v5, v9
	v_lshlrev_b32_e32 v2, 2, v2
	s_mul_i32 s3, s19, s22
	s_mul_hi_u32 s26, s18, s22
	s_mov_b32 s23, 0
	v_and_b32_e32 v13, 0x100, v2
	v_add3_u32 v7, v7, v29, v8
	v_lshlrev_b64 v[4:5], 1, v[4:5]
	s_add_i32 s27, s26, s3
	s_mul_i32 s26, s18, s22
	v_or_b32_e32 v14, 4, v13
	v_or_b32_e32 v15, 8, v13
	;; [unrolled: 1-line block ×15, first 2 shown]
	v_lshlrev_b64 v[2:3], 2, v[0:1]
	s_lshl_b64 s[24:25], s[22:23], 2
	v_lshl_add_u64 v[4:5], v[6:7], 1, v[4:5]
	s_lshl_b64 s[26:27], s[26:27], 1
	s_lshl_b64 s[18:19], s[18:19], 1
	v_mov_b64_e32 v[6:7], s[16:17]
	v_mov_b32_e32 v8, v9
	s_branch .LBB81_7
.LBB81_5:                               ;   in Loop: Header=BB81_7 Depth=1
	s_or_b64 exec, exec, s[30:31]
.LBB81_6:                               ;   in Loop: Header=BB81_7 Depth=1
	s_or_b64 exec, exec, s[28:29]
	v_lshl_add_u64 v[32:33], s[6:7], 0, v[4:5]
	global_load_ushort v31, v[32:33], off
	v_lshl_add_u64 v[34:35], s[4:5], 0, v[4:5]
	global_load_ushort v36, v[34:35], off
	;; [unrolled: 2-line block ×10, first 2 shown]
	s_waitcnt vmcnt(11)
	ds_bpermute_b32 v46, v13, v30
	s_waitcnt vmcnt(10)
	ds_bpermute_b32 v37, v13, v29
	ds_bpermute_b32 v48, v14, v30
	v_lshl_add_u64 v[32:33], v[32:33], 0, s[18:19]
	v_lshl_add_u64 v[34:35], v[34:35], 0, s[18:19]
	ds_bpermute_b32 v47, v14, v29
	ds_bpermute_b32 v50, v15, v30
	;; [unrolled: 1-line block ×7, first 2 shown]
	s_add_u32 s20, s20, s22
	s_addc_u32 s21, s21, 0
	v_cmp_lt_i64_e32 vcc, s[20:21], v[6:7]
	v_lshl_add_u64 v[2:3], v[2:3], 0, s[24:25]
	v_lshl_add_u64 v[0:1], v[0:1], 0, s[22:23]
	;; [unrolled: 1-line block ×3, first 2 shown]
	s_and_b64 vcc, exec, vcc
	s_waitcnt vmcnt(9)
	v_cvt_f32_f16_e32 v31, v31
	s_waitcnt vmcnt(8)
	v_cvt_f32_f16_e32 v36, v36
	;; [unrolled: 2-line block ×3, first 2 shown]
	s_waitcnt lgkmcnt(9)
	v_sub_f32_e32 v31, v31, v46
	v_mul_f32_e32 v31, v31, v36
	s_waitcnt lgkmcnt(8)
	v_mul_f32_e32 v37, v31, v37
	global_load_ushort v31, v[32:33], off
	global_load_ushort v46, v[34:35], off
	s_waitcnt vmcnt(8)
	v_cvt_f32_f16_e32 v38, v39
	v_lshl_add_u64 v[32:33], v[32:33], 0, s[18:19]
	s_waitcnt lgkmcnt(7)
	v_sub_f32_e32 v39, v55, v48
	v_lshl_add_u64 v[34:35], v[34:35], 0, s[18:19]
	global_load_ushort v48, v[32:33], off
	v_mul_f32_e32 v39, v39, v38
	s_waitcnt lgkmcnt(6)
	v_mul_f32_e32 v39, v39, v47
	global_load_ushort v47, v[34:35], off
	v_lshl_add_u64 v[32:33], v[32:33], 0, s[18:19]
	v_lshl_add_u64 v[34:35], v[34:35], 0, s[18:19]
	global_load_ushort v55, v[32:33], off
	global_load_ushort v56, v[34:35], off
	v_lshl_add_u64 v[32:33], v[32:33], 0, s[18:19]
	v_pk_add_f32 v[8:9], v[8:9], v[36:37]
	s_waitcnt vmcnt(11)
	v_cvt_f32_f16_e32 v37, v40
	global_load_ushort v40, v[32:33], off
	v_lshl_add_u64 v[34:35], v[34:35], 0, s[18:19]
	s_waitcnt vmcnt(11)
	v_cvt_f32_f16_e32 v36, v41
	global_load_ushort v41, v[34:35], off
	s_waitcnt lgkmcnt(5)
	v_sub_f32_e32 v37, v37, v50
	v_lshl_add_u64 v[32:33], v[32:33], 0, s[18:19]
	v_mul_f32_e32 v37, v37, v36
	s_waitcnt lgkmcnt(4)
	v_mul_f32_e32 v37, v37, v49
	v_lshl_add_u64 v[34:35], v[34:35], 0, s[18:19]
	global_load_ushort v49, v[32:33], off
	global_load_ushort v50, v[34:35], off
	v_pk_add_f32 v[8:9], v[8:9], v[38:39]
	s_waitcnt vmcnt(13)
	v_cvt_f32_f16_e32 v39, v42
	v_lshl_add_u64 v[32:33], v[32:33], 0, s[18:19]
	v_lshl_add_u64 v[34:35], v[34:35], 0, s[18:19]
	s_waitcnt vmcnt(12)
	v_cvt_f32_f16_e32 v38, v43
	global_load_ushort v42, v[32:33], off
	global_load_ushort v43, v[34:35], off
	s_waitcnt lgkmcnt(3)
	v_sub_f32_e32 v39, v39, v52
	v_mul_f32_e32 v39, v39, v38
	v_lshl_add_u64 v[32:33], v[32:33], 0, s[18:19]
	s_waitcnt lgkmcnt(2)
	v_mul_f32_e32 v39, v39, v51
	v_lshl_add_u64 v[34:35], v[34:35], 0, s[18:19]
	global_load_ushort v51, v[32:33], off
	v_pk_add_f32 v[8:9], v[8:9], v[36:37]
	s_waitcnt vmcnt(14)
	v_cvt_f32_f16_e32 v37, v44
	global_load_ushort v52, v[34:35], off
	s_waitcnt vmcnt(14)
	v_cvt_f32_f16_e32 v36, v45
	v_lshl_add_u64 v[32:33], v[32:33], 0, s[18:19]
	s_waitcnt lgkmcnt(1)
	v_sub_f32_e32 v37, v37, v54
	global_load_ushort v45, v[32:33], off
	v_lshl_add_u64 v[34:35], v[34:35], 0, s[18:19]
	v_mul_f32_e32 v37, v37, v36
	s_waitcnt lgkmcnt(0)
	v_mul_f32_e32 v37, v37, v53
	global_load_ushort v53, v[34:35], off
	v_lshl_add_u64 v[32:33], v[32:33], 0, s[18:19]
	v_lshl_add_u64 v[34:35], v[34:35], 0, s[18:19]
	global_load_ushort v54, v[32:33], off
	global_load_ushort v57, v[34:35], off
	v_lshl_add_u64 v[32:33], v[32:33], 0, s[18:19]
	global_load_ushort v60, v[32:33], off
	v_lshl_add_u64 v[34:35], v[34:35], 0, s[18:19]
	v_lshl_add_u64 v[32:33], v[32:33], 0, s[18:19]
	global_load_ushort v58, v[34:35], off
	v_lshl_add_u64 v[34:35], v[34:35], 0, s[18:19]
	global_load_ushort v61, v[32:33], off
	global_load_ushort v59, v[34:35], off
	ds_bpermute_b32 v33, v18, v30
	ds_bpermute_b32 v34, v18, v29
	v_pk_add_f32 v[8:9], v[8:9], v[38:39]
	ds_bpermute_b32 v38, v20, v30
	v_pk_add_f32 v[8:9], v[8:9], v[36:37]
	ds_bpermute_b32 v36, v19, v30
	ds_bpermute_b32 v44, v22, v30
	s_waitcnt vmcnt(21)
	v_cvt_f32_f16_e32 v31, v31
	s_waitcnt vmcnt(20)
	v_cvt_f32_f16_e32 v32, v46
	s_waitcnt lgkmcnt(4)
	v_sub_f32_e32 v31, v31, v33
	v_mul_f32_e32 v31, v31, v32
	s_waitcnt vmcnt(19)
	v_cvt_f32_f16_e32 v35, v48
	s_waitcnt lgkmcnt(3)
	v_mul_f32_e32 v33, v31, v34
	ds_bpermute_b32 v31, v19, v29
	s_waitcnt vmcnt(18)
	v_cvt_f32_f16_e32 v34, v47
	s_waitcnt lgkmcnt(2)
	v_sub_f32_e32 v35, v35, v36
	v_pk_add_f32 v[8:9], v[8:9], v[32:33]
	s_waitcnt vmcnt(17)
	v_cvt_f32_f16_e32 v37, v55
	v_mul_f32_e32 v35, v35, v34
	s_waitcnt lgkmcnt(0)
	v_mul_f32_e32 v35, v35, v31
	s_waitcnt vmcnt(16)
	v_cvt_f32_f16_e32 v36, v56
	ds_bpermute_b32 v31, v20, v29
	s_waitcnt vmcnt(15)
	v_cvt_f32_f16_e32 v39, v40
	v_sub_f32_e32 v37, v37, v38
	ds_bpermute_b32 v40, v21, v30
	v_mul_f32_e32 v37, v37, v36
	s_waitcnt lgkmcnt(1)
	v_mul_f32_e32 v37, v37, v31
	s_waitcnt vmcnt(14)
	v_cvt_f32_f16_e32 v38, v41
	ds_bpermute_b32 v31, v21, v29
	s_waitcnt lgkmcnt(1)
	v_sub_f32_e32 v39, v39, v40
	v_pk_add_f32 v[8:9], v[8:9], v[34:35]
	s_waitcnt vmcnt(13)
	v_cvt_f32_f16_e32 v41, v49
	v_mul_f32_e32 v39, v39, v38
	s_waitcnt lgkmcnt(0)
	v_mul_f32_e32 v39, v39, v31
	s_waitcnt vmcnt(12)
	v_cvt_f32_f16_e32 v40, v50
	ds_bpermute_b32 v31, v22, v29
	v_sub_f32_e32 v41, v41, v44
	ds_bpermute_b32 v44, v23, v30
	s_waitcnt vmcnt(11)
	v_cvt_f32_f16_e32 v46, v42
	v_mul_f32_e32 v41, v41, v40
	s_waitcnt lgkmcnt(1)
	v_mul_f32_e32 v41, v41, v31
	s_waitcnt vmcnt(10)
	v_cvt_f32_f16_e32 v42, v43
	ds_bpermute_b32 v31, v23, v29
	s_waitcnt lgkmcnt(1)
	v_sub_f32_e32 v43, v46, v44
	ds_bpermute_b32 v46, v24, v30
	s_waitcnt vmcnt(9)
	v_cvt_f32_f16_e32 v47, v51
	v_mul_f32_e32 v43, v43, v42
	s_waitcnt lgkmcnt(1)
	v_mul_f32_e32 v43, v43, v31
	s_waitcnt vmcnt(8)
	v_cvt_f32_f16_e32 v44, v52
	ds_bpermute_b32 v31, v24, v29
	ds_bpermute_b32 v50, v26, v30
	;; [unrolled: 1-line block ×3, first 2 shown]
	s_waitcnt vmcnt(7)
	v_cvt_f32_f16_e32 v48, v45
	s_waitcnt lgkmcnt(3)
	v_sub_f32_e32 v45, v47, v46
	ds_bpermute_b32 v47, v25, v30
	v_mul_f32_e32 v45, v45, v44
	s_waitcnt lgkmcnt(3)
	v_mul_f32_e32 v45, v45, v31
	s_waitcnt vmcnt(6)
	v_cvt_f32_f16_e32 v46, v53
	ds_bpermute_b32 v31, v25, v29
	s_waitcnt lgkmcnt(1)
	v_sub_f32_e32 v47, v48, v47
	s_waitcnt vmcnt(5)
	v_cvt_f32_f16_e32 v49, v54
	v_mul_f32_e32 v47, v47, v46
	s_waitcnt vmcnt(4)
	v_cvt_f32_f16_e32 v48, v57
	s_waitcnt lgkmcnt(0)
	v_mul_f32_e32 v47, v47, v31
	ds_bpermute_b32 v31, v26, v29
	s_waitcnt vmcnt(3)
	v_cvt_f32_f16_e32 v51, v60
	v_sub_f32_e32 v49, v49, v50
	v_mul_f32_e32 v49, v49, v48
	v_pk_add_f32 v[8:9], v[8:9], v[36:37]
	ds_bpermute_b32 v30, v28, v30
	s_waitcnt lgkmcnt(1)
	v_mul_f32_e32 v49, v49, v31
	s_waitcnt vmcnt(2)
	v_cvt_f32_f16_e32 v50, v58
	ds_bpermute_b32 v31, v27, v29
	s_waitcnt vmcnt(1)
	v_cvt_f32_f16_e32 v53, v61
	v_pk_add_f32 v[8:9], v[8:9], v[38:39]
	v_sub_f32_e32 v51, v51, v52
	s_waitcnt vmcnt(0)
	v_cvt_f32_f16_e32 v52, v59
	v_pk_add_f32 v[8:9], v[8:9], v[40:41]
	ds_bpermute_b32 v29, v28, v29
	v_pk_add_f32 v[8:9], v[8:9], v[42:43]
	v_mul_f32_e32 v51, v51, v50
	v_pk_add_f32 v[8:9], v[8:9], v[44:45]
	s_waitcnt lgkmcnt(2)
	v_sub_f32_e32 v30, v53, v30
	v_pk_add_f32 v[8:9], v[8:9], v[46:47]
	s_waitcnt lgkmcnt(1)
	v_mul_f32_e32 v51, v51, v31
	v_pk_add_f32 v[8:9], v[8:9], v[48:49]
	v_mul_f32_e32 v30, v30, v52
	v_pk_add_f32 v[8:9], v[8:9], v[50:51]
	s_waitcnt lgkmcnt(0)
	v_mul_f32_e32 v53, v30, v29
	v_pk_add_f32 v[8:9], v[8:9], v[52:53]
	s_cbranch_vccz .LBB81_10
.LBB81_7:                               ; =>This Inner Loop Header: Depth=1
	v_mov_b32_e32 v29, 0
	v_mov_b32_e32 v30, 0
	s_and_saveexec_b64 s[28:29], s[0:1]
	s_cbranch_execz .LBB81_6
; %bb.8:                                ;   in Loop: Header=BB81_7 Depth=1
	v_cmp_gt_i64_e32 vcc, s[16:17], v[0:1]
	v_mov_b32_e32 v30, 0
	v_mov_b32_e32 v29, 0
	s_and_saveexec_b64 s[30:31], vcc
	s_cbranch_execz .LBB81_5
; %bb.9:                                ;   in Loop: Header=BB81_7 Depth=1
	v_lshl_add_u64 v[34:35], s[8:9], 0, v[2:3]
	v_lshl_add_u64 v[32:33], s[10:11], 0, v[2:3]
	global_load_dword v30, v[34:35], off
	global_load_dword v29, v[32:33], off
	s_branch .LBB81_5
.LBB81_10:
	v_mov_b32_e32 v1, v12
.LBB81_11:
	s_movk_i32 s0, 0x41
	v_mad_u32_u24 v0, v1, s0, v10
	v_lshl_add_u32 v0, v0, 2, 0
	ds_write_b32 v0, v9
	ds_write_b32 v0, v8 offset:4160
	v_lshrrev_b32_e32 v0, 6, v10
	v_add_u32_e32 v0, v0, v1
	v_cmp_gt_u32_e32 vcc, 64, v0
	s_waitcnt lgkmcnt(0)
	s_barrier
	s_and_saveexec_b64 s[0:1], vcc
	s_cbranch_execz .LBB81_43
; %bb.12:
	v_and_b32_e32 v1, 63, v10
	v_cmp_lt_u32_e64 s[4:5], 15, v1
	v_cmp_gt_u32_e64 s[0:1], 16, v1
	v_mul_u32_u24_e32 v6, 0x41, v1
                                        ; implicit-def: $vgpr2
	s_and_saveexec_b64 s[6:7], s[0:1]
	s_cbranch_execz .LBB81_14
; %bb.13:
	v_add_u32_e32 v1, v0, v6
	v_lshl_add_u32 v1, v1, 2, 0
	ds_read_b32 v3, v1
	ds_read_b32 v2, v1 offset:4160
.LBB81_14:
	s_or_b64 exec, exec, s[6:7]
	v_mbcnt_hi_u32_b32 v1, -1, v11
	v_and_b32_e32 v4, 64, v1
	v_add_u32_e32 v11, 64, v4
	v_xor_b32_e32 v4, 8, v1
	v_cmp_lt_i32_e32 vcc, v4, v11
	v_xor_b32_e32 v8, 4, v1
	v_xor_b32_e32 v9, 2, v1
	v_cndmask_b32_e32 v4, v1, v4, vcc
	v_lshlrev_b32_e32 v7, 2, v4
	s_waitcnt lgkmcnt(1)
	ds_bpermute_b32 v5, v7, v3
	s_waitcnt lgkmcnt(1)
	ds_bpermute_b32 v4, v7, v2
	v_cmp_lt_i32_e32 vcc, v8, v11
	s_mov_b32 s3, 0
	s_lshl_b64 s[6:7], s[2:3], 6
	v_cndmask_b32_e32 v8, v1, v8, vcc
	v_lshlrev_b32_e32 v8, 2, v8
	s_waitcnt lgkmcnt(0)
	v_pk_add_f32 v[2:3], v[2:3], v[4:5]
	ds_bpermute_b32 v5, v8, v3
	ds_bpermute_b32 v4, v8, v2
	v_cmp_lt_i32_e32 vcc, v9, v11
	v_cmp_eq_u32_e64 s[2:3], 0, v10
	s_cmp_lg_u64 s[12:13], 0
	v_cndmask_b32_e32 v9, v1, v9, vcc
	v_lshlrev_b32_e32 v9, 2, v9
	s_waitcnt lgkmcnt(0)
	v_pk_add_f32 v[2:3], v[2:3], v[4:5]
	ds_bpermute_b32 v5, v9, v3
	ds_bpermute_b32 v4, v9, v2
	s_cselect_b64 s[10:11], -1, 0
	s_cmp_lg_u64 s[14:15], 0
	s_cselect_b64 s[8:9], -1, 0
	s_waitcnt lgkmcnt(0)
	v_pk_add_f32 v[2:3], v[2:3], v[4:5]
	v_xor_b32_e32 v4, 1, v1
	v_cmp_lt_i32_e32 vcc, v4, v11
	s_nop 1
	v_cndmask_b32_e32 v1, v1, v4, vcc
	v_lshlrev_b32_e32 v10, 2, v1
	ds_bpermute_b32 v5, v10, v3
	ds_bpermute_b32 v4, v10, v2
	v_mov_b32_e32 v1, 0
	s_waitcnt lgkmcnt(0)
	v_pk_add_f32 v[2:3], v[2:3], v[4:5]
	s_and_saveexec_b64 s[16:17], s[2:3]
	s_cbranch_execz .LBB81_19
; %bb.15:
	v_mov_b32_e32 v5, s7
	s_andn2_b64 vcc, exec, s[10:11]
	v_or_b32_e32 v4, s6, v0
	s_cbranch_vccnz .LBB81_17
; %bb.16:
	v_cvt_f16_f32_e32 v11, v3
	v_lshl_add_u64 v[12:13], v[4:5], 1, s[12:13]
	global_store_short v[12:13], v11, off
.LBB81_17:
	s_andn2_b64 vcc, exec, s[8:9]
	s_cbranch_vccnz .LBB81_19
; %bb.18:
	v_cvt_f16_f32_e32 v11, v2
	v_lshl_add_u64 v[4:5], v[4:5], 1, s[14:15]
	global_store_short v[4:5], v11, off
.LBB81_19:
	s_or_b64 exec, exec, s[16:17]
	v_cmp_gt_u32_e32 vcc, 48, v0
	s_and_b64 exec, exec, vcc
	s_cbranch_execz .LBB81_43
; %bb.20:
	s_and_saveexec_b64 s[16:17], s[4:5]
	s_xor_b64 s[16:17], exec, s[16:17]
	s_andn2_saveexec_b64 s[16:17], s[16:17]
	s_cbranch_execz .LBB81_22
; %bb.21:
	v_add_u32_e32 v2, v0, v6
	v_lshl_add_u32 v2, v2, 2, 0
	ds_read_b32 v3, v2 offset:64
	ds_read_b32 v2, v2 offset:4224
.LBB81_22:
	s_or_b64 exec, exec, s[16:17]
	s_waitcnt lgkmcnt(1)
	ds_bpermute_b32 v5, v7, v3
	s_waitcnt lgkmcnt(1)
	ds_bpermute_b32 v4, v7, v2
	s_waitcnt lgkmcnt(0)
	v_pk_add_f32 v[2:3], v[2:3], v[4:5]
	ds_bpermute_b32 v5, v8, v3
	ds_bpermute_b32 v4, v8, v2
	s_waitcnt lgkmcnt(0)
	v_pk_add_f32 v[2:3], v[2:3], v[4:5]
	ds_bpermute_b32 v5, v9, v3
	;; [unrolled: 4-line block ×3, first 2 shown]
	ds_bpermute_b32 v4, v10, v2
	s_waitcnt lgkmcnt(0)
	v_pk_add_f32 v[2:3], v[2:3], v[4:5]
	s_and_saveexec_b64 s[16:17], s[2:3]
	s_cbranch_execz .LBB81_27
; %bb.23:
	s_andn2_b64 vcc, exec, s[10:11]
	s_cbranch_vccnz .LBB81_25
; %bb.24:
	v_cvt_f16_f32_e32 v11, v3
	v_lshl_add_u64 v[4:5], s[6:7], 0, v[0:1]
	v_lshl_add_u64 v[4:5], v[4:5], 1, s[12:13]
	global_store_short v[4:5], v11, off offset:32
.LBB81_25:
	s_andn2_b64 vcc, exec, s[8:9]
	s_cbranch_vccnz .LBB81_27
; %bb.26:
	v_cvt_f16_f32_e32 v11, v2
	v_lshl_add_u64 v[4:5], s[6:7], 0, v[0:1]
	v_lshl_add_u64 v[4:5], v[4:5], 1, s[14:15]
	global_store_short v[4:5], v11, off offset:32
.LBB81_27:
	s_or_b64 exec, exec, s[16:17]
	v_cmp_gt_u32_e32 vcc, 32, v0
	s_and_b64 exec, exec, vcc
	s_cbranch_execz .LBB81_43
; %bb.28:
	s_and_saveexec_b64 s[16:17], s[4:5]
	s_xor_b64 s[4:5], exec, s[16:17]
	s_andn2_saveexec_b64 s[4:5], s[4:5]
	s_cbranch_execz .LBB81_30
; %bb.29:
	v_add_u32_e32 v2, v0, v6
	v_lshl_add_u32 v2, v2, 2, 0
	ds_read_b32 v3, v2 offset:128
	ds_read_b32 v2, v2 offset:4288
.LBB81_30:
	s_or_b64 exec, exec, s[4:5]
	s_waitcnt lgkmcnt(1)
	ds_bpermute_b32 v5, v7, v3
	s_waitcnt lgkmcnt(1)
	ds_bpermute_b32 v4, v7, v2
	s_waitcnt lgkmcnt(0)
	v_pk_add_f32 v[2:3], v[2:3], v[4:5]
	ds_bpermute_b32 v5, v8, v3
	ds_bpermute_b32 v4, v8, v2
	s_waitcnt lgkmcnt(0)
	v_pk_add_f32 v[2:3], v[2:3], v[4:5]
	ds_bpermute_b32 v5, v9, v3
	;; [unrolled: 4-line block ×3, first 2 shown]
	ds_bpermute_b32 v4, v10, v2
	s_waitcnt lgkmcnt(0)
	v_pk_add_f32 v[2:3], v[2:3], v[4:5]
	s_and_saveexec_b64 s[4:5], s[2:3]
	s_cbranch_execz .LBB81_35
; %bb.31:
	s_andn2_b64 vcc, exec, s[10:11]
	s_cbranch_vccnz .LBB81_33
; %bb.32:
	v_cvt_f16_f32_e32 v11, v3
	v_lshl_add_u64 v[4:5], s[6:7], 0, v[0:1]
	v_lshl_add_u64 v[4:5], v[4:5], 1, s[12:13]
	global_store_short v[4:5], v11, off offset:64
.LBB81_33:
	s_andn2_b64 vcc, exec, s[8:9]
	s_cbranch_vccnz .LBB81_35
; %bb.34:
	v_cvt_f16_f32_e32 v11, v2
	v_lshl_add_u64 v[4:5], s[6:7], 0, v[0:1]
	v_lshl_add_u64 v[4:5], v[4:5], 1, s[14:15]
	global_store_short v[4:5], v11, off offset:64
.LBB81_35:
	s_or_b64 exec, exec, s[4:5]
	v_cmp_gt_u32_e32 vcc, 16, v0
	s_and_b64 exec, exec, vcc
	s_cbranch_execz .LBB81_43
; %bb.36:
	s_and_saveexec_b64 s[4:5], s[0:1]
	s_cbranch_execz .LBB81_38
; %bb.37:
	v_add_u32_e32 v2, v0, v6
	v_lshl_add_u32 v2, v2, 2, 0
	ds_read_b32 v3, v2 offset:192
	ds_read_b32 v2, v2 offset:4352
.LBB81_38:
	s_or_b64 exec, exec, s[4:5]
	s_waitcnt lgkmcnt(1)
	ds_bpermute_b32 v4, v7, v3
	s_waitcnt lgkmcnt(1)
	ds_bpermute_b32 v5, v7, v2
	s_waitcnt lgkmcnt(1)
	v_add_f32_e32 v3, v3, v4
	s_waitcnt lgkmcnt(0)
	v_add_f32_e32 v2, v2, v5
	ds_bpermute_b32 v4, v8, v3
	ds_bpermute_b32 v5, v8, v2
	s_waitcnt lgkmcnt(1)
	v_add_f32_e32 v3, v3, v4
	s_waitcnt lgkmcnt(0)
	v_add_f32_e32 v2, v2, v5
	ds_bpermute_b32 v4, v9, v3
	;; [unrolled: 6-line block ×3, first 2 shown]
	ds_bpermute_b32 v3, v10, v2
	s_and_b64 exec, exec, s[2:3]
	s_cbranch_execz .LBB81_43
; %bb.39:
	s_andn2_b64 vcc, exec, s[10:11]
	v_lshl_add_u64 v[0:1], s[6:7], 0, v[0:1]
	s_cbranch_vccnz .LBB81_41
; %bb.40:
	s_waitcnt lgkmcnt(1)
	v_add_f32_e32 v4, v4, v5
	v_cvt_f16_f32_e32 v6, v4
	v_lshl_add_u64 v[4:5], v[0:1], 1, s[12:13]
	global_store_short v[4:5], v6, off offset:96
.LBB81_41:
	s_andn2_b64 vcc, exec, s[8:9]
	s_cbranch_vccnz .LBB81_43
; %bb.42:
	s_waitcnt lgkmcnt(0)
	v_add_f32_e32 v2, v2, v3
	v_cvt_f16_f32_e32 v2, v2
	v_lshl_add_u64 v[0:1], v[0:1], 1, s[14:15]
	global_store_short v[0:1], v2, off offset:96
.LBB81_43:
	s_endpgm
	.section	.rodata,"a",@progbits
	.p2align	6, 0x0
	.amdhsa_kernel _ZN2at6native12_GLOBAL__N_135GammaBetaBackwardCUDAKernelTemplateIN3c104HalfEfLj64ELj16ELj256ELb0ELb1ELb0EEEvllPKT_S7_PKT0_SA_PS5_SB_
		.amdhsa_group_segment_fixed_size 0
		.amdhsa_private_segment_fixed_size 0
		.amdhsa_kernarg_size 320
		.amdhsa_user_sgpr_count 2
		.amdhsa_user_sgpr_dispatch_ptr 0
		.amdhsa_user_sgpr_queue_ptr 0
		.amdhsa_user_sgpr_kernarg_segment_ptr 1
		.amdhsa_user_sgpr_dispatch_id 0
		.amdhsa_user_sgpr_kernarg_preload_length 0
		.amdhsa_user_sgpr_kernarg_preload_offset 0
		.amdhsa_user_sgpr_private_segment_size 0
		.amdhsa_uses_dynamic_stack 0
		.amdhsa_enable_private_segment 0
		.amdhsa_system_sgpr_workgroup_id_x 1
		.amdhsa_system_sgpr_workgroup_id_y 1
		.amdhsa_system_sgpr_workgroup_id_z 0
		.amdhsa_system_sgpr_workgroup_info 0
		.amdhsa_system_vgpr_workitem_id 1
		.amdhsa_next_free_vgpr 62
		.amdhsa_next_free_sgpr 32
		.amdhsa_accum_offset 64
		.amdhsa_reserve_vcc 1
		.amdhsa_float_round_mode_32 0
		.amdhsa_float_round_mode_16_64 0
		.amdhsa_float_denorm_mode_32 3
		.amdhsa_float_denorm_mode_16_64 3
		.amdhsa_dx10_clamp 1
		.amdhsa_ieee_mode 1
		.amdhsa_fp16_overflow 0
		.amdhsa_tg_split 0
		.amdhsa_exception_fp_ieee_invalid_op 0
		.amdhsa_exception_fp_denorm_src 0
		.amdhsa_exception_fp_ieee_div_zero 0
		.amdhsa_exception_fp_ieee_overflow 0
		.amdhsa_exception_fp_ieee_underflow 0
		.amdhsa_exception_fp_ieee_inexact 0
		.amdhsa_exception_int_div_zero 0
	.end_amdhsa_kernel
	.section	.text._ZN2at6native12_GLOBAL__N_135GammaBetaBackwardCUDAKernelTemplateIN3c104HalfEfLj64ELj16ELj256ELb0ELb1ELb0EEEvllPKT_S7_PKT0_SA_PS5_SB_,"axG",@progbits,_ZN2at6native12_GLOBAL__N_135GammaBetaBackwardCUDAKernelTemplateIN3c104HalfEfLj64ELj16ELj256ELb0ELb1ELb0EEEvllPKT_S7_PKT0_SA_PS5_SB_,comdat
.Lfunc_end81:
	.size	_ZN2at6native12_GLOBAL__N_135GammaBetaBackwardCUDAKernelTemplateIN3c104HalfEfLj64ELj16ELj256ELb0ELb1ELb0EEEvllPKT_S7_PKT0_SA_PS5_SB_, .Lfunc_end81-_ZN2at6native12_GLOBAL__N_135GammaBetaBackwardCUDAKernelTemplateIN3c104HalfEfLj64ELj16ELj256ELb0ELb1ELb0EEEvllPKT_S7_PKT0_SA_PS5_SB_
                                        ; -- End function
	.set _ZN2at6native12_GLOBAL__N_135GammaBetaBackwardCUDAKernelTemplateIN3c104HalfEfLj64ELj16ELj256ELb0ELb1ELb0EEEvllPKT_S7_PKT0_SA_PS5_SB_.num_vgpr, 62
	.set _ZN2at6native12_GLOBAL__N_135GammaBetaBackwardCUDAKernelTemplateIN3c104HalfEfLj64ELj16ELj256ELb0ELb1ELb0EEEvllPKT_S7_PKT0_SA_PS5_SB_.num_agpr, 0
	.set _ZN2at6native12_GLOBAL__N_135GammaBetaBackwardCUDAKernelTemplateIN3c104HalfEfLj64ELj16ELj256ELb0ELb1ELb0EEEvllPKT_S7_PKT0_SA_PS5_SB_.numbered_sgpr, 32
	.set _ZN2at6native12_GLOBAL__N_135GammaBetaBackwardCUDAKernelTemplateIN3c104HalfEfLj64ELj16ELj256ELb0ELb1ELb0EEEvllPKT_S7_PKT0_SA_PS5_SB_.num_named_barrier, 0
	.set _ZN2at6native12_GLOBAL__N_135GammaBetaBackwardCUDAKernelTemplateIN3c104HalfEfLj64ELj16ELj256ELb0ELb1ELb0EEEvllPKT_S7_PKT0_SA_PS5_SB_.private_seg_size, 0
	.set _ZN2at6native12_GLOBAL__N_135GammaBetaBackwardCUDAKernelTemplateIN3c104HalfEfLj64ELj16ELj256ELb0ELb1ELb0EEEvllPKT_S7_PKT0_SA_PS5_SB_.uses_vcc, 1
	.set _ZN2at6native12_GLOBAL__N_135GammaBetaBackwardCUDAKernelTemplateIN3c104HalfEfLj64ELj16ELj256ELb0ELb1ELb0EEEvllPKT_S7_PKT0_SA_PS5_SB_.uses_flat_scratch, 0
	.set _ZN2at6native12_GLOBAL__N_135GammaBetaBackwardCUDAKernelTemplateIN3c104HalfEfLj64ELj16ELj256ELb0ELb1ELb0EEEvllPKT_S7_PKT0_SA_PS5_SB_.has_dyn_sized_stack, 0
	.set _ZN2at6native12_GLOBAL__N_135GammaBetaBackwardCUDAKernelTemplateIN3c104HalfEfLj64ELj16ELj256ELb0ELb1ELb0EEEvllPKT_S7_PKT0_SA_PS5_SB_.has_recursion, 0
	.set _ZN2at6native12_GLOBAL__N_135GammaBetaBackwardCUDAKernelTemplateIN3c104HalfEfLj64ELj16ELj256ELb0ELb1ELb0EEEvllPKT_S7_PKT0_SA_PS5_SB_.has_indirect_call, 0
	.section	.AMDGPU.csdata,"",@progbits
; Kernel info:
; codeLenInByte = 3212
; TotalNumSgprs: 38
; NumVgprs: 62
; NumAgprs: 0
; TotalNumVgprs: 62
; ScratchSize: 0
; MemoryBound: 0
; FloatMode: 240
; IeeeMode: 1
; LDSByteSize: 0 bytes/workgroup (compile time only)
; SGPRBlocks: 4
; VGPRBlocks: 7
; NumSGPRsForWavesPerEU: 38
; NumVGPRsForWavesPerEU: 62
; AccumOffset: 64
; Occupancy: 8
; WaveLimiterHint : 0
; COMPUTE_PGM_RSRC2:SCRATCH_EN: 0
; COMPUTE_PGM_RSRC2:USER_SGPR: 2
; COMPUTE_PGM_RSRC2:TRAP_HANDLER: 0
; COMPUTE_PGM_RSRC2:TGID_X_EN: 1
; COMPUTE_PGM_RSRC2:TGID_Y_EN: 1
; COMPUTE_PGM_RSRC2:TGID_Z_EN: 0
; COMPUTE_PGM_RSRC2:TIDIG_COMP_CNT: 1
; COMPUTE_PGM_RSRC3_GFX90A:ACCUM_OFFSET: 15
; COMPUTE_PGM_RSRC3_GFX90A:TG_SPLIT: 0
	.section	.text._ZN2at6native12_GLOBAL__N_135GammaBetaBackwardCUDAKernelTemplateIN3c104HalfEfLj64ELj16ELj256ELb0ELb0ELb0EEEvllPKT_S7_PKT0_SA_PS5_SB_,"axG",@progbits,_ZN2at6native12_GLOBAL__N_135GammaBetaBackwardCUDAKernelTemplateIN3c104HalfEfLj64ELj16ELj256ELb0ELb0ELb0EEEvllPKT_S7_PKT0_SA_PS5_SB_,comdat
	.globl	_ZN2at6native12_GLOBAL__N_135GammaBetaBackwardCUDAKernelTemplateIN3c104HalfEfLj64ELj16ELj256ELb0ELb0ELb0EEEvllPKT_S7_PKT0_SA_PS5_SB_ ; -- Begin function _ZN2at6native12_GLOBAL__N_135GammaBetaBackwardCUDAKernelTemplateIN3c104HalfEfLj64ELj16ELj256ELb0ELb0ELb0EEEvllPKT_S7_PKT0_SA_PS5_SB_
	.p2align	8
	.type	_ZN2at6native12_GLOBAL__N_135GammaBetaBackwardCUDAKernelTemplateIN3c104HalfEfLj64ELj16ELj256ELb0ELb0ELb0EEEvllPKT_S7_PKT0_SA_PS5_SB_,@function
_ZN2at6native12_GLOBAL__N_135GammaBetaBackwardCUDAKernelTemplateIN3c104HalfEfLj64ELj16ELj256ELb0ELb0ELb0EEEvllPKT_S7_PKT0_SA_PS5_SB_: ; @_ZN2at6native12_GLOBAL__N_135GammaBetaBackwardCUDAKernelTemplateIN3c104HalfEfLj64ELj16ELj256ELb0ELb0ELb0EEEvllPKT_S7_PKT0_SA_PS5_SB_
; %bb.0:
	s_load_dwordx8 s[8:15], s[0:1], 0x0
	s_load_dwordx4 s[16:19], s[0:1], 0x20
	s_lshl_b32 s33, s2, 6
	s_mov_b32 s21, 0
	s_lshl_b32 s20, s3, 8
	v_mov_b32_e32 v75, v0
	s_or_b32 s4, s33, 63
	v_mov_b64_e32 v[0:1], s[20:21]
	v_mov_b32_e32 v68, s4
	v_mov_b32_e32 v69, 0
	s_waitcnt lgkmcnt(0)
	v_cmp_gt_i64_e64 s[4:5], s[8:9], v[0:1]
	v_cmp_le_i64_e32 vcc, s[10:11], v[68:69]
	s_nop 0
	v_cndmask_b32_e64 v0, 0, 1, s[4:5]
	v_cmp_ne_u32_e64 s[4:5], 1, v0
	s_cbranch_vccz .LBB82_80
; %bb.1:
	s_and_b64 vcc, exec, s[4:5]
	v_mov_b32_e32 v68, 0
	s_cbranch_vccnz .LBB82_82
; %bb.2:
	v_and_b32_e32 v108, 0x3ff, v75
	v_mov_b32_e32 v2, 0
	v_bfe_u32 v109, v75, 10, 10
	v_add_u32_e32 v4, s33, v108
	v_mov_b32_e32 v5, v2
	v_lshlrev_b32_e32 v0, 4, v109
	v_mov_b32_e32 v1, v2
	v_cmp_gt_i64_e64 s[6:7], s[10:11], v[4:5]
	v_lshlrev_b64 v[36:37], 1, v[4:5]
	v_lshl_add_u64 v[4:5], v[0:1], 0, s[20:21]
	v_mul_lo_u32 v3, s11, v4
	v_mul_lo_u32 v8, s10, v5
	v_mad_u64_u32 v[6:7], s[24:25], s10, v4, 0
	v_add3_u32 v7, v7, v8, v3
	v_lshlrev_b64 v[6:7], 1, v[6:7]
	v_lshl_add_u64 v[38:39], s[12:13], 0, v[6:7]
	v_lshl_add_u64 v[40:41], s[14:15], 0, v[6:7]
	v_lshl_add_u64 v[6:7], v[4:5], 0, 15
	v_mul_lo_u32 v9, s11, v6
	v_mul_lo_u32 v10, s10, v7
	v_mad_u64_u32 v[6:7], s[26:27], s10, v6, 0
	v_add3_u32 v7, v7, v10, v9
	v_lshlrev_b64 v[6:7], 1, v[6:7]
	v_lshl_add_u64 v[42:43], s[12:13], 0, v[6:7]
	v_lshl_add_u64 v[44:45], s[14:15], 0, v[6:7]
	;; [unrolled: 8-line block ×8, first 2 shown]
	v_lshl_add_u64 v[6:7], v[4:5], 0, 8
	v_mul_lo_u32 v9, s11, v6
	v_mul_lo_u32 v10, s10, v7
	v_mad_u64_u32 v[6:7], s[26:27], s10, v6, 0
	v_add3_u32 v7, v7, v10, v9
	v_lshlrev_b64 v[6:7], 1, v[6:7]
	v_mov_b32_e32 v118, v75
	v_lshl_add_u64 v[72:73], s[12:13], 0, v[6:7]
	v_lshl_add_u64 v[74:75], s[14:15], 0, v[6:7]
	v_lshl_add_u64 v[6:7], v[4:5], 0, 7
	v_mul_lo_u32 v9, s11, v6
	v_mul_lo_u32 v10, s10, v7
	v_mad_u64_u32 v[6:7], s[26:27], s10, v6, 0
	v_add3_u32 v7, v7, v10, v9
	v_lshlrev_b64 v[6:7], 1, v[6:7]
	v_lshl_add_u64 v[76:77], s[12:13], 0, v[6:7]
	v_lshl_add_u64 v[78:79], s[14:15], 0, v[6:7]
	v_lshl_add_u64 v[6:7], v[4:5], 0, 6
	v_mul_lo_u32 v9, s11, v6
	v_mul_lo_u32 v10, s10, v7
	v_mad_u64_u32 v[6:7], s[26:27], s10, v6, 0
	v_add3_u32 v7, v7, v10, v9
	v_lshlrev_b64 v[6:7], 1, v[6:7]
	;; [unrolled: 8-line block ×4, first 2 shown]
	v_lshl_add_u64 v[88:89], s[12:13], 0, v[6:7]
	v_lshl_add_u64 v[90:91], s[14:15], 0, v[6:7]
	;; [unrolled: 1-line block ×3, first 2 shown]
	v_mul_lo_u32 v9, s11, v6
	v_mul_lo_u32 v10, s10, v7
	v_mad_u64_u32 v[6:7], s[26:27], s10, v6, 0
	v_add3_u32 v7, v7, v10, v9
	s_load_dword s3, s[0:1], 0x44
	v_lshlrev_b64 v[6:7], 1, v[6:7]
	v_lshl_add_u64 v[92:93], s[12:13], 0, v[6:7]
	v_lshl_add_u64 v[94:95], s[14:15], 0, v[6:7]
	;; [unrolled: 1-line block ×3, first 2 shown]
	v_mul_lo_u32 v5, s11, v6
	v_mul_lo_u32 v9, s10, v7
	v_mad_u64_u32 v[6:7], s[26:27], s10, v6, 0
	v_add3_u32 v7, v7, v9, v5
	s_add_u32 s22, s0, 64
	v_lshlrev_b64 v[6:7], 1, v[6:7]
	s_addc_u32 s23, s1, 0
	s_waitcnt lgkmcnt(0)
	s_lshl_b32 s3, s3, 8
	v_lshl_add_u64 v[96:97], s[12:13], 0, v[6:7]
	v_lshl_add_u64 v[98:99], s[14:15], 0, v[6:7]
	v_mov_b64_e32 v[6:7], s[10:11]
	s_mul_i32 s24, s11, s3
	s_mul_hi_u32 s25, s10, s3
	v_mad_u64_u32 v[4:5], s[26:27], s10, v4, v[6:7]
	s_add_i32 s25, s25, s24
	s_mul_i32 s24, s10, s3
	v_add3_u32 v5, v3, v5, v8
	v_mbcnt_lo_u32_b32 v3, -1, 0
	s_lshl_b64 s[24:25], s[24:25], 1
	v_mbcnt_hi_u32_b32 v3, -1, v3
	v_lshlrev_b64 v[4:5], 1, v[4:5]
	s_add_u32 s26, s20, 0xff
	s_movk_i32 s28, 0xff01
	s_movk_i32 s30, 0xff02
	s_movk_i32 s34, 0xff03
	s_movk_i32 s36, 0xff04
	s_movk_i32 s38, 0xff05
	s_movk_i32 s40, 0xff06
	s_movk_i32 s42, 0xff07
	s_movk_i32 s44, 0xff08
	s_movk_i32 s46, 0xff09
	s_movk_i32 s48, 0xff0a
	s_movk_i32 s50, 0xff0b
	s_movk_i32 s52, 0xff0c
	s_movk_i32 s54, 0xff0d
	s_movk_i32 s56, 0xff0e
	s_movk_i32 s58, 0xff0f
	s_movk_i32 s60, 0xff10
	v_lshlrev_b32_e32 v3, 2, v3
	v_lshl_add_u64 v[100:101], s[12:13], 0, v[4:5]
	v_lshl_add_u64 v[102:103], s[14:15], 0, v[4:5]
	s_addc_u32 s27, 0, 0
	s_mov_b32 s29, -1
	s_mov_b32 s31, -1
	;; [unrolled: 1-line block ×16, first 2 shown]
	v_and_b32_e32 v110, 0x100, v3
	s_mov_b64 s[62:63], s[20:21]
	v_mov_b32_e32 v68, 0
	v_mov_b32_e32 v69, v2
	s_branch .LBB82_5
.LBB82_3:                               ;   in Loop: Header=BB82_5 Depth=1
	s_or_b64 exec, exec, s[64:65]
	s_waitcnt vmcnt(1)
	ds_bpermute_b32 v3, v110, v107
	ds_bpermute_b32 v104, v110, v107 offset:4
	s_waitcnt vmcnt(0)
	ds_bpermute_b32 v105, v110, v106
	ds_bpermute_b32 v111, v110, v106 offset:4
	v_mov_b32_e32 v112, v6
	s_waitcnt lgkmcnt(3)
	v_sub_f32_e32 v3, v20, v3
	v_mul_f32_e32 v3, v4, v3
	s_waitcnt lgkmcnt(2)
	v_sub_f32_e32 v20, v21, v104
	s_waitcnt lgkmcnt(1)
	v_mul_f32_e32 v21, v3, v105
	ds_bpermute_b32 v3, v110, v107 offset:8
	v_mul_f32_e32 v20, v5, v20
	s_waitcnt lgkmcnt(1)
	v_mul_f32_e32 v105, v20, v111
	ds_bpermute_b32 v20, v110, v106 offset:8
	ds_bpermute_b32 v104, v110, v107 offset:12
	s_waitcnt lgkmcnt(2)
	v_sub_f32_e32 v3, v22, v3
	ds_bpermute_b32 v22, v110, v106 offset:12
	v_mul_f32_e32 v3, v6, v3
	s_waitcnt lgkmcnt(2)
	v_mul_f32_e32 v113, v3, v20
	ds_bpermute_b32 v20, v110, v107 offset:16
	s_waitcnt lgkmcnt(2)
	v_sub_f32_e32 v3, v23, v104
	v_mul_f32_e32 v3, v7, v3
	s_waitcnt lgkmcnt(1)
	v_mul_f32_e32 v23, v3, v22
	ds_bpermute_b32 v3, v110, v106 offset:16
	ds_bpermute_b32 v22, v110, v107 offset:20
	s_waitcnt lgkmcnt(2)
	v_sub_f32_e32 v20, v24, v20
	ds_bpermute_b32 v24, v110, v106 offset:20
	v_mul_f32_e32 v20, v8, v20
	s_waitcnt lgkmcnt(2)
	v_mul_f32_e32 v115, v20, v3
	s_waitcnt lgkmcnt(1)
	v_sub_f32_e32 v3, v25, v22
	v_mul_f32_e32 v3, v9, v3
	s_waitcnt lgkmcnt(0)
	v_mul_f32_e32 v25, v3, v24
	ds_bpermute_b32 v3, v110, v107 offset:24
	v_mov_b32_e32 v114, v8
	ds_bpermute_b32 v6, v110, v106 offset:24
	ds_bpermute_b32 v8, v110, v107 offset:28
	v_mov_b32_e32 v24, v9
	ds_bpermute_b32 v9, v110, v106 offset:28
	s_waitcnt lgkmcnt(3)
	v_sub_f32_e32 v3, v26, v3
	v_mul_f32_e32 v3, v10, v3
	v_mov_b32_e32 v22, v7
	s_waitcnt lgkmcnt(2)
	v_mul_f32_e32 v7, v3, v6
	s_waitcnt lgkmcnt(1)
	v_sub_f32_e32 v3, v27, v8
	ds_bpermute_b32 v6, v110, v107 offset:32
	v_mul_f32_e32 v3, v11, v3
	v_mov_b32_e32 v20, v4
	s_waitcnt lgkmcnt(1)
	v_mul_f32_e32 v9, v3, v9
	ds_bpermute_b32 v3, v110, v106 offset:32
	ds_bpermute_b32 v8, v110, v107 offset:36
	v_pk_add_f32 v[20:21], v[68:69], v[20:21]
	v_mov_b32_e32 v104, v5
	v_pk_add_f32 v[4:5], v[104:105], v[20:21]
	ds_bpermute_b32 v20, v110, v106 offset:36
	s_waitcnt lgkmcnt(3)
	v_sub_f32_e32 v6, v28, v6
	v_mul_f32_e32 v6, v12, v6
	s_waitcnt lgkmcnt(2)
	v_mul_f32_e32 v21, v6, v3
	s_waitcnt lgkmcnt(1)
	v_sub_f32_e32 v3, v29, v8
	ds_bpermute_b32 v6, v110, v107 offset:40
	v_pk_add_f32 v[4:5], v[112:113], v[4:5]
	v_mul_f32_e32 v3, v13, v3
	v_pk_add_f32 v[4:5], v[22:23], v[4:5]
	s_waitcnt lgkmcnt(1)
	v_mul_f32_e32 v23, v3, v20
	ds_bpermute_b32 v3, v110, v106 offset:40
	ds_bpermute_b32 v8, v110, v107 offset:44
	;; [unrolled: 1-line block ×3, first 2 shown]
	s_waitcnt lgkmcnt(3)
	v_sub_f32_e32 v6, v30, v6
	v_pk_add_f32 v[4:5], v[114:115], v[4:5]
	v_mul_f32_e32 v6, v14, v6
	v_pk_add_f32 v[4:5], v[24:25], v[4:5]
	s_waitcnt lgkmcnt(2)
	v_mul_f32_e32 v25, v6, v3
	s_waitcnt lgkmcnt(1)
	v_sub_f32_e32 v3, v31, v8
	ds_bpermute_b32 v6, v110, v107 offset:48
	v_mul_f32_e32 v3, v15, v3
	s_waitcnt lgkmcnt(1)
	v_mul_f32_e32 v27, v3, v20
	ds_bpermute_b32 v3, v110, v106 offset:48
	ds_bpermute_b32 v8, v110, v107 offset:52
	;; [unrolled: 1-line block ×3, first 2 shown]
	s_waitcnt lgkmcnt(3)
	v_sub_f32_e32 v6, v32, v6
	v_mul_f32_e32 v6, v16, v6
	s_waitcnt lgkmcnt(2)
	v_mul_f32_e32 v29, v6, v3
	s_waitcnt lgkmcnt(1)
	v_sub_f32_e32 v3, v33, v8
	v_mov_b32_e32 v6, v10
	v_mul_f32_e32 v3, v17, v3
	v_pk_add_f32 v[4:5], v[6:7], v[4:5]
	v_mov_b32_e32 v8, v11
	s_waitcnt lgkmcnt(0)
	v_mul_f32_e32 v31, v3, v20
	v_pk_add_f32 v[4:5], v[8:9], v[4:5]
	v_mov_b32_e32 v20, v12
	v_pk_add_f32 v[4:5], v[20:21], v[4:5]
	v_mov_b32_e32 v22, v13
	v_pk_add_f32 v[4:5], v[22:23], v[4:5]
	v_mov_b32_e32 v24, v14
	v_pk_add_f32 v[4:5], v[24:25], v[4:5]
	v_mov_b32_e32 v26, v15
	ds_bpermute_b32 v3, v110, v107 offset:56
	v_pk_add_f32 v[4:5], v[26:27], v[4:5]
	v_mov_b32_e32 v28, v16
	v_pk_add_f32 v[4:5], v[28:29], v[4:5]
	v_mov_b32_e32 v30, v17
	v_pk_add_f32 v[6:7], v[30:31], v[4:5]
	ds_bpermute_b32 v5, v110, v106 offset:56
	s_waitcnt lgkmcnt(1)
	v_sub_f32_e32 v8, v34, v3
	ds_bpermute_b32 v3, v110, v106 offset:60
	ds_bpermute_b32 v4, v110, v107 offset:60
	v_mul_f32_e32 v8, v18, v8
	s_waitcnt lgkmcnt(2)
	v_mul_f32_e32 v9, v8, v5
	v_mov_b32_e32 v8, v18
	v_pk_add_f32 v[106:107], v[8:9], v[6:7]
.LBB82_4:                               ;   in Loop: Header=BB82_5 Depth=1
	s_waitcnt lgkmcnt(0)
	v_sub_f32_e32 v4, v35, v4
	v_mul_f32_e32 v4, v19, v4
	v_mul_f32_e32 v5, v4, v3
	v_mov_b32_e32 v4, v19
	s_add_u32 s62, s62, s3
	v_pk_add_f32 v[68:69], v[106:107], v[4:5]
	s_addc_u32 s63, s63, 0
	v_mov_b64_e32 v[4:5], s[8:9]
	s_add_u32 s26, s26, s3
	v_cmp_lt_i64_e32 vcc, s[62:63], v[4:5]
	v_lshl_add_u64 v[38:39], v[38:39], 0, s[24:25]
	v_lshl_add_u64 v[40:41], v[40:41], 0, s[24:25]
	;; [unrolled: 1-line block ×32, first 2 shown]
	s_addc_u32 s27, s27, 0
	s_cbranch_vccz .LBB82_81
.LBB82_5:                               ; =>This Inner Loop Header: Depth=1
	v_mov_b64_e32 v[4:5], s[8:9]
	v_cmp_ge_i64_e32 vcc, s[26:27], v[4:5]
	v_lshl_add_u64 v[104:105], v[0:1], 0, s[26:27]
	s_mov_b64 s[64:65], -1
	s_and_b64 vcc, exec, vcc
                                        ; implicit-def: $vgpr4_vgpr5_vgpr6_vgpr7_vgpr8_vgpr9_vgpr10_vgpr11_vgpr12_vgpr13_vgpr14_vgpr15_vgpr16_vgpr17_vgpr18_vgpr19
                                        ; implicit-def: $vgpr106_vgpr107
                                        ; implicit-def: $vgpr3
                                        ; implicit-def: $vgpr20_vgpr21_vgpr22_vgpr23_vgpr24_vgpr25_vgpr26_vgpr27_vgpr28_vgpr29_vgpr30_vgpr31_vgpr32_vgpr33_vgpr34_vgpr35
                                        ; implicit-def: $vgpr4
	s_cbranch_vccz .LBB82_43
; %bb.6:                                ;   in Loop: Header=BB82_5 Depth=1
	s_load_dword s64, s[22:23], 0xc
	v_mov_b32_e32 v106, 0
	v_mov_b32_e32 v107, 0
	s_waitcnt lgkmcnt(0)
	s_and_b32 s64, s64, 0xffff
	v_mad_u32_u24 v3, v109, s64, v108
	v_and_b32_e32 v4, 63, v3
	v_cmp_gt_u32_e32 vcc, 16, v4
	s_and_saveexec_b64 s[64:65], vcc
	s_cbranch_execz .LBB82_10
; %bb.7:                                ;   in Loop: Header=BB82_5 Depth=1
	v_mov_b32_e32 v5, v2
	v_lshl_add_u64 v[4:5], v[104:105], 0, v[4:5]
	v_lshl_add_u64 v[4:5], v[4:5], 0, s[28:29]
	v_cmp_gt_i64_e32 vcc, s[8:9], v[4:5]
	v_mov_b32_e32 v107, 0
	v_mov_b32_e32 v106, 0
	s_and_saveexec_b64 s[66:67], vcc
	s_cbranch_execz .LBB82_9
; %bb.8:                                ;   in Loop: Header=BB82_5 Depth=1
	v_lshlrev_b64 v[4:5], 2, v[4:5]
	v_lshl_add_u64 v[6:7], s[18:19], 0, v[4:5]
	v_lshl_add_u64 v[4:5], s[16:17], 0, v[4:5]
	global_load_dword v107, v[4:5], off
	global_load_dword v106, v[6:7], off
.LBB82_9:                               ;   in Loop: Header=BB82_5 Depth=1
	s_or_b64 exec, exec, s[66:67]
.LBB82_10:                              ;   in Loop: Header=BB82_5 Depth=1
	s_or_b64 exec, exec, s[64:65]
	v_lshl_add_u64 v[4:5], v[104:105], 0, s[28:29]
	v_mov_b32_e32 v16, v2
	v_mov_b32_e32 v17, v2
	v_cmp_gt_i64_e32 vcc, s[8:9], v[4:5]
	v_mov_b32_e32 v3, v2
	v_mov_b32_e32 v4, v2
	;; [unrolled: 1-line block ×13, first 2 shown]
	v_mov_b64_e32 v[34:35], v[16:17]
	v_mov_b64_e32 v[32:33], v[14:15]
	;; [unrolled: 1-line block ×9, first 2 shown]
	s_and_b64 s[66:67], s[6:7], vcc
	v_mov_b64_e32 v[16:17], v[14:15]
	v_mov_b64_e32 v[14:15], v[12:13]
	;; [unrolled: 1-line block ×7, first 2 shown]
	s_and_saveexec_b64 s[64:65], s[66:67]
	s_cbranch_execz .LBB82_12
; %bb.11:                               ;   in Loop: Header=BB82_5 Depth=1
	v_lshl_add_u64 v[4:5], v[38:39], 0, v[36:37]
	global_load_ushort v3, v[4:5], off
	v_lshl_add_u64 v[4:5], v[40:41], 0, v[36:37]
	global_load_ushort v20, v[4:5], off
	v_mov_b32_e32 v5, v2
	v_mov_b32_e32 v6, v2
	;; [unrolled: 1-line block ×30, first 2 shown]
	s_waitcnt vmcnt(1)
	v_cvt_f32_f16_e32 v4, v3
	s_waitcnt vmcnt(0)
	v_cvt_f32_f16_e32 v20, v20
.LBB82_12:                              ;   in Loop: Header=BB82_5 Depth=1
	s_or_b64 exec, exec, s[64:65]
	v_lshl_add_u64 v[112:113], v[104:105], 0, s[30:31]
	v_cmp_gt_i64_e32 vcc, s[8:9], v[112:113]
	s_and_b64 s[66:67], s[6:7], vcc
	s_and_saveexec_b64 s[64:65], s[66:67]
	s_cbranch_execz .LBB82_14
; %bb.13:                               ;   in Loop: Header=BB82_5 Depth=1
	v_lshl_add_u64 v[112:113], v[100:101], 0, v[36:37]
	global_load_ushort v3, v[112:113], off
	v_lshl_add_u64 v[112:113], v[102:103], 0, v[36:37]
	global_load_ushort v21, v[112:113], off
	s_waitcnt vmcnt(1)
	v_cvt_f32_f16_e32 v5, v3
	s_waitcnt vmcnt(0)
	v_cvt_f32_f16_e32 v21, v21
.LBB82_14:                              ;   in Loop: Header=BB82_5 Depth=1
	s_or_b64 exec, exec, s[64:65]
	v_lshl_add_u64 v[112:113], v[104:105], 0, s[34:35]
	v_cmp_gt_i64_e32 vcc, s[8:9], v[112:113]
	s_and_b64 s[66:67], s[6:7], vcc
	s_and_saveexec_b64 s[64:65], s[66:67]
	s_cbranch_execz .LBB82_16
; %bb.15:                               ;   in Loop: Header=BB82_5 Depth=1
	v_lshl_add_u64 v[112:113], v[96:97], 0, v[36:37]
	global_load_ushort v3, v[112:113], off
	v_lshl_add_u64 v[112:113], v[98:99], 0, v[36:37]
	global_load_ushort v22, v[112:113], off
	s_waitcnt vmcnt(1)
	v_cvt_f32_f16_e32 v6, v3
	s_waitcnt vmcnt(0)
	v_cvt_f32_f16_e32 v22, v22
.LBB82_16:                              ;   in Loop: Header=BB82_5 Depth=1
	;; [unrolled: 16-line block ×15, first 2 shown]
	s_or_b64 exec, exec, s[64:65]
	s_waitcnt vmcnt(1)
	ds_bpermute_b32 v3, v110, v107
	ds_bpermute_b32 v111, v110, v107 offset:4
	s_waitcnt vmcnt(0)
	ds_bpermute_b32 v112, v110, v106
	ds_bpermute_b32 v113, v110, v106 offset:4
	v_mov_b32_e32 v114, v6
	s_waitcnt lgkmcnt(3)
	v_sub_f32_e32 v3, v20, v3
	v_mul_f32_e32 v3, v4, v3
	s_waitcnt lgkmcnt(2)
	v_sub_f32_e32 v20, v21, v111
	s_waitcnt lgkmcnt(1)
	v_mul_f32_e32 v21, v3, v112
	ds_bpermute_b32 v3, v110, v107 offset:8
	v_mul_f32_e32 v20, v5, v20
	s_waitcnt lgkmcnt(1)
	v_mul_f32_e32 v113, v20, v113
	ds_bpermute_b32 v20, v110, v106 offset:8
	ds_bpermute_b32 v111, v110, v107 offset:12
	s_waitcnt lgkmcnt(2)
	v_sub_f32_e32 v3, v22, v3
	ds_bpermute_b32 v22, v110, v106 offset:12
	v_mul_f32_e32 v3, v6, v3
	s_waitcnt lgkmcnt(2)
	v_mul_f32_e32 v115, v3, v20
	ds_bpermute_b32 v20, v110, v107 offset:16
	s_waitcnt lgkmcnt(2)
	v_sub_f32_e32 v3, v23, v111
	v_mul_f32_e32 v3, v7, v3
	s_waitcnt lgkmcnt(1)
	v_mul_f32_e32 v23, v3, v22
	ds_bpermute_b32 v3, v110, v106 offset:16
	ds_bpermute_b32 v22, v110, v107 offset:20
	s_waitcnt lgkmcnt(2)
	v_sub_f32_e32 v20, v24, v20
	ds_bpermute_b32 v24, v110, v106 offset:20
	v_mul_f32_e32 v20, v8, v20
	s_waitcnt lgkmcnt(2)
	v_mul_f32_e32 v117, v20, v3
	s_waitcnt lgkmcnt(1)
	v_sub_f32_e32 v3, v25, v22
	v_mul_f32_e32 v3, v9, v3
	s_waitcnt lgkmcnt(0)
	v_mul_f32_e32 v25, v3, v24
	ds_bpermute_b32 v3, v110, v107 offset:24
	v_mov_b32_e32 v116, v8
	ds_bpermute_b32 v6, v110, v106 offset:24
	ds_bpermute_b32 v8, v110, v107 offset:28
	v_mov_b32_e32 v24, v9
	ds_bpermute_b32 v9, v110, v106 offset:28
	s_waitcnt lgkmcnt(3)
	v_sub_f32_e32 v3, v26, v3
	v_mul_f32_e32 v3, v10, v3
	v_mov_b32_e32 v22, v7
	s_waitcnt lgkmcnt(2)
	v_mul_f32_e32 v7, v3, v6
	s_waitcnt lgkmcnt(1)
	v_sub_f32_e32 v3, v27, v8
	ds_bpermute_b32 v6, v110, v107 offset:32
	v_mul_f32_e32 v3, v11, v3
	v_mov_b32_e32 v20, v4
	s_waitcnt lgkmcnt(1)
	v_mul_f32_e32 v9, v3, v9
	ds_bpermute_b32 v3, v110, v106 offset:32
	ds_bpermute_b32 v8, v110, v107 offset:36
	v_pk_add_f32 v[20:21], v[68:69], v[20:21]
	v_mov_b32_e32 v112, v5
	v_pk_add_f32 v[4:5], v[112:113], v[20:21]
	ds_bpermute_b32 v20, v110, v106 offset:36
	s_waitcnt lgkmcnt(3)
	v_sub_f32_e32 v6, v28, v6
	v_mul_f32_e32 v6, v12, v6
	s_waitcnt lgkmcnt(2)
	v_mul_f32_e32 v21, v6, v3
	s_waitcnt lgkmcnt(1)
	v_sub_f32_e32 v3, v29, v8
	ds_bpermute_b32 v6, v110, v107 offset:40
	v_pk_add_f32 v[4:5], v[114:115], v[4:5]
	v_mul_f32_e32 v3, v13, v3
	v_pk_add_f32 v[4:5], v[22:23], v[4:5]
	s_waitcnt lgkmcnt(1)
	v_mul_f32_e32 v23, v3, v20
	ds_bpermute_b32 v3, v110, v106 offset:40
	ds_bpermute_b32 v8, v110, v107 offset:44
	;; [unrolled: 1-line block ×3, first 2 shown]
	s_waitcnt lgkmcnt(3)
	v_sub_f32_e32 v6, v30, v6
	v_pk_add_f32 v[4:5], v[116:117], v[4:5]
	v_mul_f32_e32 v6, v14, v6
	v_pk_add_f32 v[4:5], v[24:25], v[4:5]
	s_waitcnt lgkmcnt(2)
	v_mul_f32_e32 v25, v6, v3
	s_waitcnt lgkmcnt(1)
	v_sub_f32_e32 v3, v31, v8
	ds_bpermute_b32 v6, v110, v107 offset:48
	v_mul_f32_e32 v3, v15, v3
	s_waitcnt lgkmcnt(1)
	v_mul_f32_e32 v27, v3, v20
	ds_bpermute_b32 v3, v110, v106 offset:48
	ds_bpermute_b32 v8, v110, v107 offset:52
	;; [unrolled: 1-line block ×3, first 2 shown]
	s_waitcnt lgkmcnt(3)
	v_sub_f32_e32 v6, v32, v6
	v_mul_f32_e32 v6, v16, v6
	s_waitcnt lgkmcnt(2)
	v_mul_f32_e32 v29, v6, v3
	s_waitcnt lgkmcnt(1)
	v_sub_f32_e32 v3, v33, v8
	v_mov_b32_e32 v6, v10
	v_mul_f32_e32 v3, v17, v3
	v_pk_add_f32 v[4:5], v[6:7], v[4:5]
	v_mov_b32_e32 v8, v11
	s_waitcnt lgkmcnt(0)
	v_mul_f32_e32 v31, v3, v20
	v_pk_add_f32 v[4:5], v[8:9], v[4:5]
	v_mov_b32_e32 v20, v12
	v_pk_add_f32 v[4:5], v[20:21], v[4:5]
	v_mov_b32_e32 v22, v13
	;; [unrolled: 2-line block ×3, first 2 shown]
	ds_bpermute_b32 v3, v110, v107 offset:56
	v_pk_add_f32 v[4:5], v[24:25], v[4:5]
	v_mov_b32_e32 v26, v15
	v_pk_add_f32 v[4:5], v[26:27], v[4:5]
	v_mov_b32_e32 v28, v16
	;; [unrolled: 2-line block ×3, first 2 shown]
	v_pk_add_f32 v[6:7], v[30:31], v[4:5]
	ds_bpermute_b32 v5, v110, v106 offset:56
	s_waitcnt lgkmcnt(1)
	v_sub_f32_e32 v3, v34, v3
	v_mul_f32_e32 v8, v18, v3
	ds_bpermute_b32 v3, v110, v106 offset:60
	ds_bpermute_b32 v4, v110, v107 offset:60
	s_waitcnt lgkmcnt(2)
	v_mul_f32_e32 v9, v8, v5
	v_mov_b32_e32 v8, v18
	v_pk_add_f32 v[106:107], v[8:9], v[6:7]
	s_mov_b64 s[64:65], 0
.LBB82_43:                              ;   in Loop: Header=BB82_5 Depth=1
	s_and_b64 vcc, exec, s[64:65]
	s_cbranch_vccz .LBB82_4
; %bb.44:                               ;   in Loop: Header=BB82_5 Depth=1
	s_load_dword s64, s[22:23], 0x0
	v_mov_b32_e32 v106, 0
	v_mov_b32_e32 v107, 0
	s_waitcnt lgkmcnt(0)
	s_cmp_lt_u32 s2, s64
	s_cselect_b32 s64, 12, 18
	s_add_u32 s64, s22, s64
	s_addc_u32 s65, s23, 0
	global_load_ushort v3, v2, s[64:65]
	s_waitcnt vmcnt(0)
	v_mad_u32_u24 v3, v109, v3, v108
	v_and_b32_e32 v4, 63, v3
	v_cmp_gt_u32_e32 vcc, 16, v4
	s_and_saveexec_b64 s[64:65], vcc
	s_cbranch_execz .LBB82_48
; %bb.45:                               ;   in Loop: Header=BB82_5 Depth=1
	v_mov_b32_e32 v5, v2
	v_lshl_add_u64 v[4:5], v[104:105], 0, v[4:5]
	v_lshl_add_u64 v[4:5], v[4:5], 0, s[28:29]
	v_cmp_gt_i64_e32 vcc, s[8:9], v[4:5]
	v_mov_b32_e32 v107, 0
	v_mov_b32_e32 v106, 0
	s_and_saveexec_b64 s[66:67], vcc
	s_cbranch_execz .LBB82_47
; %bb.46:                               ;   in Loop: Header=BB82_5 Depth=1
	v_lshlrev_b64 v[4:5], 2, v[4:5]
	v_lshl_add_u64 v[6:7], s[18:19], 0, v[4:5]
	v_lshl_add_u64 v[4:5], s[16:17], 0, v[4:5]
	global_load_dword v107, v[4:5], off
	global_load_dword v106, v[6:7], off
.LBB82_47:                              ;   in Loop: Header=BB82_5 Depth=1
	s_or_b64 exec, exec, s[66:67]
.LBB82_48:                              ;   in Loop: Header=BB82_5 Depth=1
	s_or_b64 exec, exec, s[64:65]
	v_mov_b32_e32 v16, v2
	v_mov_b32_e32 v17, v2
	v_mov_b32_e32 v3, v2
	v_mov_b32_e32 v4, v2
	v_mov_b32_e32 v5, v2
	v_mov_b32_e32 v6, v2
	v_mov_b32_e32 v7, v2
	v_mov_b32_e32 v8, v2
	v_mov_b32_e32 v9, v2
	v_mov_b32_e32 v10, v2
	v_mov_b32_e32 v11, v2
	v_mov_b32_e32 v12, v2
	v_mov_b32_e32 v13, v2
	v_mov_b32_e32 v14, v2
	v_mov_b32_e32 v15, v2
	v_mov_b64_e32 v[34:35], v[16:17]
	v_mov_b64_e32 v[32:33], v[14:15]
	;; [unrolled: 1-line block ×16, first 2 shown]
	s_and_saveexec_b64 s[64:65], s[6:7]
	s_cbranch_execnz .LBB82_64
; %bb.49:                               ;   in Loop: Header=BB82_5 Depth=1
	s_or_b64 exec, exec, s[64:65]
	s_and_saveexec_b64 s[64:65], s[6:7]
	s_cbranch_execnz .LBB82_65
.LBB82_50:                              ;   in Loop: Header=BB82_5 Depth=1
	s_or_b64 exec, exec, s[64:65]
	s_and_saveexec_b64 s[64:65], s[6:7]
	s_cbranch_execnz .LBB82_66
.LBB82_51:                              ;   in Loop: Header=BB82_5 Depth=1
	s_or_b64 exec, exec, s[64:65]
	s_and_saveexec_b64 s[64:65], s[6:7]
	s_cbranch_execnz .LBB82_67
.LBB82_52:                              ;   in Loop: Header=BB82_5 Depth=1
	s_or_b64 exec, exec, s[64:65]
	s_and_saveexec_b64 s[64:65], s[6:7]
	s_cbranch_execnz .LBB82_68
.LBB82_53:                              ;   in Loop: Header=BB82_5 Depth=1
	s_or_b64 exec, exec, s[64:65]
	s_and_saveexec_b64 s[64:65], s[6:7]
	s_cbranch_execnz .LBB82_69
.LBB82_54:                              ;   in Loop: Header=BB82_5 Depth=1
	s_or_b64 exec, exec, s[64:65]
	s_and_saveexec_b64 s[64:65], s[6:7]
	s_cbranch_execnz .LBB82_70
.LBB82_55:                              ;   in Loop: Header=BB82_5 Depth=1
	s_or_b64 exec, exec, s[64:65]
	s_and_saveexec_b64 s[64:65], s[6:7]
	s_cbranch_execnz .LBB82_71
.LBB82_56:                              ;   in Loop: Header=BB82_5 Depth=1
	s_or_b64 exec, exec, s[64:65]
	s_and_saveexec_b64 s[64:65], s[6:7]
	s_cbranch_execnz .LBB82_72
.LBB82_57:                              ;   in Loop: Header=BB82_5 Depth=1
	s_or_b64 exec, exec, s[64:65]
	s_and_saveexec_b64 s[64:65], s[6:7]
	s_cbranch_execnz .LBB82_73
.LBB82_58:                              ;   in Loop: Header=BB82_5 Depth=1
	s_or_b64 exec, exec, s[64:65]
	s_and_saveexec_b64 s[64:65], s[6:7]
	s_cbranch_execnz .LBB82_74
.LBB82_59:                              ;   in Loop: Header=BB82_5 Depth=1
	s_or_b64 exec, exec, s[64:65]
	s_and_saveexec_b64 s[64:65], s[6:7]
	s_cbranch_execnz .LBB82_75
.LBB82_60:                              ;   in Loop: Header=BB82_5 Depth=1
	s_or_b64 exec, exec, s[64:65]
	s_and_saveexec_b64 s[64:65], s[6:7]
	s_cbranch_execnz .LBB82_76
.LBB82_61:                              ;   in Loop: Header=BB82_5 Depth=1
	s_or_b64 exec, exec, s[64:65]
	s_and_saveexec_b64 s[64:65], s[6:7]
	s_cbranch_execnz .LBB82_77
.LBB82_62:                              ;   in Loop: Header=BB82_5 Depth=1
	s_or_b64 exec, exec, s[64:65]
	s_and_saveexec_b64 s[64:65], s[6:7]
	s_cbranch_execnz .LBB82_78
.LBB82_63:                              ;   in Loop: Header=BB82_5 Depth=1
	s_or_b64 exec, exec, s[64:65]
	s_and_saveexec_b64 s[64:65], s[6:7]
	s_cbranch_execz .LBB82_3
	s_branch .LBB82_79
.LBB82_64:                              ;   in Loop: Header=BB82_5 Depth=1
	v_lshl_add_u64 v[4:5], v[38:39], 0, v[36:37]
	global_load_ushort v3, v[4:5], off
	v_lshl_add_u64 v[4:5], v[40:41], 0, v[36:37]
	global_load_ushort v20, v[4:5], off
	v_mov_b32_e32 v5, v2
	v_mov_b32_e32 v6, v2
	;; [unrolled: 1-line block ×30, first 2 shown]
	s_waitcnt vmcnt(1)
	v_cvt_f32_f16_e32 v4, v3
	s_waitcnt vmcnt(0)
	v_cvt_f32_f16_e32 v20, v20
	s_or_b64 exec, exec, s[64:65]
	s_and_saveexec_b64 s[64:65], s[6:7]
	s_cbranch_execz .LBB82_50
.LBB82_65:                              ;   in Loop: Header=BB82_5 Depth=1
	v_lshl_add_u64 v[104:105], v[100:101], 0, v[36:37]
	global_load_ushort v3, v[104:105], off
	v_lshl_add_u64 v[104:105], v[102:103], 0, v[36:37]
	global_load_ushort v21, v[104:105], off
	s_waitcnt vmcnt(1)
	v_cvt_f32_f16_e32 v5, v3
	s_waitcnt vmcnt(0)
	v_cvt_f32_f16_e32 v21, v21
	s_or_b64 exec, exec, s[64:65]
	s_and_saveexec_b64 s[64:65], s[6:7]
	s_cbranch_execz .LBB82_51
.LBB82_66:                              ;   in Loop: Header=BB82_5 Depth=1
	v_lshl_add_u64 v[104:105], v[96:97], 0, v[36:37]
	global_load_ushort v3, v[104:105], off
	v_lshl_add_u64 v[104:105], v[98:99], 0, v[36:37]
	global_load_ushort v22, v[104:105], off
	s_waitcnt vmcnt(1)
	v_cvt_f32_f16_e32 v6, v3
	s_waitcnt vmcnt(0)
	v_cvt_f32_f16_e32 v22, v22
	s_or_b64 exec, exec, s[64:65]
	s_and_saveexec_b64 s[64:65], s[6:7]
	s_cbranch_execz .LBB82_52
.LBB82_67:                              ;   in Loop: Header=BB82_5 Depth=1
	v_lshl_add_u64 v[104:105], v[92:93], 0, v[36:37]
	global_load_ushort v3, v[104:105], off
	v_lshl_add_u64 v[104:105], v[94:95], 0, v[36:37]
	global_load_ushort v23, v[104:105], off
	s_waitcnt vmcnt(1)
	v_cvt_f32_f16_e32 v7, v3
	s_waitcnt vmcnt(0)
	v_cvt_f32_f16_e32 v23, v23
	s_or_b64 exec, exec, s[64:65]
	s_and_saveexec_b64 s[64:65], s[6:7]
	s_cbranch_execz .LBB82_53
.LBB82_68:                              ;   in Loop: Header=BB82_5 Depth=1
	v_lshl_add_u64 v[104:105], v[88:89], 0, v[36:37]
	global_load_ushort v3, v[104:105], off
	v_lshl_add_u64 v[104:105], v[90:91], 0, v[36:37]
	global_load_ushort v24, v[104:105], off
	s_waitcnt vmcnt(1)
	v_cvt_f32_f16_e32 v8, v3
	s_waitcnt vmcnt(0)
	v_cvt_f32_f16_e32 v24, v24
	s_or_b64 exec, exec, s[64:65]
	s_and_saveexec_b64 s[64:65], s[6:7]
	s_cbranch_execz .LBB82_54
.LBB82_69:                              ;   in Loop: Header=BB82_5 Depth=1
	v_lshl_add_u64 v[104:105], v[84:85], 0, v[36:37]
	global_load_ushort v3, v[104:105], off
	v_lshl_add_u64 v[104:105], v[86:87], 0, v[36:37]
	global_load_ushort v25, v[104:105], off
	s_waitcnt vmcnt(1)
	v_cvt_f32_f16_e32 v9, v3
	s_waitcnt vmcnt(0)
	v_cvt_f32_f16_e32 v25, v25
	s_or_b64 exec, exec, s[64:65]
	s_and_saveexec_b64 s[64:65], s[6:7]
	s_cbranch_execz .LBB82_55
.LBB82_70:                              ;   in Loop: Header=BB82_5 Depth=1
	v_lshl_add_u64 v[104:105], v[80:81], 0, v[36:37]
	global_load_ushort v3, v[104:105], off
	v_lshl_add_u64 v[104:105], v[82:83], 0, v[36:37]
	global_load_ushort v26, v[104:105], off
	s_waitcnt vmcnt(1)
	v_cvt_f32_f16_e32 v10, v3
	s_waitcnt vmcnt(0)
	v_cvt_f32_f16_e32 v26, v26
	s_or_b64 exec, exec, s[64:65]
	s_and_saveexec_b64 s[64:65], s[6:7]
	s_cbranch_execz .LBB82_56
.LBB82_71:                              ;   in Loop: Header=BB82_5 Depth=1
	v_lshl_add_u64 v[104:105], v[76:77], 0, v[36:37]
	global_load_ushort v3, v[104:105], off
	v_lshl_add_u64 v[104:105], v[78:79], 0, v[36:37]
	global_load_ushort v27, v[104:105], off
	s_waitcnt vmcnt(1)
	v_cvt_f32_f16_e32 v11, v3
	s_waitcnt vmcnt(0)
	v_cvt_f32_f16_e32 v27, v27
	s_or_b64 exec, exec, s[64:65]
	s_and_saveexec_b64 s[64:65], s[6:7]
	s_cbranch_execz .LBB82_57
.LBB82_72:                              ;   in Loop: Header=BB82_5 Depth=1
	v_lshl_add_u64 v[104:105], v[72:73], 0, v[36:37]
	global_load_ushort v3, v[104:105], off
	v_lshl_add_u64 v[104:105], v[74:75], 0, v[36:37]
	global_load_ushort v28, v[104:105], off
	s_waitcnt vmcnt(1)
	v_cvt_f32_f16_e32 v12, v3
	s_waitcnt vmcnt(0)
	v_cvt_f32_f16_e32 v28, v28
	s_or_b64 exec, exec, s[64:65]
	s_and_saveexec_b64 s[64:65], s[6:7]
	s_cbranch_execz .LBB82_58
.LBB82_73:                              ;   in Loop: Header=BB82_5 Depth=1
	v_lshl_add_u64 v[104:105], v[66:67], 0, v[36:37]
	global_load_ushort v3, v[104:105], off
	v_lshl_add_u64 v[104:105], v[70:71], 0, v[36:37]
	global_load_ushort v29, v[104:105], off
	s_waitcnt vmcnt(1)
	v_cvt_f32_f16_e32 v13, v3
	s_waitcnt vmcnt(0)
	v_cvt_f32_f16_e32 v29, v29
	s_or_b64 exec, exec, s[64:65]
	s_and_saveexec_b64 s[64:65], s[6:7]
	s_cbranch_execz .LBB82_59
.LBB82_74:                              ;   in Loop: Header=BB82_5 Depth=1
	v_lshl_add_u64 v[104:105], v[62:63], 0, v[36:37]
	global_load_ushort v3, v[104:105], off
	v_lshl_add_u64 v[104:105], v[64:65], 0, v[36:37]
	global_load_ushort v30, v[104:105], off
	s_waitcnt vmcnt(1)
	v_cvt_f32_f16_e32 v14, v3
	s_waitcnt vmcnt(0)
	v_cvt_f32_f16_e32 v30, v30
	s_or_b64 exec, exec, s[64:65]
	s_and_saveexec_b64 s[64:65], s[6:7]
	s_cbranch_execz .LBB82_60
.LBB82_75:                              ;   in Loop: Header=BB82_5 Depth=1
	v_lshl_add_u64 v[104:105], v[58:59], 0, v[36:37]
	global_load_ushort v3, v[104:105], off
	v_lshl_add_u64 v[104:105], v[60:61], 0, v[36:37]
	global_load_ushort v31, v[104:105], off
	s_waitcnt vmcnt(1)
	v_cvt_f32_f16_e32 v15, v3
	s_waitcnt vmcnt(0)
	v_cvt_f32_f16_e32 v31, v31
	s_or_b64 exec, exec, s[64:65]
	s_and_saveexec_b64 s[64:65], s[6:7]
	s_cbranch_execz .LBB82_61
.LBB82_76:                              ;   in Loop: Header=BB82_5 Depth=1
	v_lshl_add_u64 v[104:105], v[54:55], 0, v[36:37]
	global_load_ushort v3, v[104:105], off
	v_lshl_add_u64 v[104:105], v[56:57], 0, v[36:37]
	global_load_ushort v32, v[104:105], off
	s_waitcnt vmcnt(1)
	v_cvt_f32_f16_e32 v16, v3
	s_waitcnt vmcnt(0)
	v_cvt_f32_f16_e32 v32, v32
	s_or_b64 exec, exec, s[64:65]
	s_and_saveexec_b64 s[64:65], s[6:7]
	s_cbranch_execz .LBB82_62
.LBB82_77:                              ;   in Loop: Header=BB82_5 Depth=1
	v_lshl_add_u64 v[104:105], v[50:51], 0, v[36:37]
	global_load_ushort v3, v[104:105], off
	v_lshl_add_u64 v[104:105], v[52:53], 0, v[36:37]
	global_load_ushort v33, v[104:105], off
	s_waitcnt vmcnt(1)
	v_cvt_f32_f16_e32 v17, v3
	s_waitcnt vmcnt(0)
	v_cvt_f32_f16_e32 v33, v33
	s_or_b64 exec, exec, s[64:65]
	s_and_saveexec_b64 s[64:65], s[6:7]
	s_cbranch_execz .LBB82_63
.LBB82_78:                              ;   in Loop: Header=BB82_5 Depth=1
	v_lshl_add_u64 v[104:105], v[46:47], 0, v[36:37]
	global_load_ushort v3, v[104:105], off
	v_lshl_add_u64 v[104:105], v[48:49], 0, v[36:37]
	global_load_ushort v34, v[104:105], off
	s_waitcnt vmcnt(1)
	v_cvt_f32_f16_e32 v18, v3
	s_waitcnt vmcnt(0)
	v_cvt_f32_f16_e32 v34, v34
	s_or_b64 exec, exec, s[64:65]
	s_and_saveexec_b64 s[64:65], s[6:7]
	s_cbranch_execz .LBB82_3
.LBB82_79:                              ;   in Loop: Header=BB82_5 Depth=1
	v_lshl_add_u64 v[104:105], v[42:43], 0, v[36:37]
	global_load_ushort v3, v[104:105], off
	v_lshl_add_u64 v[104:105], v[44:45], 0, v[36:37]
	global_load_ushort v35, v[104:105], off
	s_waitcnt vmcnt(1)
	v_cvt_f32_f16_e32 v19, v3
	s_waitcnt vmcnt(0)
	v_cvt_f32_f16_e32 v35, v35
	s_branch .LBB82_3
.LBB82_80:
                                        ; implicit-def: $vgpr69
	s_branch .LBB82_83
.LBB82_81:
	v_mov_b32_e32 v75, v118
.LBB82_82:
	s_cbranch_execnz .LBB82_130
.LBB82_83:
	v_mov_b32_e32 v69, 0
	s_and_b64 vcc, exec, s[4:5]
	v_mov_b32_e32 v68, v69
	s_cbranch_vccnz .LBB82_130
; %bb.84:
	v_mov_b32_e32 v2, 0
	v_bfe_u32 v25, v75, 10, 10
	v_lshlrev_b32_e32 v0, 5, v25
	v_mov_b32_e32 v1, v2
	v_lshl_add_u64 v[0:1], s[20:21], 1, v[0:1]
	v_lshl_add_u64 v[6:7], v[0:1], 0, 2
	v_mov_b64_e32 v[4:5], s[12:13]
	v_mad_u64_u32 v[8:9], s[4:5], s10, v6, v[4:5]
	v_mul_lo_u32 v3, s10, v7
	v_mul_lo_u32 v7, s11, v6
	v_add3_u32 v9, v7, v9, v3
	scratch_store_dwordx2 off, v[8:9], off  ; 8-byte Folded Spill
	v_lshl_add_u64 v[8:9], v[0:1], 0, 4
	v_mad_u64_u32 v[10:11], s[4:5], s10, v8, v[4:5]
	v_mul_lo_u32 v9, s10, v9
	v_mul_lo_u32 v20, s11, v8
	v_add3_u32 v11, v20, v11, v9
	scratch_store_dwordx2 off, v[10:11], off offset:8 ; 8-byte Folded Spill
	v_lshl_add_u64 v[10:11], v[0:1], 0, 6
	v_mad_u64_u32 v[12:13], s[4:5], s10, v10, v[4:5]
	v_mul_lo_u32 v11, s10, v11
	v_mul_lo_u32 v21, s11, v10
	v_add3_u32 v13, v21, v13, v11
	scratch_store_dwordx2 off, v[12:13], off offset:16 ; 8-byte Folded Spill
	;; [unrolled: 6-line block ×5, first 2 shown]
	v_mov_b64_e32 v[18:19], s[14:15]
	v_mad_u64_u32 v[26:27], s[4:5], s10, v6, v[18:19]
	v_add3_u32 v27, v7, v27, v3
	scratch_store_dwordx2 off, v[26:27], off offset:48 ; 8-byte Folded Spill
	v_mad_u64_u32 v[26:27], s[4:5], s10, v8, v[18:19]
	v_lshl_add_u64 v[6:7], v[0:1], 0, 14
	v_add3_u32 v27, v20, v27, v9
	scratch_store_dwordx2 off, v[26:27], off offset:56 ; 8-byte Folded Spill
	v_mad_u64_u32 v[8:9], s[4:5], s10, v6, v[4:5]
	v_mad_u64_u32 v[26:27], s[4:5], s10, v10, v[18:19]
	v_mul_lo_u32 v3, s10, v7
	v_mul_lo_u32 v7, s11, v6
	v_add3_u32 v27, v21, v27, v11
	v_add3_u32 v9, v7, v9, v3
	v_mad_u64_u32 v[10:11], s[4:5], s10, v14, v[18:19]
	scratch_store_dwordx2 off, v[8:9], off offset:64 ; 8-byte Folded Spill
	v_mad_u64_u32 v[8:9], s[4:5], s10, v12, v[18:19]
	v_add3_u32 v11, v23, v11, v15
	v_add3_u32 v9, v22, v9, v13
	scratch_store_dwordx2 off, v[10:11], off offset:88 ; 8-byte Folded Spill
	v_mad_u64_u32 v[10:11], s[4:5], s10, v16, v[18:19]
	scratch_store_dwordx2 off, v[8:9], off offset:80 ; 8-byte Folded Spill
	v_lshl_add_u64 v[8:9], v[0:1], 0, 16
	v_add3_u32 v11, v24, v11, v17
	v_mad_u64_u32 v[12:13], s[4:5], s10, v8, v[4:5]
	scratch_store_dwordx2 off, v[10:11], off offset:104 ; 8-byte Folded Spill
	v_mul_lo_u32 v9, s10, v9
	v_mul_lo_u32 v10, s11, v8
	v_add3_u32 v13, v10, v13, v9
	scratch_store_dwordx2 off, v[12:13], off offset:96 ; 8-byte Folded Spill
	v_mad_u64_u32 v[12:13], s[4:5], s10, v6, v[18:19]
	v_add3_u32 v13, v7, v13, v3
	scratch_store_dwordx2 off, v[12:13], off offset:112 ; 8-byte Folded Spill
	v_lshl_add_u64 v[6:7], v[0:1], 0, 18
	v_mad_u64_u32 v[12:13], s[4:5], s10, v8, v[18:19]
	v_add3_u32 v13, v10, v13, v9
	v_mul_lo_u32 v3, s10, v7
	v_mul_lo_u32 v7, s11, v6
	v_mad_u64_u32 v[8:9], s[4:5], s10, v6, v[4:5]
	v_add3_u32 v9, v7, v9, v3
	scratch_store_dwordx2 off, v[8:9], off offset:128 ; 8-byte Folded Spill
	v_mad_u64_u32 v[8:9], s[4:5], s10, v6, v[18:19]
	v_add3_u32 v9, v7, v9, v3
	v_lshl_add_u64 v[6:7], v[0:1], 0, 20
	scratch_store_dwordx2 off, v[8:9], off offset:136 ; 8-byte Folded Spill
	v_mul_lo_u32 v3, s10, v7
	v_mul_lo_u32 v7, s11, v6
	v_mad_u64_u32 v[8:9], s[4:5], s10, v6, v[4:5]
	v_add3_u32 v9, v7, v9, v3
	scratch_store_dwordx2 off, v[8:9], off offset:144 ; 8-byte Folded Spill
	v_mad_u64_u32 v[8:9], s[4:5], s10, v6, v[18:19]
	v_add3_u32 v9, v7, v9, v3
	v_lshl_add_u64 v[6:7], v[0:1], 0, 22
	scratch_store_dwordx2 off, v[8:9], off offset:152 ; 8-byte Folded Spill
	;; [unrolled: 9-line block ×3, first 2 shown]
	v_mul_lo_u32 v3, s10, v7
	v_mul_lo_u32 v7, s11, v6
	v_mad_u64_u32 v[8:9], s[4:5], s10, v6, v[4:5]
	v_mad_u64_u32 v[82:83], s[4:5], s10, v6, v[18:19]
	v_add3_u32 v9, v7, v9, v3
	v_add3_u32 v83, v7, v83, v3
	v_lshl_add_u64 v[6:7], v[0:1], 0, 26
	v_mul_lo_u32 v3, s10, v7
	v_mul_lo_u32 v7, s11, v6
	v_mad_u64_u32 v[84:85], s[4:5], s10, v6, v[4:5]
	v_mad_u64_u32 v[86:87], s[4:5], s10, v6, v[18:19]
	v_add3_u32 v85, v7, v85, v3
	v_add3_u32 v87, v7, v87, v3
	v_lshl_add_u64 v[6:7], v[0:1], 0, 28
	v_lshl_add_u64 v[0:1], v[0:1], 0, 30
	v_mad_u64_u32 v[92:93], s[4:5], s10, v0, v[4:5]
	v_mad_u64_u32 v[94:95], s[4:5], s10, v0, v[18:19]
	v_mul_lo_u32 v1, s10, v1
	v_mul_lo_u32 v0, s11, v0
	;; [unrolled: 1-line block ×4, first 2 shown]
	v_mad_u64_u32 v[88:89], s[4:5], s10, v6, v[4:5]
	v_mad_u64_u32 v[90:91], s[4:5], s10, v6, v[18:19]
	v_add3_u32 v93, v0, v93, v1
	v_add3_u32 v95, v0, v95, v1
	v_lshlrev_b32_e32 v0, 4, v25
	v_mov_b32_e32 v1, v2
	v_add3_u32 v89, v7, v89, v3
	v_add3_u32 v91, v7, v91, v3
	v_lshl_add_u64 v[6:7], v[0:1], 0, s[20:21]
	scratch_store_dwordx2 off, v[0:1], off offset:184 ; 8-byte Folded Spill
	v_lshl_add_u64 v[0:1], v[6:7], 0, 15
	v_mul_lo_u32 v3, s11, v0
	v_mul_lo_u32 v4, s10, v1
	v_mad_u64_u32 v[0:1], s[4:5], s10, v0, 0
	v_add3_u32 v1, v1, v4, v3
	v_lshl_add_u64 v[4:5], v[6:7], 0, 14
	scratch_store_dwordx2 off, v[8:9], off offset:176 ; 8-byte Folded Spill
	v_mul_lo_u32 v3, s11, v4
	v_mul_lo_u32 v8, s10, v5
	v_mad_u64_u32 v[4:5], s[4:5], s10, v4, 0
	v_add3_u32 v5, v5, v8, v3
	v_lshl_add_u64 v[8:9], v[6:7], 0, 13
	v_mul_lo_u32 v3, s11, v8
	v_mul_lo_u32 v10, s10, v9
	v_mad_u64_u32 v[8:9], s[4:5], s10, v8, 0
	v_add3_u32 v9, v9, v10, v3
	v_lshl_add_u64 v[10:11], v[6:7], 0, 12
	scratch_store_dwordx2 off, v[12:13], off offset:120 ; 8-byte Folded Spill
	v_mul_lo_u32 v3, s11, v10
	v_mul_lo_u32 v12, s10, v11
	v_mad_u64_u32 v[10:11], s[4:5], s10, v10, 0
	v_add3_u32 v11, v11, v12, v3
	v_lshl_add_u64 v[12:13], v[6:7], 0, 11
	v_mul_lo_u32 v3, s11, v12
	v_mul_lo_u32 v14, s10, v13
	v_mad_u64_u32 v[12:13], s[4:5], s10, v12, 0
	v_add3_u32 v13, v13, v14, v3
	v_lshl_add_u64 v[14:15], v[6:7], 0, 10
	;; [unrolled: 5-line block ×7, first 2 shown]
	scratch_store_dwordx2 off, v[26:27], off offset:72 ; 8-byte Folded Spill
	v_mul_lo_u32 v3, s11, v24
	v_mul_lo_u32 v26, s10, v25
	v_mad_u64_u32 v[24:25], s[4:5], s10, v24, 0
	v_add3_u32 v25, v25, v26, v3
	v_lshl_add_u64 v[26:27], v[6:7], 0, 4
	v_mul_lo_u32 v3, s11, v26
	v_mul_lo_u32 v28, s10, v27
	v_mad_u64_u32 v[26:27], s[4:5], s10, v26, 0
	v_add3_u32 v27, v27, v28, v3
	v_lshl_add_u64 v[28:29], v[6:7], 0, 3
	;; [unrolled: 5-line block ×3, first 2 shown]
	s_load_dword s3, s[0:1], 0x44
	v_lshlrev_b64 v[0:1], 1, v[0:1]
	v_mul_lo_u32 v3, s11, v30
	v_mul_lo_u32 v32, s10, v31
	v_mad_u64_u32 v[30:31], s[4:5], s10, v30, 0
	v_lshl_add_u64 v[104:105], s[12:13], 0, v[0:1]
	v_lshl_add_u64 v[106:107], s[14:15], 0, v[0:1]
	v_lshlrev_b64 v[0:1], 1, v[4:5]
	v_lshlrev_b64 v[4:5], 1, v[18:19]
	v_add3_u32 v31, v31, v32, v3
	v_mov_b64_e32 v[32:33], s[10:11]
	v_lshl_add_u64 v[36:37], s[12:13], 0, v[4:5]
	v_lshl_add_u64 v[38:39], s[14:15], 0, v[4:5]
	v_lshlrev_b64 v[4:5], 1, v[20:21]
	v_mad_u64_u32 v[32:33], s[4:5], s10, v6, v[32:33]
	v_mul_lo_u32 v3, s11, v6
	v_mul_lo_u32 v34, s10, v7
	v_mad_u64_u32 v[6:7], s[4:5], s10, v6, 0
	v_lshl_add_u64 v[40:41], s[12:13], 0, v[4:5]
	v_lshl_add_u64 v[42:43], s[14:15], 0, v[4:5]
	v_lshlrev_b64 v[4:5], 1, v[22:23]
	s_add_u32 s4, s0, 64
	v_lshl_add_u64 v[108:109], s[12:13], 0, v[0:1]
	v_lshl_add_u64 v[110:111], s[14:15], 0, v[0:1]
	v_lshlrev_b64 v[0:1], 1, v[8:9]
	v_lshl_add_u64 v[44:45], s[12:13], 0, v[4:5]
	v_lshl_add_u64 v[46:47], s[14:15], 0, v[4:5]
	v_lshlrev_b64 v[4:5], 1, v[24:25]
	s_addc_u32 s5, s1, 0
	s_waitcnt lgkmcnt(0)
	s_lshl_b32 s3, s3, 8
	v_lshl_add_u64 v[112:113], s[12:13], 0, v[0:1]
	v_lshl_add_u64 v[114:115], s[14:15], 0, v[0:1]
	v_lshlrev_b64 v[0:1], 1, v[10:11]
	v_lshl_add_u64 v[48:49], s[12:13], 0, v[4:5]
	v_lshl_add_u64 v[50:51], s[14:15], 0, v[4:5]
	v_lshlrev_b64 v[4:5], 1, v[26:27]
	v_add3_u32 v7, v7, v34, v3
	v_add3_u32 v33, v3, v33, v34
	v_and_b32_e32 v3, 0x3ff, v75
	s_mul_i32 s6, s11, s3
	s_mul_hi_u32 s7, s10, s3
	v_lshl_add_u64 v[116:117], s[12:13], 0, v[0:1]
	v_lshl_add_u64 v[118:119], s[14:15], 0, v[0:1]
	v_lshlrev_b64 v[0:1], 1, v[12:13]
	v_lshl_add_u64 v[52:53], s[12:13], 0, v[4:5]
	v_lshl_add_u64 v[54:55], s[14:15], 0, v[4:5]
	v_lshlrev_b64 v[4:5], 1, v[28:29]
	v_add_u32_e32 v34, s33, v3
	s_add_i32 s7, s7, s6
	s_mul_i32 s6, s10, s3
	v_lshl_add_u64 v[120:121], s[12:13], 0, v[0:1]
	v_lshl_add_u64 v[122:123], s[14:15], 0, v[0:1]
	v_lshlrev_b64 v[0:1], 1, v[14:15]
	v_lshl_add_u64 v[56:57], s[12:13], 0, v[4:5]
	v_lshl_add_u64 v[58:59], s[14:15], 0, v[4:5]
	v_lshlrev_b64 v[4:5], 1, v[30:31]
	v_mbcnt_lo_u32_b32 v3, -1, 0
	v_lshlrev_b64 v[6:7], 1, v[6:7]
	s_lshl_b64 s[6:7], s[6:7], 1
	v_lshl_add_u64 v[124:125], s[12:13], 0, v[0:1]
	v_lshl_add_u64 v[126:127], s[14:15], 0, v[0:1]
	v_lshlrev_b64 v[0:1], 1, v[16:17]
	v_lshl_add_u64 v[60:61], s[12:13], 0, v[4:5]
	v_lshl_add_u64 v[62:63], s[14:15], 0, v[4:5]
	v_lshlrev_b64 v[4:5], 1, v[32:33]
	v_mbcnt_hi_u32_b32 v3, -1, v3
	v_mov_b32_e32 v35, v2
	v_lshl_add_u64 v[100:101], s[12:13], 0, v[6:7]
	v_lshl_add_u64 v[102:103], s[14:15], 0, v[6:7]
	s_add_u32 s22, s20, 0xff
	v_lshl_add_u64 v[96:97], s[12:13], 0, v[0:1]
	v_lshl_add_u64 v[0:1], s[14:15], 0, v[0:1]
	;; [unrolled: 1-line block ×4, first 2 shown]
	s_movk_i32 s12, 0xff01
	s_movk_i32 s14, 0xff02
	s_movk_i32 s24, 0xff03
	s_movk_i32 s26, 0xff04
	s_movk_i32 s28, 0xff05
	s_movk_i32 s30, 0xff06
	s_movk_i32 s34, 0xff07
	s_movk_i32 s36, 0xff08
	s_movk_i32 s38, 0xff09
	s_movk_i32 s40, 0xff0a
	s_movk_i32 s42, 0xff0b
	s_movk_i32 s44, 0xff0c
	s_movk_i32 s46, 0xff0d
	s_movk_i32 s48, 0xff0e
	s_movk_i32 s50, 0xff0f
	s_movk_i32 s52, 0xff10
	v_lshlrev_b32_e32 v3, 2, v3
	v_lshlrev_b64 v[98:99], 1, v[34:35]
	s_addc_u32 s23, 0, 0
	s_mov_b32 s13, -1
	s_mov_b32 s15, -1
	;; [unrolled: 1-line block ×16, first 2 shown]
	v_and_b32_e32 v72, 0x100, v3
	v_mov_b32_e32 v68, 0
	v_mov_b32_e32 v69, v2
	s_branch .LBB82_88
.LBB82_85:                              ;   in Loop: Header=BB82_88 Depth=1
	s_or_b64 exec, exec, s[56:57]
.LBB82_86:                              ;   in Loop: Header=BB82_88 Depth=1
	s_or_b64 exec, exec, s[54:55]
	v_lshl_add_u64 v[4:5], v[100:101], 0, v[98:99]
	global_load_ushort v4, v[4:5], off
	v_lshl_add_u64 v[20:21], v[82:83], 0, v[98:99]
	v_lshl_add_u64 v[22:23], v[86:87], 0, v[98:99]
	;; [unrolled: 1-line block ×3, first 2 shown]
	s_waitcnt vmcnt(2)
	ds_bpermute_b32 v70, v72, v3
	scratch_load_dwordx2 v[6:7], off, off offset:104 ; 8-byte Folded Reload
	scratch_load_dwordx2 v[8:9], off, off offset:112 ; 8-byte Folded Reload
	;; [unrolled: 1-line block ×6, first 2 shown]
	s_waitcnt vmcnt(6)
	v_cvt_f32_f16_e32 v24, v4
	v_lshl_add_u64 v[4:5], v[102:103], 0, v[98:99]
	global_load_ushort v4, v[4:5], off
	s_waitcnt vmcnt(6)
	v_lshl_add_u64 v[6:7], v[6:7], 0, v[98:99]
	s_waitcnt vmcnt(5)
	v_lshl_add_u64 v[8:9], v[8:9], 0, v[98:99]
	;; [unrolled: 2-line block ×6, first 2 shown]
	s_waitcnt vmcnt(0)
	v_cvt_f32_f16_e32 v25, v4
	scratch_load_dwordx2 v[4:5], off, off   ; 8-byte Folded Reload
	s_waitcnt lgkmcnt(0)
	v_sub_f32_e32 v25, v25, v70
	ds_bpermute_b32 v70, v72, v3 offset:4
	v_mul_f32_e32 v25, v25, v24
	s_waitcnt vmcnt(0)
	v_lshl_add_u64 v[4:5], v[4:5], 0, v[98:99]
	global_load_ushort v4, v[4:5], off
	s_waitcnt vmcnt(0)
	v_cvt_f32_f16_e32 v26, v4
	scratch_load_dwordx2 v[4:5], off, off offset:48 ; 8-byte Folded Reload
	s_waitcnt vmcnt(0)
	v_lshl_add_u64 v[4:5], v[4:5], 0, v[98:99]
	global_load_ushort v4, v[4:5], off
	s_waitcnt vmcnt(0)
	v_cvt_f32_f16_e32 v27, v4
	scratch_load_dwordx2 v[4:5], off, off offset:8 ; 8-byte Folded Reload
	s_waitcnt lgkmcnt(0)
	v_sub_f32_e32 v27, v27, v70
	v_mul_f32_e32 v27, v27, v26
	ds_bpermute_b32 v70, v72, v3 offset:8
	s_waitcnt vmcnt(0)
	v_lshl_add_u64 v[4:5], v[4:5], 0, v[98:99]
	global_load_ushort v4, v[4:5], off
	s_waitcnt vmcnt(0)
	v_cvt_f32_f16_e32 v28, v4
	scratch_load_dwordx2 v[4:5], off, off offset:56 ; 8-byte Folded Reload
	s_waitcnt vmcnt(0)
	v_lshl_add_u64 v[4:5], v[4:5], 0, v[98:99]
	global_load_ushort v4, v[4:5], off
	s_waitcnt vmcnt(0)
	v_cvt_f32_f16_e32 v29, v4
	scratch_load_dwordx2 v[4:5], off, off offset:16 ; 8-byte Folded Reload
	s_waitcnt lgkmcnt(0)
	v_sub_f32_e32 v29, v29, v70
	ds_bpermute_b32 v70, v72, v3 offset:12
	v_mul_f32_e32 v29, v29, v28
	s_waitcnt vmcnt(0)
	v_lshl_add_u64 v[4:5], v[4:5], 0, v[98:99]
	global_load_ushort v4, v[4:5], off
	s_waitcnt vmcnt(0)
	v_cvt_f32_f16_e32 v30, v4
	scratch_load_dwordx2 v[4:5], off, off offset:72 ; 8-byte Folded Reload
	s_waitcnt vmcnt(0)
	v_lshl_add_u64 v[4:5], v[4:5], 0, v[98:99]
	global_load_ushort v4, v[4:5], off
	s_waitcnt vmcnt(0)
	v_cvt_f32_f16_e32 v31, v4
	scratch_load_dwordx2 v[4:5], off, off offset:24 ; 8-byte Folded Reload
	s_waitcnt lgkmcnt(0)
	v_sub_f32_e32 v31, v31, v70
	ds_bpermute_b32 v70, v72, v3 offset:16
	v_mul_f32_e32 v31, v31, v30
	;; [unrolled: 16-line block ×3, first 2 shown]
	s_waitcnt vmcnt(0)
	v_lshl_add_u64 v[4:5], v[4:5], 0, v[98:99]
	global_load_ushort v4, v[4:5], off
	s_waitcnt vmcnt(0)
	v_cvt_f32_f16_e32 v34, v4
	scratch_load_dwordx2 v[4:5], off, off offset:88 ; 8-byte Folded Reload
	s_waitcnt vmcnt(0)
	v_lshl_add_u64 v[4:5], v[4:5], 0, v[98:99]
	global_load_ushort v4, v[4:5], off
	s_waitcnt vmcnt(0)
	v_cvt_f32_f16_e32 v35, v4
	scratch_load_dwordx2 v[4:5], off, off offset:40 ; 8-byte Folded Reload
	s_waitcnt lgkmcnt(0)
	v_sub_f32_e32 v35, v35, v70
	v_mul_f32_e32 v35, v35, v34
	s_waitcnt vmcnt(0)
	v_lshl_add_u64 v[4:5], v[4:5], 0, v[98:99]
	global_load_ushort v4, v[4:5], off
	s_waitcnt vmcnt(0)
	v_cvt_f32_f16_e32 v4, v4
	global_load_ushort v5, v[6:7], off
	s_waitcnt vmcnt(0)
	v_cvt_f32_f16_e32 v5, v5
	scratch_load_dwordx2 v[6:7], off, off offset:64 ; 8-byte Folded Reload
	s_waitcnt vmcnt(0)
	v_lshl_add_u64 v[6:7], v[6:7], 0, v[98:99]
	global_load_ushort v6, v[6:7], off
	s_waitcnt vmcnt(0)
	v_cvt_f32_f16_e32 v6, v6
	global_load_ushort v7, v[8:9], off
	s_waitcnt vmcnt(0)
	v_cvt_f32_f16_e32 v7, v7
	scratch_load_dwordx2 v[8:9], off, off offset:96 ; 8-byte Folded Reload
	s_waitcnt vmcnt(0)
	v_lshl_add_u64 v[8:9], v[8:9], 0, v[98:99]
	global_load_ushort v8, v[8:9], off
	s_waitcnt vmcnt(0)
	v_cvt_f32_f16_e32 v8, v8
	global_load_ushort v9, v[10:11], off
	s_waitcnt vmcnt(0)
	v_cvt_f32_f16_e32 v9, v9
	scratch_load_dwordx2 v[10:11], off, off offset:128 ; 8-byte Folded Reload
	s_waitcnt vmcnt(0)
	v_lshl_add_u64 v[10:11], v[10:11], 0, v[98:99]
	global_load_ushort v10, v[10:11], off
	s_waitcnt vmcnt(0)
	v_cvt_f32_f16_e32 v10, v10
	global_load_ushort v11, v[12:13], off
	s_waitcnt vmcnt(0)
	v_cvt_f32_f16_e32 v11, v11
	scratch_load_dwordx2 v[12:13], off, off offset:144 ; 8-byte Folded Reload
	s_waitcnt vmcnt(0)
	v_lshl_add_u64 v[12:13], v[12:13], 0, v[98:99]
	global_load_ushort v12, v[12:13], off
	s_waitcnt vmcnt(0)
	v_cvt_f32_f16_e32 v12, v12
	global_load_ushort v13, v[14:15], off
	s_waitcnt vmcnt(0)
	v_cvt_f32_f16_e32 v13, v13
	scratch_load_dwordx2 v[14:15], off, off offset:160 ; 8-byte Folded Reload
	s_waitcnt vmcnt(0)
	v_lshl_add_u64 v[14:15], v[14:15], 0, v[98:99]
	global_load_ushort v14, v[14:15], off
	s_waitcnt vmcnt(0)
	v_cvt_f32_f16_e32 v14, v14
	global_load_ushort v15, v[18:19], off
	s_waitcnt vmcnt(0)
	v_cvt_f32_f16_e32 v15, v15
	scratch_load_dwordx2 v[18:19], off, off offset:176 ; 8-byte Folded Reload
	s_waitcnt vmcnt(0)
	v_lshl_add_u64 v[18:19], v[18:19], 0, v[98:99]
	global_load_ushort v16, v[18:19], off
	s_waitcnt vmcnt(0)
	v_cvt_f32_f16_e32 v18, v16
	global_load_ushort v16, v[20:21], off
	v_lshl_add_u64 v[20:21], v[84:85], 0, v[98:99]
	s_waitcnt vmcnt(0)
	v_cvt_f32_f16_e32 v19, v16
	global_load_ushort v16, v[20:21], off
	s_waitcnt vmcnt(0)
	v_cvt_f32_f16_e32 v20, v16
	global_load_ushort v16, v[22:23], off
	v_lshl_add_u64 v[22:23], v[88:89], 0, v[98:99]
	s_waitcnt vmcnt(0)
	v_cvt_f32_f16_e32 v21, v16
	global_load_ushort v16, v[22:23], off
	s_waitcnt vmcnt(0)
	v_cvt_f32_f16_e32 v22, v16
	global_load_ushort v16, v[68:69], off
	v_lshl_add_u64 v[68:69], v[92:93], 0, v[98:99]
	s_waitcnt vmcnt(0)
	v_cvt_f32_f16_e32 v23, v16
	global_load_ushort v16, v[68:69], off
	v_lshl_add_u64 v[68:69], v[94:95], 0, v[98:99]
	global_load_ushort v68, v[68:69], off
	ds_bpermute_b32 v69, v72, v17
	s_waitcnt lgkmcnt(0)
	v_mul_f32_e32 v25, v25, v69
	ds_bpermute_b32 v69, v72, v17 offset:4
	v_pk_add_f32 v[24:25], v[80:81], v[24:25]
	s_waitcnt lgkmcnt(0)
	v_mul_f32_e32 v27, v27, v69
	v_pk_add_f32 v[24:25], v[24:25], v[26:27]
	ds_bpermute_b32 v27, v72, v3 offset:24
	ds_bpermute_b32 v26, v72, v17 offset:24
	;; [unrolled: 1-line block ×3, first 2 shown]
	s_waitcnt lgkmcnt(2)
	v_sub_f32_e32 v5, v5, v27
	ds_bpermute_b32 v27, v72, v3 offset:28
	v_mul_f32_e32 v5, v5, v4
	s_waitcnt lgkmcnt(2)
	v_mul_f32_e32 v5, v5, v26
	ds_bpermute_b32 v26, v72, v17 offset:28
	s_waitcnt lgkmcnt(2)
	v_mul_f32_e32 v29, v29, v69
	s_waitcnt lgkmcnt(1)
	v_sub_f32_e32 v7, v7, v27
	ds_bpermute_b32 v27, v72, v3 offset:32
	v_mul_f32_e32 v7, v7, v6
	s_waitcnt lgkmcnt(1)
	v_mul_f32_e32 v7, v7, v26
	ds_bpermute_b32 v26, v72, v17 offset:32
	ds_bpermute_b32 v69, v72, v17 offset:12
	s_waitcnt lgkmcnt(2)
	v_sub_f32_e32 v9, v9, v27
	ds_bpermute_b32 v27, v72, v3 offset:36
	v_mul_f32_e32 v9, v9, v8
	s_waitcnt lgkmcnt(2)
	v_mul_f32_e32 v9, v9, v26
	ds_bpermute_b32 v26, v72, v17 offset:36
	s_waitcnt lgkmcnt(2)
	v_mul_f32_e32 v31, v31, v69
	s_waitcnt lgkmcnt(1)
	v_sub_f32_e32 v11, v11, v27
	ds_bpermute_b32 v27, v72, v3 offset:40
	v_mul_f32_e32 v11, v11, v10
	s_waitcnt lgkmcnt(1)
	v_mul_f32_e32 v11, v11, v26
	ds_bpermute_b32 v26, v72, v17 offset:40
	ds_bpermute_b32 v69, v72, v17 offset:16
	;; [unrolled: 17-line block ×3, first 2 shown]
	s_waitcnt lgkmcnt(2)
	v_sub_f32_e32 v19, v19, v27
	ds_bpermute_b32 v27, v72, v3 offset:52
	v_pk_add_f32 v[24:25], v[24:25], v[28:29]
	v_mul_f32_e32 v19, v19, v18
	v_pk_add_f32 v[24:25], v[24:25], v[30:31]
	s_waitcnt lgkmcnt(2)
	v_mul_f32_e32 v19, v19, v26
	ds_bpermute_b32 v26, v72, v17 offset:52
	s_waitcnt lgkmcnt(2)
	v_mul_f32_e32 v35, v35, v69
	v_pk_add_f32 v[24:25], v[24:25], v[32:33]
	s_waitcnt lgkmcnt(1)
	v_sub_f32_e32 v21, v21, v27
	v_pk_add_f32 v[24:25], v[24:25], v[34:35]
	ds_bpermute_b32 v27, v72, v3 offset:56
	v_pk_add_f32 v[4:5], v[24:25], v[4:5]
	v_mul_f32_e32 v21, v21, v20
	v_pk_add_f32 v[4:5], v[4:5], v[6:7]
	ds_bpermute_b32 v3, v72, v3 offset:60
	s_waitcnt lgkmcnt(2)
	v_mul_f32_e32 v21, v21, v26
	ds_bpermute_b32 v26, v72, v17 offset:56
	v_pk_add_f32 v[4:5], v[4:5], v[8:9]
	ds_bpermute_b32 v6, v72, v17 offset:60
	v_pk_add_f32 v[4:5], v[4:5], v[10:11]
	s_waitcnt lgkmcnt(3)
	v_sub_f32_e32 v23, v23, v27
	v_pk_add_f32 v[4:5], v[4:5], v[12:13]
	s_waitcnt vmcnt(1)
	v_cvt_f32_f16_e32 v16, v16
	v_pk_add_f32 v[4:5], v[4:5], v[14:15]
	s_waitcnt vmcnt(0)
	v_cvt_f32_f16_e32 v68, v68
	v_mul_f32_e32 v23, v23, v22
	v_pk_add_f32 v[4:5], v[4:5], v[18:19]
	s_waitcnt lgkmcnt(1)
	v_mul_f32_e32 v23, v23, v26
	v_sub_f32_e32 v3, v68, v3
	v_pk_add_f32 v[4:5], v[4:5], v[20:21]
	v_mul_f32_e32 v3, v3, v16
	v_pk_add_f32 v[4:5], v[4:5], v[22:23]
	s_waitcnt lgkmcnt(0)
	v_mul_f32_e32 v17, v3, v6
	v_pk_add_f32 v[68:69], v[4:5], v[16:17]
.LBB82_87:                              ;   in Loop: Header=BB82_88 Depth=1
	s_add_u32 s20, s20, s3
	s_addc_u32 s21, s21, 0
	v_mov_b64_e32 v[4:5], s[8:9]
	v_cmp_ge_i64_e32 vcc, s[20:21], v[4:5]
	scratch_load_dwordx2 v[4:5], off, off   ; 8-byte Folded Reload
	s_add_u32 s22, s22, s3
	v_lshl_add_u64 v[100:101], v[100:101], 0, s[6:7]
	v_lshl_add_u64 v[102:103], v[102:103], 0, s[6:7]
	s_addc_u32 s23, s23, 0
	v_lshl_add_u64 v[84:85], v[84:85], 0, s[6:7]
	v_lshl_add_u64 v[88:89], v[88:89], 0, s[6:7]
	;; [unrolled: 1-line block ×37, first 2 shown]
	s_and_b64 vcc, exec, vcc
	s_waitcnt vmcnt(0)
	v_lshl_add_u64 v[4:5], v[4:5], 0, s[6:7]
	scratch_store_dwordx2 off, v[4:5], off  ; 8-byte Folded Spill
	scratch_load_dwordx2 v[4:5], off, off offset:8 ; 8-byte Folded Reload
	s_waitcnt vmcnt(0)
	v_lshl_add_u64 v[4:5], v[4:5], 0, s[6:7]
	scratch_store_dwordx2 off, v[4:5], off offset:8 ; 8-byte Folded Spill
	scratch_load_dwordx2 v[4:5], off, off offset:16 ; 8-byte Folded Reload
	s_waitcnt vmcnt(0)
	v_lshl_add_u64 v[4:5], v[4:5], 0, s[6:7]
	scratch_store_dwordx2 off, v[4:5], off offset:16 ; 8-byte Folded Spill
	;; [unrolled: 4-line block ×22, first 2 shown]
	s_cbranch_vccnz .LBB82_130
.LBB82_88:                              ; =>This Inner Loop Header: Depth=1
	v_mov_b64_e32 v[4:5], s[8:9]
	v_cmp_ge_i64_e32 vcc, s[22:23], v[4:5]
	scratch_load_dwordx2 v[4:5], off, off offset:184 ; 8-byte Folded Reload
	v_mov_b32_e32 v80, v68
	v_mov_b32_e32 v81, v69
	s_mov_b64 s[54:55], -1
                                        ; implicit-def: $vgpr69
	s_waitcnt vmcnt(0)
	v_lshl_add_u64 v[70:71], v[4:5], 0, s[22:23]
	s_cbranch_vccz .LBB82_126
; %bb.89:                               ;   in Loop: Header=BB82_88 Depth=1
	s_load_dword s33, s[4:5], 0xc
	v_bfe_u32 v3, v75, 10, 10
	v_and_b32_e32 v4, 0x3ff, v75
	v_mov_b32_e32 v74, 0
	v_mov_b32_e32 v73, 0
	s_waitcnt lgkmcnt(0)
	s_and_b32 s33, s33, 0xffff
	v_mad_u32_u24 v3, v3, s33, v4
	v_and_b32_e32 v4, 63, v3
	v_cmp_gt_u32_e32 vcc, 16, v4
	s_and_saveexec_b64 s[54:55], vcc
	s_cbranch_execz .LBB82_93
; %bb.90:                               ;   in Loop: Header=BB82_88 Depth=1
	v_mov_b32_e32 v5, v2
	v_lshl_add_u64 v[4:5], v[70:71], 0, v[4:5]
	v_lshl_add_u64 v[4:5], v[4:5], 0, s[12:13]
	v_cmp_gt_i64_e32 vcc, s[8:9], v[4:5]
	v_mov_b32_e32 v73, 0
	v_mov_b32_e32 v74, 0
	s_and_saveexec_b64 s[56:57], vcc
	s_cbranch_execz .LBB82_92
; %bb.91:                               ;   in Loop: Header=BB82_88 Depth=1
	v_lshlrev_b64 v[4:5], 2, v[4:5]
	v_lshl_add_u64 v[6:7], s[18:19], 0, v[4:5]
	v_lshl_add_u64 v[4:5], s[16:17], 0, v[4:5]
	global_load_dword v73, v[4:5], off
	global_load_dword v74, v[6:7], off
.LBB82_92:                              ;   in Loop: Header=BB82_88 Depth=1
	s_or_b64 exec, exec, s[56:57]
.LBB82_93:                              ;   in Loop: Header=BB82_88 Depth=1
	s_or_b64 exec, exec, s[54:55]
	v_lshl_add_u64 v[4:5], v[70:71], 0, s[12:13]
	v_mov_b32_e32 v16, v2
	v_mov_b32_e32 v17, v2
	v_cmp_gt_i64_e32 vcc, s[8:9], v[4:5]
	v_mov_b32_e32 v3, v2
	v_mov_b32_e32 v4, v2
	;; [unrolled: 1-line block ×13, first 2 shown]
	v_mov_b64_e32 v[34:35], v[16:17]
	v_mov_b64_e32 v[32:33], v[14:15]
	v_mov_b64_e32 v[30:31], v[12:13]
	v_mov_b64_e32 v[28:29], v[10:11]
	v_mov_b64_e32 v[26:27], v[8:9]
	v_mov_b64_e32 v[24:25], v[6:7]
	v_mov_b64_e32 v[22:23], v[4:5]
	v_mov_b64_e32 v[20:21], v[2:3]
	v_mov_b64_e32 v[18:19], v[16:17]
	v_mov_b64_e32 v[16:17], v[14:15]
	v_mov_b64_e32 v[14:15], v[12:13]
	v_mov_b64_e32 v[12:13], v[10:11]
	v_mov_b64_e32 v[10:11], v[8:9]
	v_mov_b64_e32 v[8:9], v[6:7]
	v_mov_b64_e32 v[6:7], v[4:5]
	v_mov_b64_e32 v[4:5], v[2:3]
	s_and_saveexec_b64 s[54:55], vcc
	s_cbranch_execz .LBB82_95
; %bb.94:                               ;   in Loop: Header=BB82_88 Depth=1
	v_lshl_add_u64 v[4:5], v[100:101], 0, v[98:99]
	global_load_ushort v3, v[4:5], off
	v_lshl_add_u64 v[4:5], v[102:103], 0, v[98:99]
	global_load_ushort v20, v[4:5], off
	v_mov_b32_e32 v5, v2
	v_mov_b32_e32 v6, v2
	;; [unrolled: 1-line block ×30, first 2 shown]
	s_waitcnt vmcnt(1)
	v_cvt_f32_f16_e32 v4, v3
	s_waitcnt vmcnt(0)
	v_cvt_f32_f16_e32 v20, v20
.LBB82_95:                              ;   in Loop: Header=BB82_88 Depth=1
	s_or_b64 exec, exec, s[54:55]
	v_lshl_add_u64 v[68:69], v[70:71], 0, s[14:15]
	v_cmp_gt_i64_e32 vcc, s[8:9], v[68:69]
	s_and_saveexec_b64 s[54:55], vcc
	s_cbranch_execz .LBB82_97
; %bb.96:                               ;   in Loop: Header=BB82_88 Depth=1
	v_lshl_add_u64 v[68:69], v[64:65], 0, v[98:99]
	global_load_ushort v3, v[68:69], off
	v_lshl_add_u64 v[68:69], v[66:67], 0, v[98:99]
	global_load_ushort v21, v[68:69], off
	s_waitcnt vmcnt(1)
	v_cvt_f32_f16_e32 v5, v3
	s_waitcnt vmcnt(0)
	v_cvt_f32_f16_e32 v21, v21
.LBB82_97:                              ;   in Loop: Header=BB82_88 Depth=1
	s_or_b64 exec, exec, s[54:55]
	v_lshl_add_u64 v[68:69], v[70:71], 0, s[24:25]
	v_cmp_gt_i64_e32 vcc, s[8:9], v[68:69]
	s_and_saveexec_b64 s[54:55], vcc
	s_cbranch_execz .LBB82_99
; %bb.98:                               ;   in Loop: Header=BB82_88 Depth=1
	v_lshl_add_u64 v[68:69], v[60:61], 0, v[98:99]
	global_load_ushort v3, v[68:69], off
	v_lshl_add_u64 v[68:69], v[62:63], 0, v[98:99]
	global_load_ushort v22, v[68:69], off
	s_waitcnt vmcnt(1)
	v_cvt_f32_f16_e32 v6, v3
	s_waitcnt vmcnt(0)
	v_cvt_f32_f16_e32 v22, v22
.LBB82_99:                              ;   in Loop: Header=BB82_88 Depth=1
	s_or_b64 exec, exec, s[54:55]
	v_lshl_add_u64 v[68:69], v[70:71], 0, s[26:27]
	v_cmp_gt_i64_e32 vcc, s[8:9], v[68:69]
	s_and_saveexec_b64 s[54:55], vcc
	s_cbranch_execz .LBB82_101
; %bb.100:                              ;   in Loop: Header=BB82_88 Depth=1
	v_lshl_add_u64 v[68:69], v[56:57], 0, v[98:99]
	global_load_ushort v3, v[68:69], off
	v_lshl_add_u64 v[68:69], v[58:59], 0, v[98:99]
	global_load_ushort v23, v[68:69], off
	s_waitcnt vmcnt(1)
	v_cvt_f32_f16_e32 v7, v3
	s_waitcnt vmcnt(0)
	v_cvt_f32_f16_e32 v23, v23
.LBB82_101:                             ;   in Loop: Header=BB82_88 Depth=1
	s_or_b64 exec, exec, s[54:55]
	v_lshl_add_u64 v[68:69], v[70:71], 0, s[28:29]
	v_cmp_gt_i64_e32 vcc, s[8:9], v[68:69]
	s_and_saveexec_b64 s[54:55], vcc
	s_cbranch_execz .LBB82_103
; %bb.102:                              ;   in Loop: Header=BB82_88 Depth=1
	v_lshl_add_u64 v[68:69], v[52:53], 0, v[98:99]
	global_load_ushort v3, v[68:69], off
	v_lshl_add_u64 v[68:69], v[54:55], 0, v[98:99]
	global_load_ushort v24, v[68:69], off
	s_waitcnt vmcnt(1)
	v_cvt_f32_f16_e32 v8, v3
	s_waitcnt vmcnt(0)
	v_cvt_f32_f16_e32 v24, v24
.LBB82_103:                             ;   in Loop: Header=BB82_88 Depth=1
	;; [unrolled: 15-line block ×13, first 2 shown]
	s_or_b64 exec, exec, s[54:55]
	s_waitcnt vmcnt(1)
	ds_bpermute_b32 v68, v72, v73
	s_waitcnt vmcnt(0)
	ds_bpermute_b32 v3, v72, v74
	v_mov_b32_e32 v76, v6
	v_mov_b32_e32 v78, v8
	s_mov_b64 s[54:55], 0
	s_waitcnt lgkmcnt(1)
	v_sub_f32_e32 v20, v20, v68
	v_mul_f32_e32 v20, v4, v20
	s_waitcnt lgkmcnt(0)
	v_mul_f32_e32 v69, v20, v3
	ds_bpermute_b32 v20, v72, v73 offset:4
	ds_bpermute_b32 v3, v72, v74 offset:4
	v_mov_b32_e32 v68, v4
	v_pk_add_f32 v[68:69], v[80:81], v[68:69]
	s_waitcnt lgkmcnt(1)
	v_sub_f32_e32 v20, v21, v20
	v_mul_f32_e32 v20, v5, v20
	s_waitcnt lgkmcnt(0)
	v_mul_f32_e32 v21, v20, v3
	ds_bpermute_b32 v20, v72, v73 offset:8
	ds_bpermute_b32 v3, v72, v74 offset:8
	s_waitcnt lgkmcnt(1)
	v_sub_f32_e32 v20, v22, v20
	v_mul_f32_e32 v20, v6, v20
	s_waitcnt lgkmcnt(0)
	v_mul_f32_e32 v77, v20, v3
	ds_bpermute_b32 v20, v72, v73 offset:12
	ds_bpermute_b32 v3, v72, v74 offset:12
	;; [unrolled: 1-line block ×3, first 2 shown]
	v_mov_b32_e32 v22, v7
	s_waitcnt lgkmcnt(2)
	v_sub_f32_e32 v20, v23, v20
	v_mul_f32_e32 v20, v7, v20
	s_waitcnt lgkmcnt(1)
	v_mul_f32_e32 v23, v20, v3
	ds_bpermute_b32 v20, v72, v73 offset:16
	ds_bpermute_b32 v3, v72, v74 offset:16
	s_waitcnt lgkmcnt(2)
	v_sub_f32_e32 v6, v26, v6
	v_mul_f32_e32 v6, v10, v6
	v_mov_b32_e32 v26, v15
	s_waitcnt lgkmcnt(1)
	v_sub_f32_e32 v20, v24, v20
	v_mul_f32_e32 v20, v8, v20
	s_waitcnt lgkmcnt(0)
	v_mul_f32_e32 v79, v20, v3
	ds_bpermute_b32 v20, v72, v73 offset:20
	ds_bpermute_b32 v3, v72, v74 offset:20
	v_mov_b32_e32 v24, v9
	v_mov_b32_e32 v8, v11
	s_waitcnt lgkmcnt(1)
	v_sub_f32_e32 v20, v25, v20
	v_mul_f32_e32 v20, v9, v20
	s_waitcnt lgkmcnt(0)
	v_mul_f32_e32 v25, v20, v3
	ds_bpermute_b32 v3, v72, v74 offset:24
	v_mov_b32_e32 v20, v5
	v_pk_add_f32 v[4:5], v[20:21], v[68:69]
	v_mov_b32_e32 v20, v12
	v_pk_add_f32 v[4:5], v[76:77], v[4:5]
	s_waitcnt lgkmcnt(0)
	v_mul_f32_e32 v7, v6, v3
	ds_bpermute_b32 v6, v72, v73 offset:28
	ds_bpermute_b32 v3, v72, v74 offset:28
	v_pk_add_f32 v[4:5], v[22:23], v[4:5]
	v_mov_b32_e32 v22, v13
	v_pk_add_f32 v[4:5], v[78:79], v[4:5]
	s_waitcnt lgkmcnt(1)
	v_sub_f32_e32 v6, v27, v6
	v_mul_f32_e32 v6, v11, v6
	s_waitcnt lgkmcnt(0)
	v_mul_f32_e32 v9, v6, v3
	ds_bpermute_b32 v6, v72, v73 offset:32
	ds_bpermute_b32 v3, v72, v74 offset:32
	v_pk_add_f32 v[4:5], v[24:25], v[4:5]
	v_mov_b32_e32 v24, v14
	s_waitcnt lgkmcnt(1)
	v_sub_f32_e32 v6, v28, v6
	v_mul_f32_e32 v6, v12, v6
	s_waitcnt lgkmcnt(0)
	v_mul_f32_e32 v21, v6, v3
	ds_bpermute_b32 v6, v72, v73 offset:36
	ds_bpermute_b32 v3, v72, v74 offset:36
	v_mov_b32_e32 v28, v16
	s_waitcnt lgkmcnt(1)
	v_sub_f32_e32 v6, v29, v6
	v_mul_f32_e32 v6, v13, v6
	s_waitcnt lgkmcnt(0)
	v_mul_f32_e32 v23, v6, v3
	ds_bpermute_b32 v6, v72, v73 offset:40
	ds_bpermute_b32 v3, v72, v74 offset:40
	s_waitcnt lgkmcnt(1)
	v_sub_f32_e32 v6, v30, v6
	v_mul_f32_e32 v6, v14, v6
	s_waitcnt lgkmcnt(0)
	v_mul_f32_e32 v25, v6, v3
	ds_bpermute_b32 v6, v72, v73 offset:44
	ds_bpermute_b32 v3, v72, v74 offset:44
	v_mov_b32_e32 v30, v17
	s_waitcnt lgkmcnt(1)
	v_sub_f32_e32 v6, v31, v6
	v_mul_f32_e32 v6, v15, v6
	s_waitcnt lgkmcnt(0)
	v_mul_f32_e32 v27, v6, v3
	ds_bpermute_b32 v6, v72, v73 offset:48
	ds_bpermute_b32 v3, v72, v74 offset:48
	s_waitcnt lgkmcnt(1)
	v_sub_f32_e32 v6, v32, v6
	v_mul_f32_e32 v6, v16, v6
	s_waitcnt lgkmcnt(0)
	v_mul_f32_e32 v29, v6, v3
	ds_bpermute_b32 v6, v72, v73 offset:52
	ds_bpermute_b32 v3, v72, v74 offset:52
	v_mov_b32_e32 v32, v18
	s_waitcnt lgkmcnt(1)
	v_sub_f32_e32 v6, v33, v6
	v_mul_f32_e32 v6, v17, v6
	s_waitcnt lgkmcnt(0)
	v_mul_f32_e32 v31, v6, v3
	ds_bpermute_b32 v6, v72, v73 offset:56
	ds_bpermute_b32 v3, v72, v74 offset:56
	s_waitcnt lgkmcnt(1)
	v_sub_f32_e32 v6, v34, v6
	v_mul_f32_e32 v6, v18, v6
	s_waitcnt lgkmcnt(0)
	v_mul_f32_e32 v33, v6, v3
	v_mov_b32_e32 v6, v10
	v_pk_add_f32 v[4:5], v[6:7], v[4:5]
	ds_bpermute_b32 v6, v72, v73 offset:60
	v_pk_add_f32 v[4:5], v[8:9], v[4:5]
	ds_bpermute_b32 v3, v72, v74 offset:60
	v_pk_add_f32 v[4:5], v[20:21], v[4:5]
	s_waitcnt lgkmcnt(1)
	v_sub_f32_e32 v6, v35, v6
	v_pk_add_f32 v[4:5], v[22:23], v[4:5]
	v_mul_f32_e32 v6, v19, v6
	v_pk_add_f32 v[4:5], v[24:25], v[4:5]
	s_waitcnt lgkmcnt(0)
	v_mul_f32_e32 v7, v6, v3
	v_pk_add_f32 v[4:5], v[26:27], v[4:5]
	v_mov_b32_e32 v6, v19
	v_pk_add_f32 v[4:5], v[28:29], v[4:5]
	s_nop 0
	v_pk_add_f32 v[4:5], v[30:31], v[4:5]
	s_nop 0
	;; [unrolled: 2-line block ×3, first 2 shown]
	v_pk_add_f32 v[68:69], v[6:7], v[4:5]
.LBB82_126:                             ;   in Loop: Header=BB82_88 Depth=1
	s_and_b64 vcc, exec, s[54:55]
	s_cbranch_vccz .LBB82_87
; %bb.127:                              ;   in Loop: Header=BB82_88 Depth=1
	s_load_dword s33, s[4:5], 0x0
	v_bfe_u32 v4, v75, 10, 10
	v_and_b32_e32 v5, 0x3ff, v75
	v_mov_b32_e32 v17, 0
	s_waitcnt lgkmcnt(0)
	s_cmp_lt_u32 s2, s33
	s_cselect_b32 s33, 12, 18
	s_add_u32 s54, s4, s33
	s_addc_u32 s55, s5, 0
	global_load_ushort v3, v2, s[54:55]
	s_waitcnt vmcnt(0)
	v_mad_u32_u24 v3, v4, v3, v5
	v_and_b32_e32 v4, 63, v3
	v_cmp_gt_u32_e32 vcc, 16, v4
	v_mov_b32_e32 v3, 0
	s_and_saveexec_b64 s[54:55], vcc
	s_cbranch_execz .LBB82_86
; %bb.128:                              ;   in Loop: Header=BB82_88 Depth=1
	v_mov_b32_e32 v5, v2
	v_lshl_add_u64 v[4:5], v[70:71], 0, v[4:5]
	v_lshl_add_u64 v[4:5], v[4:5], 0, s[12:13]
	v_cmp_gt_i64_e32 vcc, s[8:9], v[4:5]
	v_mov_b32_e32 v3, 0
	v_mov_b32_e32 v17, 0
	s_and_saveexec_b64 s[56:57], vcc
	s_cbranch_execz .LBB82_85
; %bb.129:                              ;   in Loop: Header=BB82_88 Depth=1
	v_lshlrev_b64 v[4:5], 2, v[4:5]
	v_lshl_add_u64 v[6:7], s[18:19], 0, v[4:5]
	v_lshl_add_u64 v[4:5], s[16:17], 0, v[4:5]
	global_load_dword v3, v[4:5], off
	global_load_dword v17, v[6:7], off
	s_branch .LBB82_85
.LBB82_130:
	v_and_b32_e32 v1, 0x3ff, v75
	v_bfe_u32 v0, v75, 10, 10
	s_movk_i32 s3, 0x41
	v_mad_u32_u24 v2, v0, s3, v1
	v_lshl_add_u32 v2, v2, 2, 0
	ds_write_b32 v2, v69
	ds_write_b32 v2, v68 offset:4160
	v_bfe_u32 v2, v75, 6, 4
	v_add_u32_e32 v0, v2, v0
	v_cmp_gt_u32_e32 vcc, 64, v0
	s_waitcnt lgkmcnt(0)
	s_barrier
	s_and_saveexec_b64 s[4:5], vcc
	s_cbranch_execz .LBB82_162
; %bb.131:
	s_load_dwordx4 s[12:15], s[0:1], 0x30
	v_and_b32_e32 v2, 63, v1
	v_cmp_lt_u32_e64 s[4:5], 15, v2
	v_cmp_gt_u32_e64 s[0:1], 16, v2
	v_mul_u32_u24_e32 v6, 0x41, v2
                                        ; implicit-def: $vgpr2
	s_and_saveexec_b64 s[6:7], s[0:1]
	s_cbranch_execz .LBB82_133
; %bb.132:
	v_add_u32_e32 v2, v0, v6
	v_lshl_add_u32 v2, v2, 2, 0
	ds_read_b32 v3, v2
	ds_read_b32 v2, v2 offset:4160
.LBB82_133:
	s_or_b64 exec, exec, s[6:7]
	v_mbcnt_lo_u32_b32 v4, -1, 0
	v_mbcnt_hi_u32_b32 v10, -1, v4
	v_and_b32_e32 v4, 64, v10
	v_add_u32_e32 v11, 64, v4
	v_xor_b32_e32 v4, 8, v10
	v_cmp_lt_i32_e32 vcc, v4, v11
	v_xor_b32_e32 v8, 4, v10
	v_xor_b32_e32 v9, 2, v10
	v_cndmask_b32_e32 v4, v10, v4, vcc
	v_lshlrev_b32_e32 v7, 2, v4
	s_waitcnt lgkmcnt(0)
	ds_bpermute_b32 v5, v7, v3
	ds_bpermute_b32 v4, v7, v2
	v_cmp_lt_i32_e32 vcc, v8, v11
	s_mov_b32 s3, 0
	s_lshl_b64 s[6:7], s[2:3], 6
	v_cndmask_b32_e32 v8, v10, v8, vcc
	v_lshlrev_b32_e32 v8, 2, v8
	s_waitcnt lgkmcnt(0)
	v_pk_add_f32 v[2:3], v[2:3], v[4:5]
	ds_bpermute_b32 v5, v8, v3
	ds_bpermute_b32 v4, v8, v2
	v_cmp_lt_i32_e32 vcc, v9, v11
	v_cmp_eq_u32_e64 s[2:3], 0, v1
	v_xor_b32_e32 v1, 1, v10
	v_cndmask_b32_e32 v9, v10, v9, vcc
	v_lshlrev_b32_e32 v9, 2, v9
	s_waitcnt lgkmcnt(0)
	v_pk_add_f32 v[2:3], v[2:3], v[4:5]
	ds_bpermute_b32 v5, v9, v3
	ds_bpermute_b32 v4, v9, v2
	v_cmp_lt_i32_e32 vcc, v1, v11
	s_cmp_lg_u64 s[12:13], 0
	s_cselect_b64 s[16:17], -1, 0
	v_cndmask_b32_e32 v1, v10, v1, vcc
	s_waitcnt lgkmcnt(0)
	v_pk_add_f32 v[2:3], v[2:3], v[4:5]
	v_lshlrev_b32_e32 v10, 2, v1
	ds_bpermute_b32 v5, v10, v3
	ds_bpermute_b32 v4, v10, v2
	s_cmp_lg_u64 s[14:15], 0
	s_cselect_b64 s[8:9], -1, 0
	v_mov_b32_e32 v1, 0
	s_waitcnt lgkmcnt(0)
	v_pk_add_f32 v[2:3], v[2:3], v[4:5]
	v_or_b32_e32 v4, s6, v0
	v_mov_b32_e32 v5, s7
	v_cmp_gt_i64_e32 vcc, s[10:11], v[4:5]
	s_and_b64 s[20:21], s[2:3], vcc
	s_and_saveexec_b64 s[18:19], s[20:21]
	s_cbranch_execz .LBB82_138
; %bb.134:
	s_andn2_b64 vcc, exec, s[16:17]
	s_cbranch_vccnz .LBB82_136
; %bb.135:
	v_cvt_f16_f32_e32 v11, v3
	v_lshl_add_u64 v[12:13], v[4:5], 1, s[12:13]
	global_store_short v[12:13], v11, off
.LBB82_136:
	s_andn2_b64 vcc, exec, s[8:9]
	s_cbranch_vccnz .LBB82_138
; %bb.137:
	v_cvt_f16_f32_e32 v11, v2
	v_lshl_add_u64 v[4:5], v[4:5], 1, s[14:15]
	global_store_short v[4:5], v11, off
.LBB82_138:
	s_or_b64 exec, exec, s[18:19]
	v_cmp_gt_u32_e32 vcc, 48, v0
	s_and_b64 exec, exec, vcc
	s_cbranch_execz .LBB82_162
; %bb.139:
	s_and_saveexec_b64 s[18:19], s[4:5]
	s_xor_b64 s[18:19], exec, s[18:19]
	s_andn2_saveexec_b64 s[18:19], s[18:19]
	s_cbranch_execz .LBB82_141
; %bb.140:
	v_add_u32_e32 v2, v0, v6
	v_lshl_add_u32 v2, v2, 2, 0
	ds_read_b32 v3, v2 offset:64
	ds_read_b32 v2, v2 offset:4224
.LBB82_141:
	s_or_b64 exec, exec, s[18:19]
	s_waitcnt lgkmcnt(1)
	ds_bpermute_b32 v5, v7, v3
	s_waitcnt lgkmcnt(1)
	ds_bpermute_b32 v4, v7, v2
	v_add_u32_e32 v12, 16, v0
	v_mov_b32_e32 v13, 0
	v_lshl_add_u64 v[12:13], s[6:7], 0, v[12:13]
	v_cmp_gt_i64_e32 vcc, s[10:11], v[12:13]
	s_waitcnt lgkmcnt(0)
	v_pk_add_f32 v[2:3], v[2:3], v[4:5]
	ds_bpermute_b32 v5, v8, v3
	ds_bpermute_b32 v4, v8, v2
	s_and_b64 s[20:21], s[2:3], vcc
	s_waitcnt lgkmcnt(0)
	v_pk_add_f32 v[2:3], v[2:3], v[4:5]
	ds_bpermute_b32 v5, v9, v3
	ds_bpermute_b32 v4, v9, v2
	s_waitcnt lgkmcnt(0)
	v_pk_add_f32 v[2:3], v[2:3], v[4:5]
	ds_bpermute_b32 v5, v10, v3
	ds_bpermute_b32 v4, v10, v2
	s_waitcnt lgkmcnt(0)
	v_pk_add_f32 v[2:3], v[2:3], v[4:5]
	s_and_saveexec_b64 s[18:19], s[20:21]
	s_cbranch_execz .LBB82_146
; %bb.142:
	s_andn2_b64 vcc, exec, s[16:17]
	s_cbranch_vccnz .LBB82_144
; %bb.143:
	v_cvt_f16_f32_e32 v11, v3
	v_lshl_add_u64 v[4:5], s[6:7], 0, v[0:1]
	v_lshl_add_u64 v[4:5], v[4:5], 1, s[12:13]
	global_store_short v[4:5], v11, off offset:32
.LBB82_144:
	s_andn2_b64 vcc, exec, s[8:9]
	s_cbranch_vccnz .LBB82_146
; %bb.145:
	v_cvt_f16_f32_e32 v11, v2
	v_lshl_add_u64 v[4:5], s[6:7], 0, v[0:1]
	v_lshl_add_u64 v[4:5], v[4:5], 1, s[14:15]
	global_store_short v[4:5], v11, off offset:32
.LBB82_146:
	s_or_b64 exec, exec, s[18:19]
	v_cmp_gt_u32_e32 vcc, 32, v0
	s_and_b64 exec, exec, vcc
	s_cbranch_execz .LBB82_162
; %bb.147:
	s_and_saveexec_b64 s[18:19], s[4:5]
	s_xor_b64 s[4:5], exec, s[18:19]
	s_andn2_saveexec_b64 s[4:5], s[4:5]
	s_cbranch_execz .LBB82_149
; %bb.148:
	v_add_u32_e32 v2, v0, v6
	v_lshl_add_u32 v2, v2, 2, 0
	ds_read_b32 v3, v2 offset:128
	ds_read_b32 v2, v2 offset:4288
.LBB82_149:
	s_or_b64 exec, exec, s[4:5]
	s_waitcnt lgkmcnt(1)
	ds_bpermute_b32 v5, v7, v3
	s_waitcnt lgkmcnt(1)
	ds_bpermute_b32 v4, v7, v2
	v_add_u32_e32 v11, 32, v0
	v_mov_b32_e32 v13, s7
	v_or_b32_e32 v12, s6, v11
	v_cmp_gt_i64_e32 vcc, s[10:11], v[12:13]
	s_waitcnt lgkmcnt(0)
	v_pk_add_f32 v[2:3], v[2:3], v[4:5]
	ds_bpermute_b32 v5, v8, v3
	ds_bpermute_b32 v4, v8, v2
	s_and_b64 s[18:19], s[2:3], vcc
	s_waitcnt lgkmcnt(0)
	v_pk_add_f32 v[2:3], v[2:3], v[4:5]
	ds_bpermute_b32 v5, v9, v3
	ds_bpermute_b32 v4, v9, v2
	s_waitcnt lgkmcnt(0)
	v_pk_add_f32 v[2:3], v[2:3], v[4:5]
	ds_bpermute_b32 v5, v10, v3
	ds_bpermute_b32 v4, v10, v2
	s_waitcnt lgkmcnt(0)
	v_pk_add_f32 v[2:3], v[2:3], v[4:5]
	s_and_saveexec_b64 s[4:5], s[18:19]
	s_cbranch_execz .LBB82_154
; %bb.150:
	s_andn2_b64 vcc, exec, s[16:17]
	s_cbranch_vccnz .LBB82_152
; %bb.151:
	v_cvt_f16_f32_e32 v11, v3
	v_lshl_add_u64 v[4:5], s[6:7], 0, v[0:1]
	v_lshl_add_u64 v[4:5], v[4:5], 1, s[12:13]
	global_store_short v[4:5], v11, off offset:64
.LBB82_152:
	s_andn2_b64 vcc, exec, s[8:9]
	s_cbranch_vccnz .LBB82_154
; %bb.153:
	v_cvt_f16_f32_e32 v11, v2
	v_lshl_add_u64 v[4:5], s[6:7], 0, v[0:1]
	v_lshl_add_u64 v[4:5], v[4:5], 1, s[14:15]
	global_store_short v[4:5], v11, off offset:64
.LBB82_154:
	s_or_b64 exec, exec, s[4:5]
	v_cmp_gt_u32_e32 vcc, 16, v0
	s_and_b64 exec, exec, vcc
	s_cbranch_execz .LBB82_162
; %bb.155:
	s_and_saveexec_b64 s[4:5], s[0:1]
	s_cbranch_execz .LBB82_157
; %bb.156:
	v_add_u32_e32 v2, v0, v6
	v_lshl_add_u32 v2, v2, 2, 0
	ds_read_b32 v3, v2 offset:192
	ds_read_b32 v2, v2 offset:4352
.LBB82_157:
	s_or_b64 exec, exec, s[4:5]
	s_waitcnt lgkmcnt(1)
	ds_bpermute_b32 v4, v7, v3
	s_waitcnt lgkmcnt(1)
	ds_bpermute_b32 v5, v7, v2
	v_add_u32_e32 v6, 48, v0
	v_or_b32_e32 v6, s6, v6
	v_mov_b32_e32 v7, s7
	s_waitcnt lgkmcnt(1)
	v_add_f32_e32 v3, v3, v4
	s_waitcnt lgkmcnt(0)
	v_add_f32_e32 v2, v2, v5
	ds_bpermute_b32 v4, v8, v3
	ds_bpermute_b32 v5, v8, v2
	v_cmp_gt_i64_e32 vcc, s[10:11], v[6:7]
	s_and_b64 s[0:1], s[2:3], vcc
	s_waitcnt lgkmcnt(1)
	v_add_f32_e32 v3, v3, v4
	s_waitcnt lgkmcnt(0)
	v_add_f32_e32 v2, v2, v5
	ds_bpermute_b32 v4, v9, v3
	ds_bpermute_b32 v5, v9, v2
	s_waitcnt lgkmcnt(1)
	v_add_f32_e32 v4, v3, v4
	s_waitcnt lgkmcnt(0)
	v_add_f32_e32 v2, v2, v5
	ds_bpermute_b32 v5, v10, v4
	ds_bpermute_b32 v3, v10, v2
	s_and_b64 exec, exec, s[0:1]
	s_cbranch_execz .LBB82_162
; %bb.158:
	s_andn2_b64 vcc, exec, s[16:17]
	v_lshl_add_u64 v[0:1], s[6:7], 0, v[0:1]
	s_cbranch_vccnz .LBB82_160
; %bb.159:
	s_waitcnt lgkmcnt(1)
	v_add_f32_e32 v4, v4, v5
	v_cvt_f16_f32_e32 v6, v4
	v_lshl_add_u64 v[4:5], v[0:1], 1, s[12:13]
	global_store_short v[4:5], v6, off offset:96
.LBB82_160:
	s_andn2_b64 vcc, exec, s[8:9]
	s_cbranch_vccnz .LBB82_162
; %bb.161:
	s_waitcnt lgkmcnt(0)
	v_add_f32_e32 v2, v2, v3
	v_cvt_f16_f32_e32 v2, v2
	v_lshl_add_u64 v[0:1], v[0:1], 1, s[14:15]
	global_store_short v[0:1], v2, off offset:96
.LBB82_162:
	s_endpgm
	.section	.rodata,"a",@progbits
	.p2align	6, 0x0
	.amdhsa_kernel _ZN2at6native12_GLOBAL__N_135GammaBetaBackwardCUDAKernelTemplateIN3c104HalfEfLj64ELj16ELj256ELb0ELb0ELb0EEEvllPKT_S7_PKT0_SA_PS5_SB_
		.amdhsa_group_segment_fixed_size 0
		.amdhsa_private_segment_fixed_size 196
		.amdhsa_kernarg_size 320
		.amdhsa_user_sgpr_count 2
		.amdhsa_user_sgpr_dispatch_ptr 0
		.amdhsa_user_sgpr_queue_ptr 0
		.amdhsa_user_sgpr_kernarg_segment_ptr 1
		.amdhsa_user_sgpr_dispatch_id 0
		.amdhsa_user_sgpr_kernarg_preload_length 0
		.amdhsa_user_sgpr_kernarg_preload_offset 0
		.amdhsa_user_sgpr_private_segment_size 0
		.amdhsa_uses_dynamic_stack 0
		.amdhsa_enable_private_segment 1
		.amdhsa_system_sgpr_workgroup_id_x 1
		.amdhsa_system_sgpr_workgroup_id_y 1
		.amdhsa_system_sgpr_workgroup_id_z 0
		.amdhsa_system_sgpr_workgroup_info 0
		.amdhsa_system_vgpr_workitem_id 1
		.amdhsa_next_free_vgpr 128
		.amdhsa_next_free_sgpr 68
		.amdhsa_accum_offset 128
		.amdhsa_reserve_vcc 1
		.amdhsa_float_round_mode_32 0
		.amdhsa_float_round_mode_16_64 0
		.amdhsa_float_denorm_mode_32 3
		.amdhsa_float_denorm_mode_16_64 3
		.amdhsa_dx10_clamp 1
		.amdhsa_ieee_mode 1
		.amdhsa_fp16_overflow 0
		.amdhsa_tg_split 0
		.amdhsa_exception_fp_ieee_invalid_op 0
		.amdhsa_exception_fp_denorm_src 0
		.amdhsa_exception_fp_ieee_div_zero 0
		.amdhsa_exception_fp_ieee_overflow 0
		.amdhsa_exception_fp_ieee_underflow 0
		.amdhsa_exception_fp_ieee_inexact 0
		.amdhsa_exception_int_div_zero 0
	.end_amdhsa_kernel
	.section	.text._ZN2at6native12_GLOBAL__N_135GammaBetaBackwardCUDAKernelTemplateIN3c104HalfEfLj64ELj16ELj256ELb0ELb0ELb0EEEvllPKT_S7_PKT0_SA_PS5_SB_,"axG",@progbits,_ZN2at6native12_GLOBAL__N_135GammaBetaBackwardCUDAKernelTemplateIN3c104HalfEfLj64ELj16ELj256ELb0ELb0ELb0EEEvllPKT_S7_PKT0_SA_PS5_SB_,comdat
.Lfunc_end82:
	.size	_ZN2at6native12_GLOBAL__N_135GammaBetaBackwardCUDAKernelTemplateIN3c104HalfEfLj64ELj16ELj256ELb0ELb0ELb0EEEvllPKT_S7_PKT0_SA_PS5_SB_, .Lfunc_end82-_ZN2at6native12_GLOBAL__N_135GammaBetaBackwardCUDAKernelTemplateIN3c104HalfEfLj64ELj16ELj256ELb0ELb0ELb0EEEvllPKT_S7_PKT0_SA_PS5_SB_
                                        ; -- End function
	.set _ZN2at6native12_GLOBAL__N_135GammaBetaBackwardCUDAKernelTemplateIN3c104HalfEfLj64ELj16ELj256ELb0ELb0ELb0EEEvllPKT_S7_PKT0_SA_PS5_SB_.num_vgpr, 128
	.set _ZN2at6native12_GLOBAL__N_135GammaBetaBackwardCUDAKernelTemplateIN3c104HalfEfLj64ELj16ELj256ELb0ELb0ELb0EEEvllPKT_S7_PKT0_SA_PS5_SB_.num_agpr, 0
	.set _ZN2at6native12_GLOBAL__N_135GammaBetaBackwardCUDAKernelTemplateIN3c104HalfEfLj64ELj16ELj256ELb0ELb0ELb0EEEvllPKT_S7_PKT0_SA_PS5_SB_.numbered_sgpr, 68
	.set _ZN2at6native12_GLOBAL__N_135GammaBetaBackwardCUDAKernelTemplateIN3c104HalfEfLj64ELj16ELj256ELb0ELb0ELb0EEEvllPKT_S7_PKT0_SA_PS5_SB_.num_named_barrier, 0
	.set _ZN2at6native12_GLOBAL__N_135GammaBetaBackwardCUDAKernelTemplateIN3c104HalfEfLj64ELj16ELj256ELb0ELb0ELb0EEEvllPKT_S7_PKT0_SA_PS5_SB_.private_seg_size, 196
	.set _ZN2at6native12_GLOBAL__N_135GammaBetaBackwardCUDAKernelTemplateIN3c104HalfEfLj64ELj16ELj256ELb0ELb0ELb0EEEvllPKT_S7_PKT0_SA_PS5_SB_.uses_vcc, 1
	.set _ZN2at6native12_GLOBAL__N_135GammaBetaBackwardCUDAKernelTemplateIN3c104HalfEfLj64ELj16ELj256ELb0ELb0ELb0EEEvllPKT_S7_PKT0_SA_PS5_SB_.uses_flat_scratch, 0
	.set _ZN2at6native12_GLOBAL__N_135GammaBetaBackwardCUDAKernelTemplateIN3c104HalfEfLj64ELj16ELj256ELb0ELb0ELb0EEEvllPKT_S7_PKT0_SA_PS5_SB_.has_dyn_sized_stack, 0
	.set _ZN2at6native12_GLOBAL__N_135GammaBetaBackwardCUDAKernelTemplateIN3c104HalfEfLj64ELj16ELj256ELb0ELb0ELb0EEEvllPKT_S7_PKT0_SA_PS5_SB_.has_recursion, 0
	.set _ZN2at6native12_GLOBAL__N_135GammaBetaBackwardCUDAKernelTemplateIN3c104HalfEfLj64ELj16ELj256ELb0ELb0ELb0EEEvllPKT_S7_PKT0_SA_PS5_SB_.has_indirect_call, 0
	.section	.AMDGPU.csdata,"",@progbits
; Kernel info:
; codeLenInByte = 15388
; TotalNumSgprs: 74
; NumVgprs: 128
; NumAgprs: 0
; TotalNumVgprs: 128
; ScratchSize: 196
; MemoryBound: 0
; FloatMode: 240
; IeeeMode: 1
; LDSByteSize: 0 bytes/workgroup (compile time only)
; SGPRBlocks: 9
; VGPRBlocks: 15
; NumSGPRsForWavesPerEU: 74
; NumVGPRsForWavesPerEU: 128
; AccumOffset: 128
; Occupancy: 4
; WaveLimiterHint : 0
; COMPUTE_PGM_RSRC2:SCRATCH_EN: 1
; COMPUTE_PGM_RSRC2:USER_SGPR: 2
; COMPUTE_PGM_RSRC2:TRAP_HANDLER: 0
; COMPUTE_PGM_RSRC2:TGID_X_EN: 1
; COMPUTE_PGM_RSRC2:TGID_Y_EN: 1
; COMPUTE_PGM_RSRC2:TGID_Z_EN: 0
; COMPUTE_PGM_RSRC2:TIDIG_COMP_CNT: 1
; COMPUTE_PGM_RSRC3_GFX90A:ACCUM_OFFSET: 31
; COMPUTE_PGM_RSRC3_GFX90A:TG_SPLIT: 0
	.section	.text._ZN2at6native12_GLOBAL__N_135GammaBetaBackwardCUDAKernelTemplateIN3c104HalfEfLj32ELj1ELj32ELb1ELb1ELb0EEEvllPKT_S7_PKT0_SA_PS5_SB_,"axG",@progbits,_ZN2at6native12_GLOBAL__N_135GammaBetaBackwardCUDAKernelTemplateIN3c104HalfEfLj32ELj1ELj32ELb1ELb1ELb0EEEvllPKT_S7_PKT0_SA_PS5_SB_,comdat
	.globl	_ZN2at6native12_GLOBAL__N_135GammaBetaBackwardCUDAKernelTemplateIN3c104HalfEfLj32ELj1ELj32ELb1ELb1ELb0EEEvllPKT_S7_PKT0_SA_PS5_SB_ ; -- Begin function _ZN2at6native12_GLOBAL__N_135GammaBetaBackwardCUDAKernelTemplateIN3c104HalfEfLj32ELj1ELj32ELb1ELb1ELb0EEEvllPKT_S7_PKT0_SA_PS5_SB_
	.p2align	8
	.type	_ZN2at6native12_GLOBAL__N_135GammaBetaBackwardCUDAKernelTemplateIN3c104HalfEfLj32ELj1ELj32ELb1ELb1ELb0EEEvllPKT_S7_PKT0_SA_PS5_SB_,@function
_ZN2at6native12_GLOBAL__N_135GammaBetaBackwardCUDAKernelTemplateIN3c104HalfEfLj32ELj1ELj32ELb1ELb1ELb0EEEvllPKT_S7_PKT0_SA_PS5_SB_: ; @_ZN2at6native12_GLOBAL__N_135GammaBetaBackwardCUDAKernelTemplateIN3c104HalfEfLj32ELj1ELj32ELb1ELb1ELb0EEEvllPKT_S7_PKT0_SA_PS5_SB_
; %bb.0:
	s_load_dwordx4 s[16:19], s[0:1], 0x0
	s_lshl_b32 s6, s3, 5
	s_mov_b32 s7, 0
	v_mov_b64_e32 v[2:3], s[6:7]
	s_mov_b32 s4, s3
	s_waitcnt lgkmcnt(0)
	v_cmp_gt_i64_e32 vcc, s[16:17], v[2:3]
	v_bfe_u32 v1, v0, 10, 10
	s_cbranch_vccnz .LBB83_2
; %bb.1:
	s_add_u32 s24, s0, 64
	s_addc_u32 s25, s1, 0
	s_mov_b64 s[8:9], 0
	v_bfe_u32 v2, v0, 10, 10
	s_branch .LBB83_3
.LBB83_2:
	s_mov_b64 s[8:9], -1
                                        ; implicit-def: $sgpr24_sgpr25
                                        ; implicit-def: $vgpr2
.LBB83_3:
	s_load_dwordx4 s[20:23], s[0:1], 0x30
	v_and_b32_e32 v0, 0x3ff, v0
	s_mov_b32 s27, 0
	s_andn2_b64 vcc, exec, s[8:9]
	v_mov_b32_e32 v6, 0
	s_cbranch_vccnz .LBB83_11
; %bb.4:
	s_load_dword s3, s[0:1], 0x4c
	s_load_dword s5, s[0:1], 0x44
	s_load_dwordx8 s[8:15], s[0:1], 0x10
	s_add_u32 s24, s0, 64
	s_addc_u32 s25, s1, 0
	s_waitcnt lgkmcnt(0)
	s_and_b32 s0, s3, 0xffff
	v_mad_u32_u24 v2, v1, s0, v0
	v_lshlrev_b32_e32 v8, 5, v1
	v_mov_b32_e32 v9, 0
	v_mbcnt_lo_u32_b32 v4, -1, 0
	v_and_b32_e32 v2, 63, v2
	v_mov_b32_e32 v3, v9
	v_mbcnt_hi_u32_b32 v4, -1, v4
	s_lshl_b32 s26, s5, 5
	v_lshl_add_u64 v[10:11], v[8:9], 0, s[6:7]
	v_cmp_gt_u32_e64 s[0:1], 32, v2
	v_lshl_add_u32 v6, s2, 5, v0
	v_mov_b32_e32 v7, v9
	v_lshlrev_b32_e32 v4, 2, v4
	v_lshl_add_u64 v[2:3], v[10:11], 0, v[2:3]
	v_mul_lo_u32 v8, s19, v10
	v_mul_lo_u32 v12, s18, v11
	v_mad_u64_u32 v[10:11], s[30:31], s18, v10, 0
	s_mul_i32 s3, s19, s26
	s_mul_hi_u32 s5, s18, s26
	v_and_b32_e32 v14, 0x100, v4
	v_add3_u32 v11, v11, v12, v8
	v_lshlrev_b64 v[6:7], 1, v[6:7]
	s_add_i32 s31, s5, s3
	s_mul_i32 s30, s18, s26
	v_or_b32_e32 v15, 4, v14
	v_or_b32_e32 v16, 8, v14
	;; [unrolled: 1-line block ×31, first 2 shown]
	v_lshlrev_b64 v[4:5], 2, v[2:3]
	s_lshl_b64 s[28:29], s[26:27], 2
	v_lshl_add_u64 v[6:7], v[10:11], 1, v[6:7]
	s_lshl_b64 s[30:31], s[30:31], 1
	s_lshl_b64 s[34:35], s[18:19], 1
	v_mov_b32_e32 v8, v9
	s_branch .LBB83_7
.LBB83_5:                               ;   in Loop: Header=BB83_7 Depth=1
	s_or_b64 exec, exec, s[38:39]
.LBB83_6:                               ;   in Loop: Header=BB83_7 Depth=1
	s_or_b64 exec, exec, s[36:37]
	v_lshl_add_u64 v[10:11], s[10:11], 0, v[6:7]
	global_load_ushort v50, v[10:11], off
	v_lshl_add_u64 v[12:13], s[8:9], 0, v[6:7]
	global_load_ushort v51, v[12:13], off
	v_lshl_add_u64 v[48:49], v[10:11], 0, s[34:35]
	v_lshl_add_u64 v[12:13], v[12:13], 0, s[34:35]
	global_load_ushort v11, v[48:49], off
	global_load_ushort v52, v[12:13], off
	s_waitcnt vmcnt(5)
	ds_bpermute_b32 v53, v14, v47
	v_lshl_add_u64 v[48:49], v[48:49], 0, s[34:35]
	v_lshl_add_u64 v[12:13], v[12:13], 0, s[34:35]
	s_waitcnt vmcnt(4)
	ds_bpermute_b32 v54, v14, v46
	ds_bpermute_b32 v55, v17, v47
	;; [unrolled: 1-line block ×17, first 2 shown]
	s_add_u32 s6, s6, s26
	s_addc_u32 s7, s7, 0
	v_lshl_add_u64 v[4:5], v[4:5], 0, s[28:29]
	v_lshl_add_u64 v[2:3], v[2:3], 0, s[26:27]
	;; [unrolled: 1-line block ×3, first 2 shown]
	s_waitcnt vmcnt(3)
	v_cvt_f32_f16_e32 v50, v50
	s_waitcnt vmcnt(2)
	v_cvt_f32_f16_e32 v10, v51
	ds_bpermute_b32 v51, v15, v47
	s_waitcnt lgkmcnt(14)
	v_sub_f32_e32 v50, v50, v53
	s_waitcnt vmcnt(1)
	v_cvt_f32_f16_e32 v53, v11
	v_mul_f32_e32 v11, v50, v10
	s_waitcnt vmcnt(0)
	v_cvt_f32_f16_e32 v50, v52
	global_load_ushort v52, v[48:49], off
	s_waitcnt lgkmcnt(0)
	v_sub_f32_e32 v51, v53, v51
	global_load_ushort v53, v[12:13], off
	v_mul_f32_e32 v11, v11, v54
	ds_bpermute_b32 v54, v15, v46
	v_mul_f32_e32 v51, v51, v50
	v_lshl_add_u64 v[48:49], v[48:49], 0, s[34:35]
	v_lshl_add_u64 v[12:13], v[12:13], 0, s[34:35]
	v_pk_add_f32 v[8:9], v[8:9], v[10:11]
	s_waitcnt lgkmcnt(0)
	v_mul_f32_e32 v51, v51, v54
	ds_bpermute_b32 v54, v16, v47
	v_pk_add_f32 v[8:9], v[8:9], v[50:51]
	s_waitcnt vmcnt(1)
	v_cvt_f32_f16_e32 v52, v52
	s_waitcnt lgkmcnt(0)
	v_sub_f32_e32 v54, v52, v54
	s_waitcnt vmcnt(0)
	v_cvt_f32_f16_e32 v52, v53
	v_mul_f32_e32 v53, v54, v52
	ds_bpermute_b32 v54, v16, v46
	s_waitcnt lgkmcnt(0)
	v_mul_f32_e32 v53, v53, v54
	global_load_ushort v54, v[48:49], off
	v_lshl_add_u64 v[48:49], v[48:49], 0, s[34:35]
	v_pk_add_f32 v[8:9], v[8:9], v[52:53]
	s_waitcnt vmcnt(0)
	v_cvt_f32_f16_e32 v54, v54
	v_sub_f32_e32 v55, v54, v55
	global_load_ushort v54, v[12:13], off
	v_lshl_add_u64 v[12:13], v[12:13], 0, s[34:35]
	s_waitcnt vmcnt(0)
	v_cvt_f32_f16_e32 v54, v54
	v_mul_f32_e32 v55, v55, v54
	v_mul_f32_e32 v55, v55, v56
	global_load_ushort v56, v[48:49], off
	v_lshl_add_u64 v[48:49], v[48:49], 0, s[34:35]
	v_pk_add_f32 v[8:9], v[8:9], v[54:55]
	ds_bpermute_b32 v55, v28, v47
	s_waitcnt vmcnt(0)
	v_cvt_f32_f16_e32 v56, v56
	v_sub_f32_e32 v57, v56, v57
	global_load_ushort v56, v[12:13], off
	v_lshl_add_u64 v[12:13], v[12:13], 0, s[34:35]
	s_waitcnt vmcnt(0)
	v_cvt_f32_f16_e32 v56, v56
	v_mul_f32_e32 v57, v57, v56
	v_mul_f32_e32 v57, v57, v58
	global_load_ushort v58, v[48:49], off
	v_lshl_add_u64 v[48:49], v[48:49], 0, s[34:35]
	v_pk_add_f32 v[8:9], v[8:9], v[56:57]
	ds_bpermute_b32 v56, v28, v46
	ds_bpermute_b32 v57, v29, v47
	s_waitcnt vmcnt(0)
	v_cvt_f32_f16_e32 v58, v58
	v_sub_f32_e32 v59, v58, v59
	global_load_ushort v58, v[12:13], off
	v_lshl_add_u64 v[12:13], v[12:13], 0, s[34:35]
	s_waitcnt vmcnt(0)
	v_cvt_f32_f16_e32 v58, v58
	v_mul_f32_e32 v59, v59, v58
	v_mul_f32_e32 v59, v59, v60
	global_load_ushort v60, v[48:49], off
	v_lshl_add_u64 v[48:49], v[48:49], 0, s[34:35]
	v_pk_add_f32 v[8:9], v[8:9], v[58:59]
	ds_bpermute_b32 v58, v29, v46
	;; [unrolled: 14-line block ×4, first 2 shown]
	ds_bpermute_b32 v63, v32, v47
	s_waitcnt vmcnt(0)
	v_cvt_f32_f16_e32 v64, v64
	v_sub_f32_e32 v65, v64, v65
	global_load_ushort v64, v[12:13], off
	v_lshl_add_u64 v[12:13], v[12:13], 0, s[34:35]
	s_waitcnt vmcnt(0)
	v_cvt_f32_f16_e32 v64, v64
	v_mul_f32_e32 v65, v65, v64
	v_mul_f32_e32 v65, v65, v66
	global_load_ushort v66, v[48:49], off
	v_lshl_add_u64 v[48:49], v[48:49], 0, s[34:35]
	v_lshl_add_u64 v[10:11], v[48:49], 0, s[34:35]
	global_load_ushort v52, v[10:11], off
	v_lshl_add_u64 v[10:11], v[10:11], 0, s[34:35]
	global_load_ushort v54, v[10:11], off
	v_lshl_add_u64 v[50:51], v[10:11], 0, s[34:35]
	ds_bpermute_b32 v11, v25, v47
	v_pk_add_f32 v[8:9], v[8:9], v[64:65]
	ds_bpermute_b32 v64, v32, v46
	ds_bpermute_b32 v65, v33, v47
	s_waitcnt vmcnt(2)
	v_cvt_f32_f16_e32 v66, v66
	v_sub_f32_e32 v67, v66, v67
	global_load_ushort v66, v[12:13], off
	v_lshl_add_u64 v[12:13], v[12:13], 0, s[34:35]
	s_waitcnt vmcnt(0)
	v_cvt_f32_f16_e32 v66, v66
	v_mul_f32_e32 v67, v67, v66
	v_mul_f32_e32 v67, v67, v68
	global_load_ushort v68, v[48:49], off
	v_pk_add_f32 v[8:9], v[8:9], v[66:67]
	ds_bpermute_b32 v66, v33, v46
	ds_bpermute_b32 v67, v34, v47
	s_waitcnt vmcnt(0)
	v_cvt_f32_f16_e32 v68, v68
	v_sub_f32_e32 v69, v68, v69
	global_load_ushort v68, v[12:13], off
	v_lshl_add_u64 v[12:13], v[12:13], 0, s[34:35]
	global_load_ushort v53, v[12:13], off
	v_lshl_add_u64 v[48:49], v[12:13], 0, s[34:35]
	global_load_ushort v12, v[48:49], off
	v_cvt_f32_f16_e32 v13, v52
	ds_bpermute_b32 v52, v25, v46
	v_lshl_add_u64 v[48:49], v[48:49], 0, s[34:35]
	s_waitcnt lgkmcnt(5)
	v_sub_f32_e32 v11, v13, v11
	ds_bpermute_b32 v13, v26, v47
	s_waitcnt vmcnt(2)
	v_cvt_f32_f16_e32 v68, v68
	s_waitcnt vmcnt(1)
	v_cvt_f32_f16_e32 v10, v53
	v_cvt_f32_f16_e32 v53, v54
	s_waitcnt vmcnt(0)
	v_cvt_f32_f16_e32 v12, v12
	ds_bpermute_b32 v54, v27, v47
	v_mul_f32_e32 v11, v11, v10
	s_waitcnt lgkmcnt(2)
	v_mul_f32_e32 v11, v11, v52
	ds_bpermute_b32 v52, v26, v46
	s_waitcnt lgkmcnt(2)
	v_sub_f32_e32 v13, v53, v13
	global_load_ushort v53, v[50:51], off
	v_mul_f32_e32 v13, v13, v12
	v_lshl_add_u64 v[50:51], v[50:51], 0, s[34:35]
	s_waitcnt lgkmcnt(0)
	v_mul_f32_e32 v13, v13, v52
	global_load_ushort v52, v[48:49], off
	v_lshl_add_u64 v[48:49], v[48:49], 0, s[34:35]
	v_mul_f32_e32 v69, v69, v68
	v_mul_f32_e32 v69, v69, v70
	v_pk_add_f32 v[8:9], v[8:9], v[68:69]
	ds_bpermute_b32 v68, v34, v46
	v_pk_add_f32 v[8:9], v[8:9], v[10:11]
	ds_bpermute_b32 v69, v35, v47
	v_pk_add_f32 v[8:9], v[8:9], v[12:13]
	ds_bpermute_b32 v70, v35, v46
	s_waitcnt vmcnt(1)
	v_cvt_f32_f16_e32 v53, v53
	v_sub_f32_e32 v53, v53, v54
	s_waitcnt vmcnt(0)
	v_cvt_f32_f16_e32 v52, v52
	ds_bpermute_b32 v54, v27, v46
	v_mul_f32_e32 v53, v53, v52
	s_waitcnt lgkmcnt(0)
	v_mul_f32_e32 v53, v53, v54
	global_load_ushort v54, v[50:51], off
	v_lshl_add_u64 v[50:51], v[50:51], 0, s[34:35]
	v_pk_add_f32 v[8:9], v[8:9], v[52:53]
	ds_bpermute_b32 v52, v36, v47
	ds_bpermute_b32 v53, v36, v46
	s_waitcnt vmcnt(0)
	v_cvt_f32_f16_e32 v54, v54
	v_sub_f32_e32 v55, v54, v55
	global_load_ushort v54, v[48:49], off
	v_lshl_add_u64 v[48:49], v[48:49], 0, s[34:35]
	s_waitcnt vmcnt(0)
	v_cvt_f32_f16_e32 v54, v54
	v_mul_f32_e32 v55, v55, v54
	v_mul_f32_e32 v55, v55, v56
	global_load_ushort v56, v[50:51], off
	v_lshl_add_u64 v[50:51], v[50:51], 0, s[34:35]
	v_pk_add_f32 v[8:9], v[8:9], v[54:55]
	ds_bpermute_b32 v55, v39, v47
	s_waitcnt vmcnt(0)
	v_cvt_f32_f16_e32 v56, v56
	v_sub_f32_e32 v57, v56, v57
	global_load_ushort v56, v[48:49], off
	v_lshl_add_u64 v[48:49], v[48:49], 0, s[34:35]
	s_waitcnt vmcnt(0)
	v_cvt_f32_f16_e32 v56, v56
	v_mul_f32_e32 v57, v57, v56
	v_mul_f32_e32 v57, v57, v58
	global_load_ushort v58, v[50:51], off
	v_lshl_add_u64 v[50:51], v[50:51], 0, s[34:35]
	v_pk_add_f32 v[8:9], v[8:9], v[56:57]
	ds_bpermute_b32 v56, v39, v46
	ds_bpermute_b32 v57, v40, v47
	s_waitcnt vmcnt(0)
	v_cvt_f32_f16_e32 v58, v58
	v_sub_f32_e32 v59, v58, v59
	global_load_ushort v58, v[48:49], off
	v_lshl_add_u64 v[48:49], v[48:49], 0, s[34:35]
	s_waitcnt vmcnt(0)
	v_cvt_f32_f16_e32 v58, v58
	v_mul_f32_e32 v59, v59, v58
	v_mul_f32_e32 v59, v59, v60
	global_load_ushort v60, v[50:51], off
	v_lshl_add_u64 v[50:51], v[50:51], 0, s[34:35]
	v_pk_add_f32 v[8:9], v[8:9], v[58:59]
	ds_bpermute_b32 v58, v40, v46
	ds_bpermute_b32 v59, v41, v47
	s_waitcnt vmcnt(0)
	v_cvt_f32_f16_e32 v60, v60
	v_sub_f32_e32 v61, v60, v61
	global_load_ushort v60, v[48:49], off
	v_lshl_add_u64 v[48:49], v[48:49], 0, s[34:35]
	s_waitcnt vmcnt(0)
	v_cvt_f32_f16_e32 v60, v60
	v_mul_f32_e32 v61, v61, v60
	v_mul_f32_e32 v61, v61, v62
	global_load_ushort v62, v[50:51], off
	v_lshl_add_u64 v[50:51], v[50:51], 0, s[34:35]
	v_pk_add_f32 v[8:9], v[8:9], v[60:61]
	ds_bpermute_b32 v60, v41, v46
	ds_bpermute_b32 v61, v42, v47
	s_waitcnt vmcnt(0)
	v_cvt_f32_f16_e32 v62, v62
	v_sub_f32_e32 v63, v62, v63
	global_load_ushort v62, v[48:49], off
	v_lshl_add_u64 v[48:49], v[48:49], 0, s[34:35]
	s_waitcnt vmcnt(0)
	v_cvt_f32_f16_e32 v62, v62
	v_mul_f32_e32 v63, v63, v62
	v_mul_f32_e32 v63, v63, v64
	global_load_ushort v64, v[50:51], off
	v_lshl_add_u64 v[50:51], v[50:51], 0, s[34:35]
	v_pk_add_f32 v[8:9], v[8:9], v[62:63]
	ds_bpermute_b32 v62, v42, v46
	ds_bpermute_b32 v63, v43, v47
	s_waitcnt vmcnt(0)
	v_cvt_f32_f16_e32 v64, v64
	v_sub_f32_e32 v65, v64, v65
	global_load_ushort v64, v[48:49], off
	v_lshl_add_u64 v[48:49], v[48:49], 0, s[34:35]
	s_waitcnt vmcnt(0)
	v_cvt_f32_f16_e32 v64, v64
	v_mul_f32_e32 v65, v65, v64
	v_mul_f32_e32 v65, v65, v66
	global_load_ushort v66, v[50:51], off
	v_lshl_add_u64 v[50:51], v[50:51], 0, s[34:35]
	v_lshl_add_u64 v[10:11], v[50:51], 0, s[34:35]
	v_pk_add_f32 v[8:9], v[8:9], v[64:65]
	ds_bpermute_b32 v64, v43, v46
	ds_bpermute_b32 v65, v44, v47
	s_waitcnt vmcnt(0)
	v_cvt_f32_f16_e32 v66, v66
	v_sub_f32_e32 v67, v66, v67
	global_load_ushort v66, v[48:49], off
	v_lshl_add_u64 v[48:49], v[48:49], 0, s[34:35]
	v_lshl_add_u64 v[12:13], v[48:49], 0, s[34:35]
	s_waitcnt vmcnt(0)
	v_cvt_f32_f16_e32 v66, v66
	v_mul_f32_e32 v67, v67, v66
	v_mul_f32_e32 v67, v67, v68
	global_load_ushort v68, v[50:51], off
	v_pk_add_f32 v[8:9], v[8:9], v[66:67]
	global_load_ushort v50, v[10:11], off
	v_lshl_add_u64 v[10:11], v[10:11], 0, s[34:35]
	ds_bpermute_b32 v66, v44, v46
	s_waitcnt vmcnt(1)
	v_cvt_f32_f16_e32 v68, v68
	s_waitcnt vmcnt(0)
	v_cvt_f32_f16_e32 v50, v50
	v_sub_f32_e32 v69, v68, v69
	global_load_ushort v68, v[48:49], off
	s_waitcnt lgkmcnt(13)
	v_sub_f32_e32 v50, v50, v52
	global_load_ushort v48, v[12:13], off
	global_load_ushort v49, v[10:11], off
	v_lshl_add_u64 v[12:13], v[12:13], 0, s[34:35]
	global_load_ushort v51, v[12:13], off
	ds_bpermute_b32 v52, v37, v47
	v_lshl_add_u64 v[10:11], v[10:11], 0, s[34:35]
	v_lshl_add_u64 v[12:13], v[12:13], 0, s[34:35]
	s_waitcnt vmcnt(3)
	v_cvt_f32_f16_e32 v68, v68
	s_waitcnt vmcnt(2)
	v_cvt_f32_f16_e32 v48, v48
	;; [unrolled: 2-line block ×3, first 2 shown]
	v_mul_f32_e32 v69, v69, v68
	v_mul_f32_e32 v69, v69, v70
	;; [unrolled: 1-line block ×3, first 2 shown]
	s_waitcnt vmcnt(0)
	v_cvt_f32_f16_e32 v50, v51
	s_waitcnt lgkmcnt(0)
	v_sub_f32_e32 v51, v54, v52
	ds_bpermute_b32 v52, v37, v46
	v_mul_f32_e32 v49, v49, v53
	global_load_ushort v53, v[10:11], off
	v_mul_f32_e32 v51, v51, v50
	ds_bpermute_b32 v54, v38, v47
	s_waitcnt lgkmcnt(1)
	v_mul_f32_e32 v51, v51, v52
	global_load_ushort v52, v[12:13], off
	v_lshl_add_u64 v[10:11], v[10:11], 0, s[34:35]
	v_lshl_add_u64 v[12:13], v[12:13], 0, s[34:35]
	v_pk_add_f32 v[8:9], v[8:9], v[68:69]
	s_waitcnt vmcnt(1)
	v_cvt_f32_f16_e32 v53, v53
	v_pk_add_f32 v[8:9], v[8:9], v[48:49]
	s_waitcnt lgkmcnt(0)
	v_sub_f32_e32 v53, v53, v54
	s_waitcnt vmcnt(0)
	v_cvt_f32_f16_e32 v52, v52
	ds_bpermute_b32 v54, v38, v46
	v_pk_add_f32 v[8:9], v[8:9], v[50:51]
	v_mul_f32_e32 v53, v53, v52
	s_waitcnt lgkmcnt(0)
	v_mul_f32_e32 v53, v53, v54
	global_load_ushort v54, v[10:11], off
	v_lshl_add_u64 v[10:11], v[10:11], 0, s[34:35]
	v_pk_add_f32 v[8:9], v[8:9], v[52:53]
	s_waitcnt vmcnt(0)
	v_cvt_f32_f16_e32 v54, v54
	v_sub_f32_e32 v55, v54, v55
	global_load_ushort v54, v[12:13], off
	v_lshl_add_u64 v[12:13], v[12:13], 0, s[34:35]
	s_waitcnt vmcnt(0)
	v_cvt_f32_f16_e32 v54, v54
	v_mul_f32_e32 v55, v55, v54
	v_mul_f32_e32 v55, v55, v56
	global_load_ushort v56, v[10:11], off
	v_lshl_add_u64 v[10:11], v[10:11], 0, s[34:35]
	v_pk_add_f32 v[8:9], v[8:9], v[54:55]
	s_waitcnt vmcnt(0)
	v_cvt_f32_f16_e32 v56, v56
	v_sub_f32_e32 v57, v56, v57
	global_load_ushort v56, v[12:13], off
	v_lshl_add_u64 v[12:13], v[12:13], 0, s[34:35]
	s_waitcnt vmcnt(0)
	v_cvt_f32_f16_e32 v56, v56
	v_mul_f32_e32 v57, v57, v56
	;; [unrolled: 12-line block ×5, first 2 shown]
	v_mul_f32_e32 v63, v63, v64
	global_load_ushort v64, v[10:11], off
	v_lshl_add_u64 v[10:11], v[10:11], 0, s[34:35]
	global_load_ushort v11, v[10:11], off
	v_pk_add_f32 v[8:9], v[8:9], v[62:63]
	s_waitcnt vmcnt(1)
	v_cvt_f32_f16_e32 v64, v64
	s_waitcnt vmcnt(0)
	v_cvt_f32_f16_e32 v11, v11
	v_sub_f32_e32 v65, v64, v65
	global_load_ushort v64, v[12:13], off
	v_lshl_add_u64 v[12:13], v[12:13], 0, s[34:35]
	global_load_ushort v12, v[12:13], off
	ds_bpermute_b32 v13, v45, v46
	s_waitcnt vmcnt(1)
	v_cvt_f32_f16_e32 v64, v64
	s_waitcnt vmcnt(0)
	v_cvt_f32_f16_e32 v10, v12
	ds_bpermute_b32 v12, v45, v47
	v_mul_f32_e32 v65, v65, v64
	v_mul_f32_e32 v65, v65, v66
	v_pk_add_f32 v[8:9], v[8:9], v[64:65]
	s_waitcnt lgkmcnt(0)
	v_sub_f32_e32 v11, v11, v12
	v_mul_f32_e32 v11, v11, v10
	v_mul_f32_e32 v11, v11, v13
	v_pk_add_f32 v[8:9], v[8:9], v[10:11]
	v_mov_b64_e32 v[10:11], s[16:17]
	v_cmp_lt_i64_e32 vcc, s[6:7], v[10:11]
	s_cbranch_vccz .LBB83_10
.LBB83_7:                               ; =>This Inner Loop Header: Depth=1
	v_mov_b32_e32 v46, 0
	v_mov_b32_e32 v47, 0
	s_and_saveexec_b64 s[36:37], s[0:1]
	s_cbranch_execz .LBB83_6
; %bb.8:                                ;   in Loop: Header=BB83_7 Depth=1
	v_cmp_gt_i64_e32 vcc, s[16:17], v[2:3]
	v_mov_b32_e32 v47, 0
	v_mov_b32_e32 v46, 0
	s_and_saveexec_b64 s[38:39], vcc
	s_cbranch_execz .LBB83_5
; %bb.9:                                ;   in Loop: Header=BB83_7 Depth=1
	v_lshl_add_u64 v[12:13], s[12:13], 0, v[4:5]
	v_lshl_add_u64 v[10:11], s[14:15], 0, v[4:5]
	global_load_dword v47, v[12:13], off
	global_load_dword v46, v[10:11], off
	s_branch .LBB83_5
.LBB83_10:
	v_cvt_pk_f16_f32 v6, v8, v9
	v_mov_b32_e32 v2, v1
.LBB83_11:
	s_load_dword s5, s[24:25], 0xc
	s_mov_b32 s3, 0
	v_mov_b32_e32 v1, 0
	s_lshl_b64 s[0:1], s[2:3], 5
	v_lshl_add_u64 v[4:5], s[0:1], 0, v[0:1]
	s_waitcnt lgkmcnt(0)
	s_lshr_b32 s0, s5, 16
	v_mov_b32_e32 v3, v1
	v_mov_b32_e32 v0, s4
	v_mad_u64_u32 v[0:1], s[0:1], s0, v0, v[2:3]
	s_cmp_eq_u64 s[20:21], 0
	v_mul_lo_u32 v1, v1, s18
	v_mul_lo_u32 v2, v0, s19
	s_cbranch_scc1 .LBB83_13
; %bb.12:
	v_mad_u64_u32 v[8:9], s[0:1], v0, s18, 0
	v_add3_u32 v9, v9, v2, v1
	v_lshl_add_u64 v[8:9], v[8:9], 1, s[20:21]
	v_lshl_add_u64 v[8:9], v[4:5], 1, v[8:9]
	global_store_short_d16_hi v[8:9], v6, off
.LBB83_13:
	s_cmp_eq_u64 s[22:23], 0
	s_cbranch_scc1 .LBB83_15
; %bb.14:
	v_mad_u64_u32 v[8:9], s[0:1], v0, s18, 0
	v_add3_u32 v9, v9, v2, v1
	v_lshl_add_u64 v[0:1], v[8:9], 1, s[22:23]
	v_lshl_add_u64 v[0:1], v[4:5], 1, v[0:1]
	global_store_short v[0:1], v6, off
.LBB83_15:
	s_endpgm
	.section	.rodata,"a",@progbits
	.p2align	6, 0x0
	.amdhsa_kernel _ZN2at6native12_GLOBAL__N_135GammaBetaBackwardCUDAKernelTemplateIN3c104HalfEfLj32ELj1ELj32ELb1ELb1ELb0EEEvllPKT_S7_PKT0_SA_PS5_SB_
		.amdhsa_group_segment_fixed_size 0
		.amdhsa_private_segment_fixed_size 0
		.amdhsa_kernarg_size 320
		.amdhsa_user_sgpr_count 2
		.amdhsa_user_sgpr_dispatch_ptr 0
		.amdhsa_user_sgpr_queue_ptr 0
		.amdhsa_user_sgpr_kernarg_segment_ptr 1
		.amdhsa_user_sgpr_dispatch_id 0
		.amdhsa_user_sgpr_kernarg_preload_length 0
		.amdhsa_user_sgpr_kernarg_preload_offset 0
		.amdhsa_user_sgpr_private_segment_size 0
		.amdhsa_uses_dynamic_stack 0
		.amdhsa_enable_private_segment 0
		.amdhsa_system_sgpr_workgroup_id_x 1
		.amdhsa_system_sgpr_workgroup_id_y 1
		.amdhsa_system_sgpr_workgroup_id_z 0
		.amdhsa_system_sgpr_workgroup_info 0
		.amdhsa_system_vgpr_workitem_id 1
		.amdhsa_next_free_vgpr 71
		.amdhsa_next_free_sgpr 40
		.amdhsa_accum_offset 72
		.amdhsa_reserve_vcc 1
		.amdhsa_float_round_mode_32 0
		.amdhsa_float_round_mode_16_64 0
		.amdhsa_float_denorm_mode_32 3
		.amdhsa_float_denorm_mode_16_64 3
		.amdhsa_dx10_clamp 1
		.amdhsa_ieee_mode 1
		.amdhsa_fp16_overflow 0
		.amdhsa_tg_split 0
		.amdhsa_exception_fp_ieee_invalid_op 0
		.amdhsa_exception_fp_denorm_src 0
		.amdhsa_exception_fp_ieee_div_zero 0
		.amdhsa_exception_fp_ieee_overflow 0
		.amdhsa_exception_fp_ieee_underflow 0
		.amdhsa_exception_fp_ieee_inexact 0
		.amdhsa_exception_int_div_zero 0
	.end_amdhsa_kernel
	.section	.text._ZN2at6native12_GLOBAL__N_135GammaBetaBackwardCUDAKernelTemplateIN3c104HalfEfLj32ELj1ELj32ELb1ELb1ELb0EEEvllPKT_S7_PKT0_SA_PS5_SB_,"axG",@progbits,_ZN2at6native12_GLOBAL__N_135GammaBetaBackwardCUDAKernelTemplateIN3c104HalfEfLj32ELj1ELj32ELb1ELb1ELb0EEEvllPKT_S7_PKT0_SA_PS5_SB_,comdat
.Lfunc_end83:
	.size	_ZN2at6native12_GLOBAL__N_135GammaBetaBackwardCUDAKernelTemplateIN3c104HalfEfLj32ELj1ELj32ELb1ELb1ELb0EEEvllPKT_S7_PKT0_SA_PS5_SB_, .Lfunc_end83-_ZN2at6native12_GLOBAL__N_135GammaBetaBackwardCUDAKernelTemplateIN3c104HalfEfLj32ELj1ELj32ELb1ELb1ELb0EEEvllPKT_S7_PKT0_SA_PS5_SB_
                                        ; -- End function
	.set _ZN2at6native12_GLOBAL__N_135GammaBetaBackwardCUDAKernelTemplateIN3c104HalfEfLj32ELj1ELj32ELb1ELb1ELb0EEEvllPKT_S7_PKT0_SA_PS5_SB_.num_vgpr, 71
	.set _ZN2at6native12_GLOBAL__N_135GammaBetaBackwardCUDAKernelTemplateIN3c104HalfEfLj32ELj1ELj32ELb1ELb1ELb0EEEvllPKT_S7_PKT0_SA_PS5_SB_.num_agpr, 0
	.set _ZN2at6native12_GLOBAL__N_135GammaBetaBackwardCUDAKernelTemplateIN3c104HalfEfLj32ELj1ELj32ELb1ELb1ELb0EEEvllPKT_S7_PKT0_SA_PS5_SB_.numbered_sgpr, 40
	.set _ZN2at6native12_GLOBAL__N_135GammaBetaBackwardCUDAKernelTemplateIN3c104HalfEfLj32ELj1ELj32ELb1ELb1ELb0EEEvllPKT_S7_PKT0_SA_PS5_SB_.num_named_barrier, 0
	.set _ZN2at6native12_GLOBAL__N_135GammaBetaBackwardCUDAKernelTemplateIN3c104HalfEfLj32ELj1ELj32ELb1ELb1ELb0EEEvllPKT_S7_PKT0_SA_PS5_SB_.private_seg_size, 0
	.set _ZN2at6native12_GLOBAL__N_135GammaBetaBackwardCUDAKernelTemplateIN3c104HalfEfLj32ELj1ELj32ELb1ELb1ELb0EEEvllPKT_S7_PKT0_SA_PS5_SB_.uses_vcc, 1
	.set _ZN2at6native12_GLOBAL__N_135GammaBetaBackwardCUDAKernelTemplateIN3c104HalfEfLj32ELj1ELj32ELb1ELb1ELb0EEEvllPKT_S7_PKT0_SA_PS5_SB_.uses_flat_scratch, 0
	.set _ZN2at6native12_GLOBAL__N_135GammaBetaBackwardCUDAKernelTemplateIN3c104HalfEfLj32ELj1ELj32ELb1ELb1ELb0EEEvllPKT_S7_PKT0_SA_PS5_SB_.has_dyn_sized_stack, 0
	.set _ZN2at6native12_GLOBAL__N_135GammaBetaBackwardCUDAKernelTemplateIN3c104HalfEfLj32ELj1ELj32ELb1ELb1ELb0EEEvllPKT_S7_PKT0_SA_PS5_SB_.has_recursion, 0
	.set _ZN2at6native12_GLOBAL__N_135GammaBetaBackwardCUDAKernelTemplateIN3c104HalfEfLj32ELj1ELj32ELb1ELb1ELb0EEEvllPKT_S7_PKT0_SA_PS5_SB_.has_indirect_call, 0
	.section	.AMDGPU.csdata,"",@progbits
; Kernel info:
; codeLenInByte = 3572
; TotalNumSgprs: 46
; NumVgprs: 71
; NumAgprs: 0
; TotalNumVgprs: 71
; ScratchSize: 0
; MemoryBound: 0
; FloatMode: 240
; IeeeMode: 1
; LDSByteSize: 0 bytes/workgroup (compile time only)
; SGPRBlocks: 5
; VGPRBlocks: 8
; NumSGPRsForWavesPerEU: 46
; NumVGPRsForWavesPerEU: 71
; AccumOffset: 72
; Occupancy: 7
; WaveLimiterHint : 0
; COMPUTE_PGM_RSRC2:SCRATCH_EN: 0
; COMPUTE_PGM_RSRC2:USER_SGPR: 2
; COMPUTE_PGM_RSRC2:TRAP_HANDLER: 0
; COMPUTE_PGM_RSRC2:TGID_X_EN: 1
; COMPUTE_PGM_RSRC2:TGID_Y_EN: 1
; COMPUTE_PGM_RSRC2:TGID_Z_EN: 0
; COMPUTE_PGM_RSRC2:TIDIG_COMP_CNT: 1
; COMPUTE_PGM_RSRC3_GFX90A:ACCUM_OFFSET: 17
; COMPUTE_PGM_RSRC3_GFX90A:TG_SPLIT: 0
	.section	.text._ZN2at6native12_GLOBAL__N_135GammaBetaBackwardCUDAKernelTemplateIN3c104HalfEfLj32ELj1ELj32ELb1ELb0ELb0EEEvllPKT_S7_PKT0_SA_PS5_SB_,"axG",@progbits,_ZN2at6native12_GLOBAL__N_135GammaBetaBackwardCUDAKernelTemplateIN3c104HalfEfLj32ELj1ELj32ELb1ELb0ELb0EEEvllPKT_S7_PKT0_SA_PS5_SB_,comdat
	.globl	_ZN2at6native12_GLOBAL__N_135GammaBetaBackwardCUDAKernelTemplateIN3c104HalfEfLj32ELj1ELj32ELb1ELb0ELb0EEEvllPKT_S7_PKT0_SA_PS5_SB_ ; -- Begin function _ZN2at6native12_GLOBAL__N_135GammaBetaBackwardCUDAKernelTemplateIN3c104HalfEfLj32ELj1ELj32ELb1ELb0ELb0EEEvllPKT_S7_PKT0_SA_PS5_SB_
	.p2align	8
	.type	_ZN2at6native12_GLOBAL__N_135GammaBetaBackwardCUDAKernelTemplateIN3c104HalfEfLj32ELj1ELj32ELb1ELb0ELb0EEEvllPKT_S7_PKT0_SA_PS5_SB_,@function
_ZN2at6native12_GLOBAL__N_135GammaBetaBackwardCUDAKernelTemplateIN3c104HalfEfLj32ELj1ELj32ELb1ELb0ELb0EEEvllPKT_S7_PKT0_SA_PS5_SB_: ; @_ZN2at6native12_GLOBAL__N_135GammaBetaBackwardCUDAKernelTemplateIN3c104HalfEfLj32ELj1ELj32ELb1ELb0ELb0EEEvllPKT_S7_PKT0_SA_PS5_SB_
; %bb.0:
	s_load_dwordx8 s[12:19], s[0:1], 0x0
	s_load_dwordx4 s[20:23], s[0:1], 0x20
	s_mov_b32 s8, s3
	s_lshl_b32 s3, s2, 5
	s_or_b32 s4, s3, 31
	s_mov_b32 s11, 0
	v_mov_b32_e32 v2, s4
	v_mov_b32_e32 v3, 0
	s_lshl_b32 s10, s8, 5
	s_waitcnt lgkmcnt(0)
	v_cmp_le_i64_e32 vcc, s[14:15], v[2:3]
	v_mov_b64_e32 v[2:3], s[10:11]
	v_cmp_gt_i64_e64 s[4:5], s[12:13], v[2:3]
	s_nop 1
	v_cndmask_b32_e64 v1, 0, 1, s[4:5]
	v_cmp_ne_u32_e64 s[4:5], 1, v1
	s_cbranch_vccz .LBB84_144
; %bb.1:
	s_and_b64 vcc, exec, s[4:5]
	s_cbranch_vccnz .LBB84_145
; %bb.2:
	v_and_b32_e32 v172, 0x3ff, v0
	v_mov_b32_e32 v2, 0
	v_bfe_u32 v173, v0, 10, 10
	v_add_u32_e32 v4, s3, v172
	v_mov_b32_e32 v5, v2
	v_lshlrev_b32_e32 v222, 5, v173
	v_mov_b32_e32 v223, v2
	v_cmp_gt_i64_e64 s[6:7], s[14:15], v[4:5]
	v_lshlrev_b64 v[36:37], 1, v[4:5]
	v_lshl_add_u64 v[4:5], v[222:223], 0, s[10:11]
	v_mul_lo_u32 v3, s15, v4
	v_mul_lo_u32 v8, s14, v5
	v_mad_u64_u32 v[6:7], s[28:29], s14, v4, 0
	v_add3_u32 v7, v7, v8, v3
	v_lshlrev_b64 v[6:7], 1, v[6:7]
	v_lshl_add_u64 v[38:39], s[16:17], 0, v[6:7]
	v_lshl_add_u64 v[40:41], s[18:19], 0, v[6:7]
	v_lshl_add_u64 v[6:7], v[4:5], 0, 31
	v_mul_lo_u32 v9, s15, v6
	v_mul_lo_u32 v10, s14, v7
	v_mad_u64_u32 v[6:7], s[34:35], s14, v6, 0
	v_add3_u32 v7, v7, v10, v9
	v_lshlrev_b64 v[6:7], 1, v[6:7]
	v_lshl_add_u64 v[42:43], s[16:17], 0, v[6:7]
	v_lshl_add_u64 v[44:45], s[18:19], 0, v[6:7]
	;; [unrolled: 8-line block ×30, first 2 shown]
	v_lshl_add_u64 v[6:7], v[4:5], 0, 2
	s_load_dword s9, s[0:1], 0x44
	v_mul_lo_u32 v5, s15, v6
	v_mul_lo_u32 v9, s14, v7
	v_mad_u64_u32 v[6:7], s[34:35], s14, v6, 0
	v_add3_u32 v7, v7, v9, v5
	v_lshlrev_b64 v[6:7], 1, v[6:7]
	v_lshl_add_u64 v[160:161], s[16:17], 0, v[6:7]
	v_lshl_add_u64 v[162:163], s[18:19], 0, v[6:7]
	v_mov_b64_e32 v[6:7], s[14:15]
	s_add_u32 s24, s0, 64
	v_mad_u64_u32 v[4:5], s[34:35], s14, v4, v[6:7]
	s_addc_u32 s25, s1, 0
	s_waitcnt lgkmcnt(0)
	s_lshl_b32 s26, s9, 5
	v_add3_u32 v5, v3, v5, v8
	v_mbcnt_lo_u32_b32 v3, -1, 0
	s_mul_i32 s9, s15, s26
	s_mul_hi_u32 s28, s14, s26
	v_mbcnt_hi_u32_b32 v3, -1, v3
	s_add_i32 s29, s28, s9
	s_mul_i32 s28, s14, s26
	v_lshlrev_b64 v[4:5], 1, v[4:5]
	v_lshlrev_b32_e32 v3, 2, v3
	s_mov_b32 s27, s11
	s_lshl_b64 s[28:29], s[28:29], 1
	s_mov_b64 s[30:31], 31
	v_lshl_add_u64 v[164:165], s[16:17], 0, v[4:5]
	v_lshl_add_u64 v[166:167], s[18:19], 0, v[4:5]
	v_and_b32_e32 v174, 0x100, v3
	v_mov_b32_e32 v168, 0
	v_mov_b32_e32 v169, v2
	s_mov_b64 s[34:35], s[10:11]
	s_branch .LBB84_5
.LBB84_3:                               ;   in Loop: Header=BB84_5 Depth=1
	s_or_b64 exec, exec, s[36:37]
	s_waitcnt vmcnt(1)
	ds_bpermute_b32 v204, v174, v171
	s_waitcnt vmcnt(0)
	ds_bpermute_b32 v205, v174, v170
	ds_bpermute_b32 v207, v174, v171 offset:4
	ds_bpermute_b32 v206, v174, v170 offset:4
	;; [unrolled: 1-line block ×3, first 2 shown]
	s_waitcnt lgkmcnt(4)
	v_sub_f32_e32 v175, v175, v204
	v_mul_f32_e32 v175, v4, v175
	s_waitcnt lgkmcnt(3)
	v_mul_f32_e32 v205, v175, v205
	s_waitcnt lgkmcnt(2)
	v_sub_f32_e32 v106, v106, v207
	ds_bpermute_b32 v175, v174, v170 offset:8
	v_mul_f32_e32 v106, v5, v106
	s_waitcnt lgkmcnt(2)
	v_mul_f32_e32 v207, v106, v206
	ds_bpermute_b32 v106, v174, v171 offset:12
	s_waitcnt lgkmcnt(2)
	v_sub_f32_e32 v3, v3, v208
	v_mul_f32_e32 v3, v6, v3
	s_waitcnt lgkmcnt(1)
	v_mul_f32_e32 v209, v3, v175
	ds_bpermute_b32 v3, v174, v170 offset:12
	ds_bpermute_b32 v175, v174, v171 offset:16
	s_waitcnt lgkmcnt(2)
	v_sub_f32_e32 v106, v177, v106
	ds_bpermute_b32 v177, v174, v170 offset:16
	v_mul_f32_e32 v106, v7, v106
	s_waitcnt lgkmcnt(2)
	v_mul_f32_e32 v211, v106, v3
	s_waitcnt lgkmcnt(1)
	v_sub_f32_e32 v3, v107, v175
	ds_bpermute_b32 v106, v174, v171 offset:20
	v_mul_f32_e32 v3, v8, v3
	s_waitcnt lgkmcnt(1)
	v_mul_f32_e32 v107, v3, v177
	ds_bpermute_b32 v3, v174, v170 offset:20
	ds_bpermute_b32 v175, v174, v171 offset:24
	ds_bpermute_b32 v177, v174, v170 offset:24
	s_waitcnt lgkmcnt(3)
	v_sub_f32_e32 v106, v179, v106
	v_mul_f32_e32 v106, v9, v106
	s_waitcnt lgkmcnt(2)
	v_mul_f32_e32 v179, v106, v3
	s_waitcnt lgkmcnt(1)
	v_sub_f32_e32 v3, v178, v175
	ds_bpermute_b32 v106, v174, v171 offset:28
	v_mul_f32_e32 v3, v10, v3
	s_waitcnt lgkmcnt(1)
	v_mul_f32_e32 v213, v3, v177
	ds_bpermute_b32 v3, v174, v170 offset:28
	ds_bpermute_b32 v175, v174, v171 offset:32
	ds_bpermute_b32 v177, v174, v170 offset:32
	s_waitcnt lgkmcnt(3)
	v_sub_f32_e32 v106, v181, v106
	;; [unrolled: 14-line block ×3, first 2 shown]
	v_mul_f32_e32 v106, v13, v106
	s_waitcnt lgkmcnt(2)
	v_mul_f32_e32 v217, v106, v3
	s_waitcnt lgkmcnt(1)
	v_sub_f32_e32 v3, v183, v175
	v_mul_f32_e32 v3, v14, v3
	s_waitcnt lgkmcnt(0)
	v_mul_f32_e32 v219, v3, v177
	ds_bpermute_b32 v3, v174, v171 offset:44
	v_mov_b32_e32 v208, v6
	ds_bpermute_b32 v6, v174, v170 offset:44
	v_mov_b32_e32 v106, v8
	ds_bpermute_b32 v8, v174, v171 offset:48
	s_waitcnt lgkmcnt(2)
	v_sub_f32_e32 v3, v184, v3
	v_mul_f32_e32 v3, v15, v3
	v_mov_b32_e32 v210, v7
	s_waitcnt lgkmcnt(1)
	v_mul_f32_e32 v7, v3, v6
	ds_bpermute_b32 v3, v174, v170 offset:48
	ds_bpermute_b32 v6, v174, v171 offset:52
	v_mov_b32_e32 v212, v10
	ds_bpermute_b32 v10, v174, v170 offset:52
	s_waitcnt lgkmcnt(3)
	v_sub_f32_e32 v8, v182, v8
	v_mul_f32_e32 v8, v16, v8
	v_mov_b32_e32 v178, v9
	s_waitcnt lgkmcnt(2)
	v_mul_f32_e32 v9, v8, v3
	s_waitcnt lgkmcnt(1)
	v_sub_f32_e32 v3, v187, v6
	ds_bpermute_b32 v6, v174, v171 offset:56
	v_mul_f32_e32 v3, v17, v3
	v_mov_b32_e32 v180, v11
	s_waitcnt lgkmcnt(1)
	v_mul_f32_e32 v11, v3, v10
	ds_bpermute_b32 v3, v174, v170 offset:56
	ds_bpermute_b32 v8, v174, v171 offset:60
	v_mov_b32_e32 v204, v4
	ds_bpermute_b32 v10, v174, v170 offset:60
	v_pk_add_f32 v[168:169], v[168:169], v[204:205]
	v_mov_b32_e32 v206, v5
	s_waitcnt lgkmcnt(3)
	v_sub_f32_e32 v6, v186, v6
	v_pk_add_f32 v[4:5], v[206:207], v[168:169]
	v_mul_f32_e32 v6, v18, v6
	v_pk_add_f32 v[4:5], v[208:209], v[4:5]
	v_mov_b32_e32 v216, v13
	s_waitcnt lgkmcnt(2)
	v_mul_f32_e32 v13, v6, v3
	s_waitcnt lgkmcnt(1)
	v_sub_f32_e32 v3, v189, v8
	ds_bpermute_b32 v6, v174, v171 offset:64
	v_pk_add_f32 v[4:5], v[210:211], v[4:5]
	v_mul_f32_e32 v3, v19, v3
	v_pk_add_f32 v[4:5], v[106:107], v[4:5]
	s_waitcnt lgkmcnt(1)
	v_mul_f32_e32 v107, v3, v10
	ds_bpermute_b32 v3, v174, v170 offset:64
	ds_bpermute_b32 v8, v174, v171 offset:68
	;; [unrolled: 1-line block ×3, first 2 shown]
	s_waitcnt lgkmcnt(3)
	v_sub_f32_e32 v6, v188, v6
	v_mul_f32_e32 v6, v20, v6
	s_waitcnt lgkmcnt(2)
	v_mul_f32_e32 v169, v6, v3
	s_waitcnt lgkmcnt(1)
	v_sub_f32_e32 v3, v191, v8
	ds_bpermute_b32 v6, v174, v171 offset:72
	v_mul_f32_e32 v3, v21, v3
	v_pk_add_f32 v[4:5], v[178:179], v[4:5]
	s_waitcnt lgkmcnt(1)
	v_mul_f32_e32 v179, v3, v10
	ds_bpermute_b32 v3, v174, v170 offset:72
	ds_bpermute_b32 v8, v174, v171 offset:76
	;; [unrolled: 1-line block ×3, first 2 shown]
	s_waitcnt lgkmcnt(3)
	v_sub_f32_e32 v6, v190, v6
	v_pk_add_f32 v[4:5], v[212:213], v[4:5]
	v_mul_f32_e32 v6, v22, v6
	v_pk_add_f32 v[4:5], v[180:181], v[4:5]
	s_waitcnt lgkmcnt(2)
	v_mul_f32_e32 v181, v6, v3
	s_waitcnt lgkmcnt(1)
	v_sub_f32_e32 v3, v194, v8
	ds_bpermute_b32 v6, v174, v171 offset:80
	v_mul_f32_e32 v3, v23, v3
	s_waitcnt lgkmcnt(1)
	v_mul_f32_e32 v183, v3, v10
	ds_bpermute_b32 v3, v174, v170 offset:80
	ds_bpermute_b32 v8, v174, v171 offset:84
	;; [unrolled: 1-line block ×3, first 2 shown]
	s_waitcnt lgkmcnt(3)
	v_sub_f32_e32 v6, v193, v6
	v_mov_b32_e32 v214, v12
	v_mul_f32_e32 v6, v24, v6
	v_pk_add_f32 v[4:5], v[214:215], v[4:5]
	s_waitcnt lgkmcnt(2)
	v_mul_f32_e32 v185, v6, v3
	s_waitcnt lgkmcnt(1)
	v_sub_f32_e32 v3, v197, v8
	v_pk_add_f32 v[4:5], v[216:217], v[4:5]
	v_mov_b32_e32 v218, v14
	v_mul_f32_e32 v3, v25, v3
	v_pk_add_f32 v[4:5], v[218:219], v[4:5]
	s_waitcnt lgkmcnt(0)
	v_mul_f32_e32 v187, v3, v10
	v_mov_b32_e32 v6, v15
	ds_bpermute_b32 v3, v174, v171 offset:88
	v_pk_add_f32 v[4:5], v[6:7], v[4:5]
	v_mov_b32_e32 v8, v16
	v_pk_add_f32 v[4:5], v[8:9], v[4:5]
	ds_bpermute_b32 v6, v174, v170 offset:88
	ds_bpermute_b32 v8, v174, v171 offset:92
	;; [unrolled: 1-line block ×3, first 2 shown]
	s_waitcnt lgkmcnt(3)
	v_sub_f32_e32 v3, v192, v3
	v_mul_f32_e32 v3, v26, v3
	s_waitcnt lgkmcnt(2)
	v_mul_f32_e32 v7, v3, v6
	s_waitcnt lgkmcnt(1)
	v_sub_f32_e32 v3, v196, v8
	ds_bpermute_b32 v6, v174, v171 offset:96
	v_mul_f32_e32 v3, v27, v3
	s_waitcnt lgkmcnt(1)
	v_mul_f32_e32 v9, v3, v9
	ds_bpermute_b32 v3, v174, v170 offset:96
	ds_bpermute_b32 v8, v174, v171 offset:100
	v_mov_b32_e32 v10, v17
	v_pk_add_f32 v[4:5], v[10:11], v[4:5]
	ds_bpermute_b32 v10, v174, v170 offset:100
	s_waitcnt lgkmcnt(3)
	v_sub_f32_e32 v6, v195, v6
	v_mul_f32_e32 v6, v28, v6
	s_waitcnt lgkmcnt(2)
	v_mul_f32_e32 v11, v6, v3
	s_waitcnt lgkmcnt(1)
	v_sub_f32_e32 v3, v199, v8
	ds_bpermute_b32 v6, v174, v171 offset:104
	v_mov_b32_e32 v12, v18
	v_mul_f32_e32 v3, v29, v3
	v_pk_add_f32 v[4:5], v[12:13], v[4:5]
	s_waitcnt lgkmcnt(1)
	v_mul_f32_e32 v13, v3, v10
	ds_bpermute_b32 v3, v174, v170 offset:104
	ds_bpermute_b32 v8, v174, v171 offset:108
	;; [unrolled: 1-line block ×3, first 2 shown]
	s_waitcnt lgkmcnt(3)
	v_sub_f32_e32 v6, v198, v6
	v_mul_f32_e32 v6, v30, v6
	v_mov_b32_e32 v106, v19
	s_waitcnt lgkmcnt(2)
	v_mul_f32_e32 v15, v6, v3
	s_waitcnt lgkmcnt(1)
	v_sub_f32_e32 v3, v202, v8
	ds_bpermute_b32 v6, v174, v171 offset:112
	v_pk_add_f32 v[4:5], v[106:107], v[4:5]
	v_mov_b32_e32 v168, v20
	v_mul_f32_e32 v3, v31, v3
	v_pk_add_f32 v[4:5], v[168:169], v[4:5]
	v_mov_b32_e32 v178, v21
	s_waitcnt lgkmcnt(1)
	v_mul_f32_e32 v17, v3, v10
	ds_bpermute_b32 v3, v174, v170 offset:112
	ds_bpermute_b32 v8, v174, v171 offset:116
	v_pk_add_f32 v[4:5], v[178:179], v[4:5]
	v_mov_b32_e32 v180, v22
	v_pk_add_f32 v[4:5], v[180:181], v[4:5]
	v_mov_b32_e32 v182, v23
	ds_bpermute_b32 v10, v174, v170 offset:116
	v_pk_add_f32 v[4:5], v[182:183], v[4:5]
	v_mov_b32_e32 v184, v24
	s_waitcnt lgkmcnt(3)
	v_sub_f32_e32 v6, v200, v6
	v_pk_add_f32 v[4:5], v[184:185], v[4:5]
	v_mov_b32_e32 v186, v25
	v_mul_f32_e32 v6, v32, v6
	v_pk_add_f32 v[4:5], v[186:187], v[4:5]
	s_waitcnt lgkmcnt(2)
	v_mul_f32_e32 v19, v6, v3
	s_waitcnt lgkmcnt(1)
	v_sub_f32_e32 v3, v203, v8
	v_mov_b32_e32 v6, v26
	v_mul_f32_e32 v3, v33, v3
	v_pk_add_f32 v[4:5], v[6:7], v[4:5]
	v_mov_b32_e32 v8, v27
	s_waitcnt lgkmcnt(0)
	v_mul_f32_e32 v21, v3, v10
	v_pk_add_f32 v[4:5], v[8:9], v[4:5]
	v_mov_b32_e32 v10, v28
	v_pk_add_f32 v[4:5], v[10:11], v[4:5]
	v_mov_b32_e32 v12, v29
	;; [unrolled: 2-line block ×4, first 2 shown]
	ds_bpermute_b32 v3, v174, v171 offset:120
	v_pk_add_f32 v[4:5], v[16:17], v[4:5]
	v_mov_b32_e32 v18, v32
	v_pk_add_f32 v[4:5], v[18:19], v[4:5]
	v_mov_b32_e32 v20, v33
	v_pk_add_f32 v[6:7], v[20:21], v[4:5]
	ds_bpermute_b32 v5, v174, v170 offset:120
	s_waitcnt lgkmcnt(1)
	v_sub_f32_e32 v8, v201, v3
	ds_bpermute_b32 v3, v174, v170 offset:124
	ds_bpermute_b32 v4, v174, v171 offset:124
	v_mul_f32_e32 v8, v34, v8
	s_waitcnt lgkmcnt(2)
	v_mul_f32_e32 v9, v8, v5
	v_mov_b32_e32 v8, v34
	v_pk_add_f32 v[170:171], v[8:9], v[6:7]
.LBB84_4:                               ;   in Loop: Header=BB84_5 Depth=1
	s_waitcnt lgkmcnt(0)
	v_sub_f32_e32 v4, v176, v4
	v_mul_f32_e32 v4, v35, v4
	v_mul_f32_e32 v5, v4, v3
	v_mov_b32_e32 v4, v35
	s_add_u32 s34, s34, s26
	v_pk_add_f32 v[168:169], v[170:171], v[4:5]
	s_addc_u32 s35, s35, 0
	v_mov_b64_e32 v[4:5], s[12:13]
	s_add_u32 s30, s30, s26
	v_cmp_lt_i64_e32 vcc, s[34:35], v[4:5]
	v_lshl_add_u64 v[38:39], v[38:39], 0, s[28:29]
	v_lshl_add_u64 v[40:41], v[40:41], 0, s[28:29]
	;; [unrolled: 1-line block ×65, first 2 shown]
	s_addc_u32 s31, 0, s31
	s_cbranch_vccz .LBB84_146
.LBB84_5:                               ; =>This Inner Loop Header: Depth=1
	s_add_u32 s36, s10, s30
	s_addc_u32 s37, 0, s31
	v_mov_b64_e32 v[4:5], s[12:13]
	v_cmp_ge_i64_e32 vcc, s[36:37], v[4:5]
	v_lshl_add_u64 v[106:107], s[10:11], 0, v[222:223]
	s_mov_b64 s[36:37], -1
	s_and_b64 vcc, exec, vcc
                                        ; implicit-def: $vgpr4_vgpr5_vgpr6_vgpr7_vgpr8_vgpr9_vgpr10_vgpr11_vgpr12_vgpr13_vgpr14_vgpr15_vgpr16_vgpr17_vgpr18_vgpr19_vgpr20_vgpr21_vgpr22_vgpr23_vgpr24_vgpr25_vgpr26_vgpr27_vgpr28_vgpr29_vgpr30_vgpr31_vgpr32_vgpr33_vgpr34_vgpr35
                                        ; implicit-def: $vgpr170_vgpr171
                                        ; implicit-def: $vgpr3
                                        ; implicit-def: $vgpr176
                                        ; implicit-def: $vgpr4
	s_cbranch_vccz .LBB84_75
; %bb.6:                                ;   in Loop: Header=BB84_5 Depth=1
	s_load_dword s9, s[24:25], 0xc
	v_mov_b32_e32 v175, 0
	v_mov_b32_e32 v170, 0
	;; [unrolled: 1-line block ×3, first 2 shown]
	s_waitcnt lgkmcnt(0)
	s_and_b32 s9, s9, 0xffff
	v_mad_u32_u24 v3, v173, s9, v172
	v_and_b32_e32 v4, 63, v3
	v_cmp_gt_u32_e32 vcc, 32, v4
	s_and_saveexec_b64 s[36:37], vcc
	s_cbranch_execz .LBB84_10
; %bb.7:                                ;   in Loop: Header=BB84_5 Depth=1
	v_mov_b32_e32 v5, v2
	v_lshl_add_u64 v[4:5], v[106:107], 0, v[4:5]
	v_cmp_gt_i64_e32 vcc, s[12:13], v[4:5]
	v_mov_b32_e32 v171, 0
	v_mov_b32_e32 v170, 0
	s_and_saveexec_b64 s[38:39], vcc
	s_cbranch_execz .LBB84_9
; %bb.8:                                ;   in Loop: Header=BB84_5 Depth=1
	v_lshlrev_b64 v[4:5], 2, v[4:5]
	v_lshl_add_u64 v[6:7], s[22:23], 0, v[4:5]
	v_lshl_add_u64 v[4:5], s[20:21], 0, v[4:5]
	global_load_dword v171, v[4:5], off
	global_load_dword v170, v[6:7], off
.LBB84_9:                               ;   in Loop: Header=BB84_5 Depth=1
	s_or_b64 exec, exec, s[38:39]
.LBB84_10:                              ;   in Loop: Header=BB84_5 Depth=1
	s_or_b64 exec, exec, s[36:37]
	v_mov_b32_e32 v4, v2
	v_mov_b32_e32 v5, v2
	;; [unrolled: 1-line block ×30, first 2 shown]
	v_cmp_gt_i64_e32 vcc, s[12:13], v[106:107]
	v_mov_b32_e32 v3, v2
	v_mov_b64_e32 v[34:35], v[32:33]
	s_and_b64 s[38:39], s[6:7], vcc
	v_mov_b64_e32 v[32:33], v[30:31]
	v_mov_b64_e32 v[30:31], v[28:29]
	;; [unrolled: 1-line block ×15, first 2 shown]
	s_and_saveexec_b64 s[36:37], s[38:39]
	s_cbranch_execz .LBB84_12
; %bb.11:                               ;   in Loop: Header=BB84_5 Depth=1
	v_lshl_add_u64 v[4:5], v[38:39], 0, v[36:37]
	global_load_ushort v3, v[4:5], off
	v_lshl_add_u64 v[4:5], v[40:41], 0, v[36:37]
	global_load_ushort v33, v[4:5], off
	v_mov_b32_e32 v5, v2
	v_mov_b32_e32 v6, v2
	;; [unrolled: 1-line block ×30, first 2 shown]
	s_waitcnt vmcnt(1)
	v_cvt_f32_f16_e32 v4, v3
	s_waitcnt vmcnt(0)
	v_cvt_f32_f16_e32 v175, v33
	v_mov_b32_e32 v33, v2
.LBB84_12:                              ;   in Loop: Header=BB84_5 Depth=1
	s_or_b64 exec, exec, s[36:37]
	v_lshl_add_u64 v[176:177], v[106:107], 0, 1
	v_cmp_gt_i64_e32 vcc, s[12:13], v[176:177]
	s_and_b64 s[38:39], s[6:7], vcc
	v_mov_b32_e32 v3, 0
	v_mov_b32_e32 v177, 0
	s_and_saveexec_b64 s[36:37], s[38:39]
	s_cbranch_execz .LBB84_14
; %bb.13:                               ;   in Loop: Header=BB84_5 Depth=1
	v_lshl_add_u64 v[176:177], v[164:165], 0, v[36:37]
	global_load_ushort v5, v[176:177], off
	v_lshl_add_u64 v[176:177], v[166:167], 0, v[36:37]
	global_load_ushort v176, v[176:177], off
	s_waitcnt vmcnt(1)
	v_cvt_f32_f16_e32 v5, v5
	s_waitcnt vmcnt(0)
	v_cvt_f32_f16_e32 v177, v176
.LBB84_14:                              ;   in Loop: Header=BB84_5 Depth=1
	s_or_b64 exec, exec, s[36:37]
	v_lshl_add_u64 v[178:179], v[106:107], 0, 2
	v_cmp_gt_i64_e32 vcc, s[12:13], v[178:179]
	s_and_b64 s[38:39], s[6:7], vcc
	s_and_saveexec_b64 s[36:37], s[38:39]
	s_cbranch_execz .LBB84_16
; %bb.15:                               ;   in Loop: Header=BB84_5 Depth=1
	v_lshl_add_u64 v[178:179], v[160:161], 0, v[36:37]
	global_load_ushort v3, v[178:179], off
	v_lshl_add_u64 v[178:179], v[162:163], 0, v[36:37]
	global_load_ushort v176, v[178:179], off
	s_waitcnt vmcnt(1)
	v_cvt_f32_f16_e32 v6, v3
	s_waitcnt vmcnt(0)
	v_cvt_f32_f16_e32 v3, v176
.LBB84_16:                              ;   in Loop: Header=BB84_5 Depth=1
	s_or_b64 exec, exec, s[36:37]
	v_lshl_add_u64 v[178:179], v[106:107], 0, 3
	v_cmp_gt_i64_e32 vcc, s[12:13], v[178:179]
	s_and_b64 s[38:39], s[6:7], vcc
	v_mov_b32_e32 v178, 0
	v_mov_b32_e32 v179, 0
	s_and_saveexec_b64 s[36:37], s[38:39]
	s_cbranch_execz .LBB84_18
; %bb.17:                               ;   in Loop: Header=BB84_5 Depth=1
	v_lshl_add_u64 v[180:181], v[156:157], 0, v[36:37]
	global_load_ushort v7, v[180:181], off
	v_lshl_add_u64 v[180:181], v[158:159], 0, v[36:37]
	global_load_ushort v176, v[180:181], off
	s_waitcnt vmcnt(1)
	v_cvt_f32_f16_e32 v7, v7
	s_waitcnt vmcnt(0)
	v_cvt_f32_f16_e32 v179, v176
.LBB84_18:                              ;   in Loop: Header=BB84_5 Depth=1
	s_or_b64 exec, exec, s[36:37]
	v_lshl_add_u64 v[180:181], v[106:107], 0, 4
	v_cmp_gt_i64_e32 vcc, s[12:13], v[180:181]
	s_and_b64 s[38:39], s[6:7], vcc
	s_and_saveexec_b64 s[36:37], s[38:39]
	s_cbranch_execz .LBB84_20
; %bb.19:                               ;   in Loop: Header=BB84_5 Depth=1
	v_lshl_add_u64 v[180:181], v[152:153], 0, v[36:37]
	global_load_ushort v8, v[180:181], off
	v_lshl_add_u64 v[180:181], v[154:155], 0, v[36:37]
	global_load_ushort v176, v[180:181], off
	s_waitcnt vmcnt(1)
	v_cvt_f32_f16_e32 v8, v8
	s_waitcnt vmcnt(0)
	v_cvt_f32_f16_e32 v178, v176
.LBB84_20:                              ;   in Loop: Header=BB84_5 Depth=1
	;; [unrolled: 34-line block ×15, first 2 shown]
	s_or_b64 exec, exec, s[36:37]
	v_lshl_add_u64 v[206:207], v[106:107], 0, 31
	v_cmp_gt_i64_e32 vcc, s[12:13], v[206:207]
	s_and_b64 s[38:39], s[6:7], vcc
	v_mov_b32_e32 v176, 0
	s_and_saveexec_b64 s[36:37], s[38:39]
	s_cbranch_execz .LBB84_74
; %bb.73:                               ;   in Loop: Header=BB84_5 Depth=1
	v_lshl_add_u64 v[206:207], v[42:43], 0, v[36:37]
	global_load_ushort v35, v[206:207], off
	v_lshl_add_u64 v[206:207], v[44:45], 0, v[36:37]
	global_load_ushort v176, v[206:207], off
	s_waitcnt vmcnt(1)
	v_cvt_f32_f16_e32 v35, v35
	s_waitcnt vmcnt(0)
	v_cvt_f32_f16_e32 v176, v176
.LBB84_74:                              ;   in Loop: Header=BB84_5 Depth=1
	s_or_b64 exec, exec, s[36:37]
	s_waitcnt vmcnt(1)
	ds_bpermute_b32 v206, v174, v171
	s_waitcnt vmcnt(0)
	ds_bpermute_b32 v207, v174, v170
	ds_bpermute_b32 v209, v174, v171 offset:4
	ds_bpermute_b32 v208, v174, v170 offset:4
	;; [unrolled: 1-line block ×3, first 2 shown]
	s_waitcnt lgkmcnt(4)
	v_sub_f32_e32 v175, v175, v206
	v_mul_f32_e32 v175, v4, v175
	s_waitcnt lgkmcnt(3)
	v_mul_f32_e32 v207, v175, v207
	s_waitcnt lgkmcnt(2)
	v_sub_f32_e32 v175, v177, v209
	ds_bpermute_b32 v177, v174, v170 offset:8
	v_mul_f32_e32 v175, v5, v175
	s_waitcnt lgkmcnt(2)
	v_mul_f32_e32 v209, v175, v208
	s_waitcnt lgkmcnt(1)
	v_sub_f32_e32 v3, v3, v210
	ds_bpermute_b32 v175, v174, v171 offset:12
	v_mul_f32_e32 v3, v6, v3
	s_waitcnt lgkmcnt(1)
	v_mul_f32_e32 v211, v3, v177
	ds_bpermute_b32 v3, v174, v170 offset:12
	ds_bpermute_b32 v177, v174, v171 offset:16
	ds_bpermute_b32 v206, v174, v170 offset:16
	s_waitcnt lgkmcnt(3)
	v_sub_f32_e32 v175, v179, v175
	v_mul_f32_e32 v175, v7, v175
	s_waitcnt lgkmcnt(2)
	v_mul_f32_e32 v179, v175, v3
	s_waitcnt lgkmcnt(1)
	v_sub_f32_e32 v3, v178, v177
	ds_bpermute_b32 v175, v174, v171 offset:20
	v_mul_f32_e32 v3, v8, v3
	s_waitcnt lgkmcnt(1)
	v_mul_f32_e32 v213, v3, v206
	ds_bpermute_b32 v3, v174, v170 offset:20
	ds_bpermute_b32 v177, v174, v171 offset:24
	ds_bpermute_b32 v178, v174, v170 offset:24
	s_waitcnt lgkmcnt(3)
	v_sub_f32_e32 v175, v181, v175
	;; [unrolled: 14-line block ×4, first 2 shown]
	v_mul_f32_e32 v175, v13, v175
	s_waitcnt lgkmcnt(2)
	v_mul_f32_e32 v219, v175, v3
	s_waitcnt lgkmcnt(1)
	v_sub_f32_e32 v3, v185, v177
	v_mul_f32_e32 v3, v14, v3
	s_waitcnt lgkmcnt(0)
	v_mul_f32_e32 v221, v3, v178
	ds_bpermute_b32 v3, v174, v171 offset:44
	v_mov_b32_e32 v210, v6
	ds_bpermute_b32 v6, v174, v170 offset:44
	v_mov_b32_e32 v212, v8
	ds_bpermute_b32 v8, v174, v171 offset:48
	s_waitcnt lgkmcnt(2)
	v_sub_f32_e32 v3, v187, v3
	v_mul_f32_e32 v3, v15, v3
	v_mov_b32_e32 v178, v7
	s_waitcnt lgkmcnt(1)
	v_mul_f32_e32 v7, v3, v6
	ds_bpermute_b32 v3, v174, v170 offset:48
	ds_bpermute_b32 v6, v174, v171 offset:52
	v_mov_b32_e32 v214, v10
	ds_bpermute_b32 v10, v174, v170 offset:52
	s_waitcnt lgkmcnt(3)
	v_sub_f32_e32 v8, v184, v8
	v_mul_f32_e32 v8, v16, v8
	v_mov_b32_e32 v180, v9
	s_waitcnt lgkmcnt(2)
	v_mul_f32_e32 v9, v8, v3
	s_waitcnt lgkmcnt(1)
	v_sub_f32_e32 v3, v189, v6
	ds_bpermute_b32 v6, v174, v171 offset:56
	v_mul_f32_e32 v3, v17, v3
	v_mov_b32_e32 v182, v11
	s_waitcnt lgkmcnt(1)
	v_mul_f32_e32 v11, v3, v10
	ds_bpermute_b32 v3, v174, v170 offset:56
	ds_bpermute_b32 v8, v174, v171 offset:60
	;; [unrolled: 1-line block ×3, first 2 shown]
	v_mov_b32_e32 v206, v4
	s_waitcnt lgkmcnt(3)
	v_sub_f32_e32 v6, v188, v6
	v_pk_add_f32 v[206:207], v[168:169], v[206:207]
	v_mov_b32_e32 v208, v5
	v_mul_f32_e32 v6, v18, v6
	v_pk_add_f32 v[4:5], v[208:209], v[206:207]
	v_mov_b32_e32 v218, v13
	s_waitcnt lgkmcnt(2)
	v_mul_f32_e32 v13, v6, v3
	s_waitcnt lgkmcnt(1)
	v_sub_f32_e32 v3, v191, v8
	ds_bpermute_b32 v6, v174, v171 offset:64
	v_pk_add_f32 v[4:5], v[210:211], v[4:5]
	v_mul_f32_e32 v3, v19, v3
	v_pk_add_f32 v[4:5], v[178:179], v[4:5]
	s_waitcnt lgkmcnt(1)
	v_mul_f32_e32 v179, v3, v10
	ds_bpermute_b32 v3, v174, v170 offset:64
	ds_bpermute_b32 v8, v174, v171 offset:68
	;; [unrolled: 1-line block ×3, first 2 shown]
	s_waitcnt lgkmcnt(3)
	v_sub_f32_e32 v6, v190, v6
	v_pk_add_f32 v[4:5], v[212:213], v[4:5]
	v_mul_f32_e32 v6, v20, v6
	v_pk_add_f32 v[4:5], v[180:181], v[4:5]
	s_waitcnt lgkmcnt(2)
	v_mul_f32_e32 v181, v6, v3
	s_waitcnt lgkmcnt(1)
	v_sub_f32_e32 v3, v193, v8
	ds_bpermute_b32 v6, v174, v171 offset:72
	v_pk_add_f32 v[4:5], v[214:215], v[4:5]
	v_mul_f32_e32 v3, v21, v3
	v_pk_add_f32 v[4:5], v[182:183], v[4:5]
	s_waitcnt lgkmcnt(1)
	v_mul_f32_e32 v183, v3, v10
	ds_bpermute_b32 v3, v174, v170 offset:72
	ds_bpermute_b32 v8, v174, v171 offset:76
	;; [unrolled: 1-line block ×3, first 2 shown]
	s_waitcnt lgkmcnt(3)
	v_sub_f32_e32 v6, v192, v6
	v_mul_f32_e32 v6, v22, v6
	s_waitcnt lgkmcnt(2)
	v_mul_f32_e32 v185, v6, v3
	s_waitcnt lgkmcnt(1)
	v_sub_f32_e32 v3, v196, v8
	ds_bpermute_b32 v6, v174, v171 offset:80
	v_mul_f32_e32 v3, v23, v3
	s_waitcnt lgkmcnt(1)
	v_mul_f32_e32 v187, v3, v10
	ds_bpermute_b32 v3, v174, v170 offset:80
	ds_bpermute_b32 v8, v174, v171 offset:84
	;; [unrolled: 1-line block ×3, first 2 shown]
	s_waitcnt lgkmcnt(3)
	v_sub_f32_e32 v6, v194, v6
	v_mov_b32_e32 v216, v12
	v_mul_f32_e32 v6, v24, v6
	v_pk_add_f32 v[4:5], v[216:217], v[4:5]
	s_waitcnt lgkmcnt(2)
	v_mul_f32_e32 v189, v6, v3
	s_waitcnt lgkmcnt(1)
	v_sub_f32_e32 v3, v198, v8
	v_pk_add_f32 v[4:5], v[218:219], v[4:5]
	v_mov_b32_e32 v220, v14
	v_mul_f32_e32 v3, v25, v3
	v_pk_add_f32 v[4:5], v[220:221], v[4:5]
	s_waitcnt lgkmcnt(0)
	v_mul_f32_e32 v191, v3, v10
	v_mov_b32_e32 v6, v15
	ds_bpermute_b32 v3, v174, v171 offset:88
	v_pk_add_f32 v[4:5], v[6:7], v[4:5]
	v_mov_b32_e32 v8, v16
	v_pk_add_f32 v[4:5], v[8:9], v[4:5]
	ds_bpermute_b32 v6, v174, v170 offset:88
	ds_bpermute_b32 v8, v174, v171 offset:92
	;; [unrolled: 1-line block ×3, first 2 shown]
	s_waitcnt lgkmcnt(3)
	v_sub_f32_e32 v3, v195, v3
	v_mul_f32_e32 v3, v26, v3
	s_waitcnt lgkmcnt(2)
	v_mul_f32_e32 v7, v3, v6
	s_waitcnt lgkmcnt(1)
	v_sub_f32_e32 v3, v199, v8
	ds_bpermute_b32 v6, v174, v171 offset:96
	v_mul_f32_e32 v3, v27, v3
	s_waitcnt lgkmcnt(1)
	v_mul_f32_e32 v9, v3, v9
	ds_bpermute_b32 v3, v174, v170 offset:96
	ds_bpermute_b32 v8, v174, v171 offset:100
	v_mov_b32_e32 v10, v17
	v_pk_add_f32 v[4:5], v[10:11], v[4:5]
	ds_bpermute_b32 v10, v174, v170 offset:100
	s_waitcnt lgkmcnt(3)
	v_sub_f32_e32 v6, v197, v6
	v_mul_f32_e32 v6, v28, v6
	s_waitcnt lgkmcnt(2)
	v_mul_f32_e32 v11, v6, v3
	s_waitcnt lgkmcnt(1)
	v_sub_f32_e32 v3, v201, v8
	ds_bpermute_b32 v6, v174, v171 offset:104
	v_mov_b32_e32 v12, v18
	v_mul_f32_e32 v3, v29, v3
	v_pk_add_f32 v[4:5], v[12:13], v[4:5]
	s_waitcnt lgkmcnt(1)
	v_mul_f32_e32 v13, v3, v10
	ds_bpermute_b32 v3, v174, v170 offset:104
	ds_bpermute_b32 v8, v174, v171 offset:108
	;; [unrolled: 1-line block ×3, first 2 shown]
	s_waitcnt lgkmcnt(3)
	v_sub_f32_e32 v6, v200, v6
	v_mul_f32_e32 v6, v30, v6
	v_mov_b32_e32 v178, v19
	s_waitcnt lgkmcnt(2)
	v_mul_f32_e32 v15, v6, v3
	s_waitcnt lgkmcnt(1)
	v_sub_f32_e32 v3, v203, v8
	ds_bpermute_b32 v6, v174, v171 offset:112
	v_pk_add_f32 v[4:5], v[178:179], v[4:5]
	v_mov_b32_e32 v180, v20
	v_mul_f32_e32 v3, v31, v3
	v_pk_add_f32 v[4:5], v[180:181], v[4:5]
	v_mov_b32_e32 v182, v21
	s_waitcnt lgkmcnt(1)
	v_mul_f32_e32 v17, v3, v10
	ds_bpermute_b32 v3, v174, v170 offset:112
	ds_bpermute_b32 v8, v174, v171 offset:116
	v_pk_add_f32 v[4:5], v[182:183], v[4:5]
	v_mov_b32_e32 v184, v22
	v_pk_add_f32 v[4:5], v[184:185], v[4:5]
	v_mov_b32_e32 v186, v23
	ds_bpermute_b32 v10, v174, v170 offset:116
	v_pk_add_f32 v[4:5], v[186:187], v[4:5]
	v_mov_b32_e32 v188, v24
	s_waitcnt lgkmcnt(3)
	v_sub_f32_e32 v6, v202, v6
	v_pk_add_f32 v[4:5], v[188:189], v[4:5]
	v_mov_b32_e32 v190, v25
	v_mul_f32_e32 v6, v32, v6
	v_pk_add_f32 v[4:5], v[190:191], v[4:5]
	s_waitcnt lgkmcnt(2)
	v_mul_f32_e32 v19, v6, v3
	s_waitcnt lgkmcnt(1)
	v_sub_f32_e32 v3, v205, v8
	v_mov_b32_e32 v6, v26
	v_mul_f32_e32 v3, v33, v3
	v_pk_add_f32 v[4:5], v[6:7], v[4:5]
	v_mov_b32_e32 v8, v27
	s_waitcnt lgkmcnt(0)
	v_mul_f32_e32 v21, v3, v10
	v_pk_add_f32 v[4:5], v[8:9], v[4:5]
	v_mov_b32_e32 v10, v28
	v_pk_add_f32 v[4:5], v[10:11], v[4:5]
	v_mov_b32_e32 v12, v29
	;; [unrolled: 2-line block ×3, first 2 shown]
	ds_bpermute_b32 v3, v174, v171 offset:120
	v_pk_add_f32 v[4:5], v[14:15], v[4:5]
	v_mov_b32_e32 v16, v31
	v_pk_add_f32 v[4:5], v[16:17], v[4:5]
	v_mov_b32_e32 v18, v32
	;; [unrolled: 2-line block ×3, first 2 shown]
	v_pk_add_f32 v[6:7], v[20:21], v[4:5]
	ds_bpermute_b32 v5, v174, v170 offset:120
	s_waitcnt lgkmcnt(1)
	v_sub_f32_e32 v3, v204, v3
	v_mul_f32_e32 v8, v34, v3
	ds_bpermute_b32 v3, v174, v170 offset:124
	ds_bpermute_b32 v4, v174, v171 offset:124
	s_waitcnt lgkmcnt(2)
	v_mul_f32_e32 v9, v8, v5
	v_mov_b32_e32 v8, v34
	v_pk_add_f32 v[170:171], v[8:9], v[6:7]
	s_mov_b64 s[36:37], 0
.LBB84_75:                              ;   in Loop: Header=BB84_5 Depth=1
	s_and_b64 vcc, exec, s[36:37]
	s_cbranch_vccz .LBB84_4
; %bb.76:                               ;   in Loop: Header=BB84_5 Depth=1
	s_load_dword s9, s[24:25], 0x0
	v_mov_b32_e32 v175, 0
	v_mov_b32_e32 v170, 0
	;; [unrolled: 1-line block ×3, first 2 shown]
	s_waitcnt lgkmcnt(0)
	s_cmp_lt_u32 s2, s9
	s_cselect_b32 s9, 12, 18
	s_add_u32 s36, s24, s9
	s_addc_u32 s37, s25, 0
	global_load_ushort v3, v2, s[36:37]
	s_waitcnt vmcnt(0)
	v_mad_u32_u24 v3, v173, v3, v172
	v_and_b32_e32 v4, 63, v3
	v_cmp_gt_u32_e32 vcc, 32, v4
	s_and_saveexec_b64 s[36:37], vcc
	s_cbranch_execz .LBB84_80
; %bb.77:                               ;   in Loop: Header=BB84_5 Depth=1
	v_mov_b32_e32 v5, v2
	v_lshl_add_u64 v[4:5], v[106:107], 0, v[4:5]
	v_cmp_gt_i64_e32 vcc, s[12:13], v[4:5]
	v_mov_b32_e32 v171, 0
	v_mov_b32_e32 v170, 0
	s_and_saveexec_b64 s[38:39], vcc
	s_cbranch_execz .LBB84_79
; %bb.78:                               ;   in Loop: Header=BB84_5 Depth=1
	v_lshlrev_b64 v[4:5], 2, v[4:5]
	v_lshl_add_u64 v[6:7], s[22:23], 0, v[4:5]
	v_lshl_add_u64 v[4:5], s[20:21], 0, v[4:5]
	global_load_dword v171, v[4:5], off
	global_load_dword v170, v[6:7], off
.LBB84_79:                              ;   in Loop: Header=BB84_5 Depth=1
	s_or_b64 exec, exec, s[38:39]
.LBB84_80:                              ;   in Loop: Header=BB84_5 Depth=1
	s_or_b64 exec, exec, s[36:37]
	v_mov_b32_e32 v4, v2
	v_mov_b32_e32 v5, v2
	;; [unrolled: 1-line block ×31, first 2 shown]
	v_mov_b64_e32 v[34:35], v[32:33]
	v_mov_b64_e32 v[32:33], v[30:31]
	;; [unrolled: 1-line block ×16, first 2 shown]
	s_and_saveexec_b64 s[36:37], s[6:7]
	s_cbranch_execz .LBB84_82
; %bb.81:                               ;   in Loop: Header=BB84_5 Depth=1
	v_lshl_add_u64 v[4:5], v[38:39], 0, v[36:37]
	global_load_ushort v3, v[4:5], off
	v_lshl_add_u64 v[4:5], v[40:41], 0, v[36:37]
	global_load_ushort v33, v[4:5], off
	v_mov_b32_e32 v5, v2
	v_mov_b32_e32 v6, v2
	;; [unrolled: 1-line block ×30, first 2 shown]
	s_waitcnt vmcnt(1)
	v_cvt_f32_f16_e32 v4, v3
	s_waitcnt vmcnt(0)
	v_cvt_f32_f16_e32 v175, v33
	v_mov_b32_e32 v33, v2
.LBB84_82:                              ;   in Loop: Header=BB84_5 Depth=1
	s_or_b64 exec, exec, s[36:37]
	v_mov_b32_e32 v3, 0
	v_mov_b32_e32 v106, 0
	s_and_saveexec_b64 s[36:37], s[6:7]
	s_cbranch_execz .LBB84_84
; %bb.83:                               ;   in Loop: Header=BB84_5 Depth=1
	v_lshl_add_u64 v[106:107], v[164:165], 0, v[36:37]
	global_load_ushort v5, v[106:107], off
	v_lshl_add_u64 v[106:107], v[166:167], 0, v[36:37]
	global_load_ushort v106, v[106:107], off
	s_waitcnt vmcnt(1)
	v_cvt_f32_f16_e32 v5, v5
	s_waitcnt vmcnt(0)
	v_cvt_f32_f16_e32 v106, v106
.LBB84_84:                              ;   in Loop: Header=BB84_5 Depth=1
	s_or_b64 exec, exec, s[36:37]
	s_and_saveexec_b64 s[36:37], s[6:7]
	s_cbranch_execz .LBB84_86
; %bb.85:                               ;   in Loop: Header=BB84_5 Depth=1
	v_lshl_add_u64 v[176:177], v[160:161], 0, v[36:37]
	global_load_ushort v3, v[176:177], off
	v_lshl_add_u64 v[176:177], v[162:163], 0, v[36:37]
	global_load_ushort v107, v[176:177], off
	s_waitcnt vmcnt(1)
	v_cvt_f32_f16_e32 v6, v3
	s_waitcnt vmcnt(0)
	v_cvt_f32_f16_e32 v3, v107
.LBB84_86:                              ;   in Loop: Header=BB84_5 Depth=1
	s_or_b64 exec, exec, s[36:37]
	v_mov_b32_e32 v107, 0
	v_mov_b32_e32 v177, 0
	s_and_saveexec_b64 s[36:37], s[6:7]
	s_cbranch_execz .LBB84_88
; %bb.87:                               ;   in Loop: Header=BB84_5 Depth=1
	v_lshl_add_u64 v[176:177], v[156:157], 0, v[36:37]
	global_load_ushort v7, v[176:177], off
	v_lshl_add_u64 v[176:177], v[158:159], 0, v[36:37]
	global_load_ushort v176, v[176:177], off
	s_waitcnt vmcnt(1)
	v_cvt_f32_f16_e32 v7, v7
	s_waitcnt vmcnt(0)
	v_cvt_f32_f16_e32 v177, v176
.LBB84_88:                              ;   in Loop: Header=BB84_5 Depth=1
	s_or_b64 exec, exec, s[36:37]
	s_and_saveexec_b64 s[36:37], s[6:7]
	s_cbranch_execz .LBB84_90
; %bb.89:                               ;   in Loop: Header=BB84_5 Depth=1
	v_lshl_add_u64 v[178:179], v[152:153], 0, v[36:37]
	global_load_ushort v8, v[178:179], off
	v_lshl_add_u64 v[178:179], v[154:155], 0, v[36:37]
	global_load_ushort v107, v[178:179], off
	s_waitcnt vmcnt(1)
	v_cvt_f32_f16_e32 v8, v8
	s_waitcnt vmcnt(0)
	v_cvt_f32_f16_e32 v107, v107
.LBB84_90:                              ;   in Loop: Header=BB84_5 Depth=1
	;; [unrolled: 28-line block ×4, first 2 shown]
	s_or_b64 exec, exec, s[36:37]
	v_mov_b32_e32 v183, 0
	v_mov_b32_e32 v185, 0
	s_and_saveexec_b64 s[36:37], s[6:7]
	s_cbranch_execz .LBB84_100
; %bb.99:                               ;   in Loop: Header=BB84_5 Depth=1
	v_lshl_add_u64 v[184:185], v[132:133], 0, v[36:37]
	global_load_ushort v13, v[184:185], off
	v_lshl_add_u64 v[184:185], v[134:135], 0, v[36:37]
	global_load_ushort v176, v[184:185], off
	s_waitcnt vmcnt(1)
	v_cvt_f32_f16_e32 v13, v13
	s_waitcnt vmcnt(0)
	v_cvt_f32_f16_e32 v185, v176
.LBB84_100:                             ;   in Loop: Header=BB84_5 Depth=1
	s_or_b64 exec, exec, s[36:37]
	s_and_saveexec_b64 s[36:37], s[6:7]
	s_cbranch_execz .LBB84_102
; %bb.101:                              ;   in Loop: Header=BB84_5 Depth=1
	v_lshl_add_u64 v[182:183], v[128:129], 0, v[36:37]
	global_load_ushort v14, v[182:183], off
	v_lshl_add_u64 v[182:183], v[130:131], 0, v[36:37]
	global_load_ushort v176, v[182:183], off
	s_waitcnt vmcnt(1)
	v_cvt_f32_f16_e32 v14, v14
	s_waitcnt vmcnt(0)
	v_cvt_f32_f16_e32 v183, v176
.LBB84_102:                             ;   in Loop: Header=BB84_5 Depth=1
	s_or_b64 exec, exec, s[36:37]
	v_mov_b32_e32 v182, 0
	v_mov_b32_e32 v184, 0
	s_and_saveexec_b64 s[36:37], s[6:7]
	s_cbranch_execz .LBB84_104
; %bb.103:                              ;   in Loop: Header=BB84_5 Depth=1
	v_lshl_add_u64 v[186:187], v[124:125], 0, v[36:37]
	global_load_ushort v15, v[186:187], off
	v_lshl_add_u64 v[186:187], v[126:127], 0, v[36:37]
	global_load_ushort v176, v[186:187], off
	s_waitcnt vmcnt(1)
	v_cvt_f32_f16_e32 v15, v15
	s_waitcnt vmcnt(0)
	v_cvt_f32_f16_e32 v184, v176
.LBB84_104:                             ;   in Loop: Header=BB84_5 Depth=1
	s_or_b64 exec, exec, s[36:37]
	s_and_saveexec_b64 s[36:37], s[6:7]
	s_cbranch_execz .LBB84_106
; %bb.105:                              ;   in Loop: Header=BB84_5 Depth=1
	v_lshl_add_u64 v[186:187], v[120:121], 0, v[36:37]
	global_load_ushort v16, v[186:187], off
	v_lshl_add_u64 v[186:187], v[122:123], 0, v[36:37]
	global_load_ushort v176, v[186:187], off
	s_waitcnt vmcnt(1)
	v_cvt_f32_f16_e32 v16, v16
	s_waitcnt vmcnt(0)
	v_cvt_f32_f16_e32 v182, v176
.LBB84_106:                             ;   in Loop: Header=BB84_5 Depth=1
	s_or_b64 exec, exec, s[36:37]
	v_mov_b32_e32 v186, 0
	v_mov_b32_e32 v187, 0
	s_and_saveexec_b64 s[36:37], s[6:7]
	s_cbranch_execz .LBB84_108
; %bb.107:                              ;   in Loop: Header=BB84_5 Depth=1
	v_lshl_add_u64 v[188:189], v[116:117], 0, v[36:37]
	global_load_ushort v17, v[188:189], off
	v_lshl_add_u64 v[188:189], v[118:119], 0, v[36:37]
	global_load_ushort v176, v[188:189], off
	s_waitcnt vmcnt(1)
	v_cvt_f32_f16_e32 v17, v17
	s_waitcnt vmcnt(0)
	v_cvt_f32_f16_e32 v187, v176
.LBB84_108:                             ;   in Loop: Header=BB84_5 Depth=1
	;; [unrolled: 28-line block ×9, first 2 shown]
	s_or_b64 exec, exec, s[36:37]
	s_and_saveexec_b64 s[36:37], s[6:7]
	s_cbranch_execz .LBB84_138
; %bb.137:                              ;   in Loop: Header=BB84_5 Depth=1
	v_lshl_add_u64 v[200:201], v[54:55], 0, v[36:37]
	global_load_ushort v32, v[200:201], off
	v_lshl_add_u64 v[200:201], v[56:57], 0, v[36:37]
	global_load_ushort v176, v[200:201], off
	s_waitcnt vmcnt(1)
	v_cvt_f32_f16_e32 v32, v32
	s_waitcnt vmcnt(0)
	v_cvt_f32_f16_e32 v200, v176
.LBB84_138:                             ;   in Loop: Header=BB84_5 Depth=1
	s_or_b64 exec, exec, s[36:37]
	v_mov_b32_e32 v201, 0
	v_mov_b32_e32 v203, 0
	s_and_saveexec_b64 s[36:37], s[6:7]
	s_cbranch_execnz .LBB84_141
; %bb.139:                              ;   in Loop: Header=BB84_5 Depth=1
	s_or_b64 exec, exec, s[36:37]
	s_and_saveexec_b64 s[36:37], s[6:7]
	s_cbranch_execnz .LBB84_142
.LBB84_140:                             ;   in Loop: Header=BB84_5 Depth=1
	s_or_b64 exec, exec, s[36:37]
	v_mov_b32_e32 v176, 0
	s_and_saveexec_b64 s[36:37], s[6:7]
	s_cbranch_execz .LBB84_3
	s_branch .LBB84_143
.LBB84_141:                             ;   in Loop: Header=BB84_5 Depth=1
	v_lshl_add_u64 v[204:205], v[50:51], 0, v[36:37]
	global_load_ushort v33, v[204:205], off
	v_lshl_add_u64 v[204:205], v[52:53], 0, v[36:37]
	global_load_ushort v176, v[204:205], off
	s_waitcnt vmcnt(1)
	v_cvt_f32_f16_e32 v33, v33
	s_waitcnt vmcnt(0)
	v_cvt_f32_f16_e32 v203, v176
	s_or_b64 exec, exec, s[36:37]
	s_and_saveexec_b64 s[36:37], s[6:7]
	s_cbranch_execz .LBB84_140
.LBB84_142:                             ;   in Loop: Header=BB84_5 Depth=1
	v_lshl_add_u64 v[204:205], v[46:47], 0, v[36:37]
	global_load_ushort v34, v[204:205], off
	v_lshl_add_u64 v[204:205], v[48:49], 0, v[36:37]
	global_load_ushort v176, v[204:205], off
	s_waitcnt vmcnt(1)
	v_cvt_f32_f16_e32 v34, v34
	s_waitcnt vmcnt(0)
	v_cvt_f32_f16_e32 v201, v176
	s_or_b64 exec, exec, s[36:37]
	v_mov_b32_e32 v176, 0
	s_and_saveexec_b64 s[36:37], s[6:7]
	s_cbranch_execz .LBB84_3
.LBB84_143:                             ;   in Loop: Header=BB84_5 Depth=1
	v_lshl_add_u64 v[204:205], v[42:43], 0, v[36:37]
	global_load_ushort v35, v[204:205], off
	v_lshl_add_u64 v[204:205], v[44:45], 0, v[36:37]
	global_load_ushort v176, v[204:205], off
	s_waitcnt vmcnt(1)
	v_cvt_f32_f16_e32 v35, v35
	s_waitcnt vmcnt(0)
	v_cvt_f32_f16_e32 v176, v176
	s_branch .LBB84_3
.LBB84_144:
                                        ; implicit-def: $vgpr168_vgpr169
	s_branch .LBB84_147
.LBB84_145:
	v_mov_b32_e32 v168, 0
	v_mov_b32_e32 v169, v168
.LBB84_146:
	s_cbranch_execnz .LBB84_228
.LBB84_147:
	s_and_b64 vcc, exec, s[4:5]
	s_mov_b32 s5, 0
	s_cbranch_vccnz .LBB84_226
; %bb.148:
	v_mov_b32_e32 v2, 0
	v_bfe_u32 v6, v0, 10, 10
	v_and_b32_e32 v1, 0x3ff, v0
	v_lshlrev_b32_e32 v102, 5, v6
	v_mov_b32_e32 v103, v2
	v_accvgpr_write_b32 a1, v1
	v_add_u32_e32 v4, s3, v1
	v_mov_b32_e32 v5, v2
	v_accvgpr_write_b32 a0, v0
	v_lshl_add_u64 v[0:1], v[102:103], 0, s[10:11]
	v_lshlrev_b64 v[38:39], 1, v[4:5]
	v_mul_lo_u32 v3, s15, v0
	v_mul_lo_u32 v70, s14, v1
	v_mad_u64_u32 v[4:5], s[24:25], s14, v0, 0
	v_add3_u32 v5, v5, v70, v3
	v_lshlrev_b64 v[4:5], 1, v[4:5]
	v_lshl_add_u64 v[8:9], s[16:17], 0, v[4:5]
	v_lshl_add_u64 v[4:5], s[18:19], 0, v[4:5]
	v_accvgpr_write_b32 a9, v5
	v_accvgpr_write_b32 a8, v4
	v_lshlrev_b32_e32 v4, 6, v6
	v_mov_b32_e32 v5, v2
	v_lshl_add_u64 v[4:5], s[10:11], 1, v[4:5]
	v_lshl_add_u64 v[58:59], v[4:5], 0, 2
	v_mov_b64_e32 v[68:69], s[16:17]
	v_accvgpr_write_b32 a2, v6
	v_mad_u64_u32 v[6:7], s[26:27], s14, v58, v[68:69]
	v_mul_lo_u32 v59, s14, v59
	v_mul_lo_u32 v71, s15, v58
	v_add3_u32 v7, v71, v7, v59
	v_accvgpr_write_b32 a11, v7
	v_lshl_add_u64 v[62:63], v[4:5], 0, 4
	v_accvgpr_write_b32 a10, v6
	v_mad_u64_u32 v[6:7], s[26:27], s14, v62, v[68:69]
	v_mul_lo_u32 v63, s14, v63
	v_mul_lo_u32 v72, s15, v62
	v_add3_u32 v7, v72, v7, v63
	v_accvgpr_write_b32 a13, v7
	v_lshl_add_u64 v[64:65], v[4:5], 0, 6
	v_accvgpr_write_b32 a12, v6
	v_mad_u64_u32 v[6:7], s[26:27], s14, v64, v[68:69]
	v_mul_lo_u32 v65, s14, v65
	v_mul_lo_u32 v73, s15, v64
	v_add3_u32 v7, v73, v7, v65
	v_accvgpr_write_b32 a15, v7
	v_lshl_add_u64 v[66:67], v[4:5], 0, 8
	v_accvgpr_write_b32 a14, v6
	v_mad_u64_u32 v[6:7], s[26:27], s14, v66, v[68:69]
	v_mul_lo_u32 v67, s14, v67
	v_mul_lo_u32 v74, s15, v66
	v_add3_u32 v7, v74, v7, v67
	v_accvgpr_write_b32 a17, v7
	v_lshl_add_u64 v[60:61], v[4:5], 0, 10
	v_accvgpr_write_b32 a16, v6
	v_mad_u64_u32 v[6:7], s[26:27], s14, v60, v[68:69]
	v_mul_lo_u32 v61, s14, v61
	v_mul_lo_u32 v75, s15, v60
	v_add3_u32 v7, v75, v7, v61
	v_accvgpr_write_b32 a19, v7
	v_lshl_add_u64 v[56:57], v[4:5], 0, 12
	v_accvgpr_write_b32 a18, v6
	v_mad_u64_u32 v[6:7], s[26:27], s14, v56, v[68:69]
	v_mul_lo_u32 v57, s14, v57
	v_mul_lo_u32 v76, s15, v56
	v_add3_u32 v7, v76, v7, v57
	v_accvgpr_write_b32 a21, v7
	v_lshl_add_u64 v[54:55], v[4:5], 0, 14
	v_accvgpr_write_b32 a20, v6
	v_mad_u64_u32 v[6:7], s[26:27], s14, v54, v[68:69]
	v_mul_lo_u32 v55, s14, v55
	v_mul_lo_u32 v77, s15, v54
	v_add3_u32 v7, v77, v7, v55
	v_accvgpr_write_b32 a23, v7
	v_lshl_add_u64 v[52:53], v[4:5], 0, 16
	v_accvgpr_write_b32 a22, v6
	v_mad_u64_u32 v[6:7], s[26:27], s14, v52, v[68:69]
	v_mul_lo_u32 v53, s14, v53
	v_mul_lo_u32 v78, s15, v52
	v_add3_u32 v7, v78, v7, v53
	v_accvgpr_write_b32 a25, v7
	v_lshl_add_u64 v[50:51], v[4:5], 0, 18
	v_accvgpr_write_b32 a24, v6
	v_mad_u64_u32 v[6:7], s[26:27], s14, v50, v[68:69]
	v_mul_lo_u32 v51, s14, v51
	v_mul_lo_u32 v79, s15, v50
	v_add3_u32 v7, v79, v7, v51
	v_accvgpr_write_b32 a27, v7
	v_lshl_add_u64 v[48:49], v[4:5], 0, 20
	v_accvgpr_write_b32 a26, v6
	v_mad_u64_u32 v[6:7], s[26:27], s14, v48, v[68:69]
	v_mul_lo_u32 v49, s14, v49
	v_mul_lo_u32 v80, s15, v48
	v_add3_u32 v7, v80, v7, v49
	v_accvgpr_write_b32 a29, v7
	v_lshl_add_u64 v[46:47], v[4:5], 0, 22
	v_accvgpr_write_b32 a28, v6
	v_mad_u64_u32 v[6:7], s[26:27], s14, v46, v[68:69]
	v_mul_lo_u32 v47, s14, v47
	v_mul_lo_u32 v81, s15, v46
	v_add3_u32 v7, v81, v7, v47
	v_accvgpr_write_b32 a31, v7
	v_lshl_add_u64 v[44:45], v[4:5], 0, 24
	v_accvgpr_write_b32 a30, v6
	v_mad_u64_u32 v[6:7], s[26:27], s14, v44, v[68:69]
	v_mul_lo_u32 v45, s14, v45
	v_mul_lo_u32 v82, s15, v44
	v_add3_u32 v7, v82, v7, v45
	v_accvgpr_write_b32 a33, v7
	v_lshl_add_u64 v[42:43], v[4:5], 0, 26
	v_accvgpr_write_b32 a32, v6
	v_mad_u64_u32 v[6:7], s[26:27], s14, v42, v[68:69]
	v_mul_lo_u32 v43, s14, v43
	v_mul_lo_u32 v83, s15, v42
	v_add3_u32 v7, v83, v7, v43
	v_accvgpr_write_b32 a35, v7
	v_lshl_add_u64 v[40:41], v[4:5], 0, 28
	v_accvgpr_write_b32 a34, v6
	v_mad_u64_u32 v[6:7], s[26:27], s14, v40, v[68:69]
	v_mul_lo_u32 v41, s14, v41
	v_mul_lo_u32 v84, s15, v40
	v_add3_u32 v7, v84, v7, v41
	v_accvgpr_write_b32 a37, v7
	v_lshl_add_u64 v[36:37], v[4:5], 0, 30
	v_accvgpr_write_b32 a36, v6
	v_mad_u64_u32 v[6:7], s[26:27], s14, v36, v[68:69]
	v_mul_lo_u32 v37, s14, v37
	v_mul_lo_u32 v85, s15, v36
	v_add3_u32 v7, v85, v7, v37
	v_accvgpr_write_b32 a39, v7
	v_lshl_add_u64 v[34:35], v[4:5], 0, 32
	v_accvgpr_write_b32 a38, v6
	v_mad_u64_u32 v[6:7], s[26:27], s14, v34, v[68:69]
	v_mul_lo_u32 v35, s14, v35
	v_mul_lo_u32 v86, s15, v34
	v_add3_u32 v7, v86, v7, v35
	v_accvgpr_write_b32 a41, v7
	v_lshl_add_u64 v[32:33], v[4:5], 0, 34
	v_accvgpr_write_b32 a40, v6
	v_mad_u64_u32 v[6:7], s[26:27], s14, v32, v[68:69]
	v_mul_lo_u32 v33, s14, v33
	v_mul_lo_u32 v87, s15, v32
	v_add3_u32 v7, v87, v7, v33
	v_accvgpr_write_b32 a43, v7
	v_lshl_add_u64 v[30:31], v[4:5], 0, 36
	v_accvgpr_write_b32 a42, v6
	v_mad_u64_u32 v[6:7], s[26:27], s14, v30, v[68:69]
	v_mul_lo_u32 v31, s14, v31
	v_mul_lo_u32 v88, s15, v30
	v_add3_u32 v7, v88, v7, v31
	v_accvgpr_write_b32 a45, v7
	v_lshl_add_u64 v[28:29], v[4:5], 0, 38
	v_accvgpr_write_b32 a44, v6
	v_mad_u64_u32 v[6:7], s[26:27], s14, v28, v[68:69]
	v_mul_lo_u32 v29, s14, v29
	v_mul_lo_u32 v89, s15, v28
	v_add3_u32 v7, v89, v7, v29
	v_accvgpr_write_b32 a47, v7
	v_lshl_add_u64 v[26:27], v[4:5], 0, 40
	v_accvgpr_write_b32 a46, v6
	v_mad_u64_u32 v[6:7], s[26:27], s14, v26, v[68:69]
	v_mul_lo_u32 v27, s14, v27
	v_mul_lo_u32 v90, s15, v26
	v_add3_u32 v7, v90, v7, v27
	v_accvgpr_write_b32 a49, v7
	v_lshl_add_u64 v[24:25], v[4:5], 0, 42
	v_accvgpr_write_b32 a48, v6
	v_mad_u64_u32 v[6:7], s[26:27], s14, v24, v[68:69]
	v_mul_lo_u32 v25, s14, v25
	v_mul_lo_u32 v91, s15, v24
	v_add3_u32 v7, v91, v7, v25
	v_accvgpr_write_b32 a51, v7
	v_lshl_add_u64 v[22:23], v[4:5], 0, 44
	v_accvgpr_write_b32 a50, v6
	v_mad_u64_u32 v[6:7], s[26:27], s14, v22, v[68:69]
	v_mul_lo_u32 v23, s14, v23
	v_mul_lo_u32 v92, s15, v22
	v_add3_u32 v7, v92, v7, v23
	v_accvgpr_write_b32 a53, v7
	v_lshl_add_u64 v[20:21], v[4:5], 0, 46
	v_accvgpr_write_b32 a52, v6
	v_mad_u64_u32 v[6:7], s[26:27], s14, v20, v[68:69]
	v_mul_lo_u32 v21, s14, v21
	v_mul_lo_u32 v93, s15, v20
	v_add3_u32 v7, v93, v7, v21
	v_accvgpr_write_b32 a55, v7
	v_lshl_add_u64 v[18:19], v[4:5], 0, 48
	v_accvgpr_write_b32 a54, v6
	v_mad_u64_u32 v[6:7], s[26:27], s14, v18, v[68:69]
	v_mul_lo_u32 v19, s14, v19
	v_mul_lo_u32 v94, s15, v18
	v_add3_u32 v7, v94, v7, v19
	v_accvgpr_write_b32 a57, v7
	v_lshl_add_u64 v[16:17], v[4:5], 0, 50
	v_accvgpr_write_b32 a56, v6
	v_mad_u64_u32 v[6:7], s[26:27], s14, v16, v[68:69]
	v_mul_lo_u32 v17, s14, v17
	v_mul_lo_u32 v95, s15, v16
	v_add3_u32 v7, v95, v7, v17
	v_accvgpr_write_b32 a59, v7
	v_lshl_add_u64 v[14:15], v[4:5], 0, 52
	v_accvgpr_write_b32 a58, v6
	v_mad_u64_u32 v[6:7], s[26:27], s14, v14, v[68:69]
	v_mul_lo_u32 v15, s14, v15
	v_mul_lo_u32 v96, s15, v14
	v_add3_u32 v7, v96, v7, v15
	v_accvgpr_write_b32 a61, v7
	v_lshl_add_u64 v[12:13], v[4:5], 0, 54
	v_accvgpr_write_b32 a60, v6
	v_mad_u64_u32 v[6:7], s[26:27], s14, v12, v[68:69]
	v_mul_lo_u32 v13, s14, v13
	v_mul_lo_u32 v97, s15, v12
	v_add3_u32 v7, v97, v7, v13
	v_accvgpr_write_b32 a63, v7
	v_lshl_add_u64 v[10:11], v[4:5], 0, 56
	v_accvgpr_write_b32 a62, v6
	v_mad_u64_u32 v[6:7], s[26:27], s14, v10, v[68:69]
	v_mul_lo_u32 v11, s14, v11
	v_mul_lo_u32 v98, s15, v10
	v_accvgpr_write_b32 a6, v8
	v_add3_u32 v7, v98, v7, v11
	v_accvgpr_write_b32 a7, v9
	v_accvgpr_write_b32 a65, v7
	v_lshl_add_u64 v[8:9], v[4:5], 0, 58
	v_accvgpr_write_b32 a64, v6
	v_mad_u64_u32 v[6:7], s[26:27], s14, v8, v[68:69]
	v_mul_lo_u32 v9, s14, v9
	v_mul_lo_u32 v99, s15, v8
	v_add3_u32 v7, v99, v7, v9
	v_accvgpr_write_b32 a67, v7
	v_accvgpr_write_b32 a66, v6
	v_lshl_add_u64 v[6:7], v[4:5], 0, 60
	v_lshl_add_u64 v[4:5], v[4:5], 0, 62
	v_mad_u64_u32 v[104:105], s[26:27], s14, v6, v[68:69]
	v_mul_lo_u32 v100, s14, v7
	v_mad_u64_u32 v[68:69], s[26:27], s14, v4, v[68:69]
	v_mul_lo_u32 v5, s14, v5
	v_mul_lo_u32 v7, s15, v4
	v_add3_u32 v69, v7, v69, v5
	v_accvgpr_write_b32 a71, v69
	v_accvgpr_write_b32 a70, v68
	v_mov_b64_e32 v[68:69], s[18:19]
	v_mad_u64_u32 v[166:167], s[26:27], s14, v4, v[68:69]
	v_add3_u32 v167, v7, v167, v5
	v_lshl_add_u64 v[4:5], v[0:1], 0, 31
	v_mul_lo_u32 v101, s15, v6
	v_mad_u64_u32 v[164:165], s[26:27], s14, v6, v[68:69]
	v_mul_lo_u32 v6, s15, v4
	v_mul_lo_u32 v7, s14, v5
	v_mad_u64_u32 v[4:5], s[28:29], s14, v4, 0
	v_add3_u32 v5, v5, v7, v6
	v_mad_u64_u32 v[124:125], s[26:27], s14, v48, v[68:69]
	v_mad_u64_u32 v[126:127], s[26:27], s14, v46, v[68:69]
	v_lshlrev_b64 v[4:5], 1, v[4:5]
	v_add3_u32 v125, v80, v125, v49
	v_add3_u32 v127, v81, v127, v47
	v_lshl_add_u64 v[80:81], s[16:17], 0, v[4:5]
	v_lshl_add_u64 v[170:171], s[18:19], 0, v[4:5]
	v_lshl_add_u64 v[4:5], v[0:1], 0, 30
	v_mul_lo_u32 v6, s15, v4
	v_mul_lo_u32 v7, s14, v5
	v_mad_u64_u32 v[4:5], s[28:29], s14, v4, 0
	v_add3_u32 v5, v5, v7, v6
	v_lshlrev_b64 v[4:5], 1, v[4:5]
	v_lshl_add_u64 v[172:173], s[16:17], 0, v[4:5]
	v_lshl_add_u64 v[174:175], s[18:19], 0, v[4:5]
	v_lshl_add_u64 v[4:5], v[0:1], 0, 29
	v_mul_lo_u32 v6, s15, v4
	v_mul_lo_u32 v7, s14, v5
	v_mad_u64_u32 v[4:5], s[28:29], s14, v4, 0
	v_add3_u32 v5, v5, v7, v6
	v_lshlrev_b64 v[4:5], 1, v[4:5]
	;; [unrolled: 8-line block ×8, first 2 shown]
	v_lshl_add_u64 v[200:201], s[16:17], 0, v[4:5]
	v_lshl_add_u64 v[202:203], s[18:19], 0, v[4:5]
	;; [unrolled: 1-line block ×3, first 2 shown]
	v_mul_lo_u32 v6, s15, v4
	v_mul_lo_u32 v7, s14, v5
	v_mad_u64_u32 v[4:5], s[28:29], s14, v4, 0
	v_mad_u64_u32 v[162:163], s[26:27], s14, v8, v[68:69]
	v_add3_u32 v5, v5, v7, v6
	v_lshl_add_u64 v[6:7], v[0:1], 0, 21
	v_add3_u32 v163, v99, v163, v9
	v_mul_lo_u32 v8, s15, v6
	v_mul_lo_u32 v9, s14, v7
	v_mad_u64_u32 v[6:7], s[28:29], s14, v6, 0
	v_mad_u64_u32 v[160:161], s[26:27], s14, v10, v[68:69]
	v_add3_u32 v7, v7, v9, v8
	v_lshl_add_u64 v[8:9], v[0:1], 0, 20
	v_add3_u32 v161, v98, v161, v11
	;; [unrolled: 7-line block ×14, first 2 shown]
	v_mul_lo_u32 v34, s15, v32
	v_mul_lo_u32 v35, s14, v33
	v_mad_u64_u32 v[32:33], s[28:29], s14, v32, 0
	v_add3_u32 v105, v101, v105, v100
	v_accvgpr_write_b32 a68, v104
	v_mad_u64_u32 v[134:135], s[26:27], s14, v36, v[68:69]
	v_add3_u32 v33, v33, v35, v34
	v_lshl_add_u64 v[34:35], v[0:1], 0, 7
	v_accvgpr_write_b32 a69, v105
	v_mad_u64_u32 v[104:105], s[26:27], s14, v58, v[68:69]
	v_add3_u32 v135, v85, v135, v37
	v_mul_lo_u32 v36, s15, v34
	v_mul_lo_u32 v37, s14, v35
	v_mad_u64_u32 v[34:35], s[28:29], s14, v34, 0
	v_add3_u32 v105, v71, v105, v59
	v_mad_u64_u32 v[58:59], s[26:27], s14, v62, v[68:69]
	v_mad_u64_u32 v[132:133], s[26:27], s14, v40, v[68:69]
	v_add3_u32 v35, v35, v37, v36
	v_lshl_add_u64 v[36:37], v[0:1], 0, 6
	v_add3_u32 v59, v72, v59, v63
	v_add3_u32 v133, v84, v133, v41
	v_mul_lo_u32 v40, s15, v36
	v_mul_lo_u32 v41, s14, v37
	v_mad_u64_u32 v[36:37], s[28:29], s14, v36, 0
	v_accvgpr_write_b32 a75, v59
	v_mad_u64_u32 v[130:131], s[26:27], s14, v42, v[68:69]
	v_add3_u32 v37, v37, v41, v40
	v_lshl_add_u64 v[40:41], v[0:1], 0, 5
	v_accvgpr_write_b32 a74, v58
	v_mad_u64_u32 v[58:59], s[26:27], s14, v64, v[68:69]
	v_add3_u32 v131, v83, v131, v43
	v_mul_lo_u32 v42, s15, v40
	v_mul_lo_u32 v43, s14, v41
	v_mad_u64_u32 v[40:41], s[28:29], s14, v40, 0
	v_add3_u32 v59, v73, v59, v65
	v_mad_u64_u32 v[128:129], s[26:27], s14, v44, v[68:69]
	v_add3_u32 v41, v41, v43, v42
	v_lshl_add_u64 v[42:43], v[0:1], 0, 4
	v_accvgpr_write_b32 a77, v59
	v_add3_u32 v129, v82, v129, v45
	v_mul_lo_u32 v44, s15, v42
	v_mul_lo_u32 v45, s14, v43
	v_mad_u64_u32 v[42:43], s[28:29], s14, v42, 0
	v_accvgpr_write_b32 a76, v58
	v_mad_u64_u32 v[58:59], s[26:27], s14, v66, v[68:69]
	v_add3_u32 v43, v43, v45, v44
	v_lshl_add_u64 v[44:45], v[0:1], 0, 3
	v_add3_u32 v59, v74, v59, v67
	v_mul_lo_u32 v46, s15, v44
	v_mul_lo_u32 v45, s14, v45
	v_mad_u64_u32 v[66:67], s[28:29], s14, v44, 0
	v_add3_u32 v67, v67, v45, v46
	v_lshl_add_u64 v[44:45], v[0:1], 0, 2
	v_accvgpr_write_b32 a79, v59
	v_mul_lo_u32 v1, s15, v44
	v_mul_lo_u32 v45, s14, v45
	v_mad_u64_u32 v[72:73], s[28:29], s14, v44, 0
	v_accvgpr_write_b32 a78, v58
	v_mad_u64_u32 v[58:59], s[26:27], s14, v60, v[68:69]
	v_add3_u32 v73, v73, v45, v1
	v_mov_b64_e32 v[44:45], s[14:15]
	v_add3_u32 v59, v75, v59, v61
	v_mad_u64_u32 v[74:75], s[28:29], s14, v0, v[44:45]
	v_lshlrev_b64 v[0:1], 1, v[6:7]
	v_lshl_add_u64 v[208:209], s[16:17], 0, v[0:1]
	v_lshl_add_u64 v[210:211], s[18:19], 0, v[0:1]
	v_lshlrev_b64 v[0:1], 1, v[8:9]
	v_accvgpr_write_b32 a81, v59
	v_lshl_add_u64 v[212:213], s[16:17], 0, v[0:1]
	v_lshl_add_u64 v[214:215], s[18:19], 0, v[0:1]
	v_lshlrev_b64 v[0:1], 1, v[10:11]
	v_accvgpr_write_b32 a80, v58
	v_mad_u64_u32 v[58:59], s[26:27], s14, v56, v[68:69]
	v_lshl_add_u64 v[216:217], s[16:17], 0, v[0:1]
	v_lshl_add_u64 v[218:219], s[18:19], 0, v[0:1]
	v_lshlrev_b64 v[0:1], 1, v[12:13]
	v_add3_u32 v59, v76, v59, v57
	v_mad_u64_u32 v[56:57], s[26:27], s14, v54, v[68:69]
	v_lshlrev_b64 v[4:5], 1, v[4:5]
	v_lshl_add_u64 v[220:221], s[16:17], 0, v[0:1]
	v_lshl_add_u64 v[222:223], s[18:19], 0, v[0:1]
	v_lshlrev_b64 v[0:1], 1, v[14:15]
	s_load_dword s3, s[0:1], 0x44
	v_add3_u32 v57, v77, v57, v55
	v_mad_u64_u32 v[54:55], s[26:27], s14, v52, v[68:69]
	v_lshl_add_u64 v[204:205], s[16:17], 0, v[4:5]
	v_lshl_add_u64 v[206:207], s[18:19], 0, v[4:5]
	;; [unrolled: 1-line block ×4, first 2 shown]
	v_lshlrev_b64 v[0:1], 1, v[16:17]
	v_lshlrev_b64 v[4:5], 1, v[32:33]
	v_add3_u32 v55, v78, v55, v53
	v_mad_u64_u32 v[122:123], s[26:27], s14, v50, v[68:69]
	v_lshl_add_u64 v[228:229], s[16:17], 0, v[0:1]
	v_lshl_add_u64 v[230:231], s[18:19], 0, v[0:1]
	v_lshlrev_b64 v[0:1], 1, v[18:19]
	v_lshl_add_u64 v[46:47], s[16:17], 0, v[4:5]
	v_lshl_add_u64 v[48:49], s[18:19], 0, v[4:5]
	v_lshlrev_b64 v[4:5], 1, v[34:35]
	v_accvgpr_write_b32 a85, v57
	v_accvgpr_write_b32 a87, v55
	v_add3_u32 v123, v79, v123, v51
	v_lshl_add_u64 v[232:233], s[16:17], 0, v[0:1]
	v_lshl_add_u64 v[234:235], s[18:19], 0, v[0:1]
	v_lshlrev_b64 v[0:1], 1, v[20:21]
	v_lshl_add_u64 v[50:51], s[16:17], 0, v[4:5]
	v_lshl_add_u64 v[52:53], s[18:19], 0, v[4:5]
	v_lshlrev_b64 v[4:5], 1, v[36:37]
	v_accvgpr_write_b32 a83, v59
	v_accvgpr_write_b32 a84, v56
	;; [unrolled: 1-line block ×3, first 2 shown]
	v_lshl_add_u64 v[236:237], s[16:17], 0, v[0:1]
	v_lshl_add_u64 v[238:239], s[18:19], 0, v[0:1]
	v_lshlrev_b64 v[0:1], 1, v[22:23]
	v_lshl_add_u64 v[54:55], s[16:17], 0, v[4:5]
	v_lshl_add_u64 v[56:57], s[18:19], 0, v[4:5]
	v_lshlrev_b64 v[4:5], 1, v[40:41]
	s_add_u32 s6, s0, 64
	v_accvgpr_write_b32 a82, v58
	v_lshl_add_u64 v[240:241], s[16:17], 0, v[0:1]
	v_lshl_add_u64 v[242:243], s[18:19], 0, v[0:1]
	v_lshlrev_b64 v[0:1], 1, v[24:25]
	v_lshl_add_u64 v[58:59], s[16:17], 0, v[4:5]
	v_lshl_add_u64 v[60:61], s[18:19], 0, v[4:5]
	v_lshlrev_b64 v[4:5], 1, v[42:43]
	s_addc_u32 s7, s1, 0
	s_waitcnt lgkmcnt(0)
	s_lshl_b32 s4, s3, 5
	v_add3_u32 v75, v3, v75, v70
	v_lshl_add_u64 v[244:245], s[16:17], 0, v[0:1]
	v_lshl_add_u64 v[246:247], s[18:19], 0, v[0:1]
	v_lshlrev_b64 v[0:1], 1, v[26:27]
	v_lshl_add_u64 v[62:63], s[16:17], 0, v[4:5]
	v_lshl_add_u64 v[64:65], s[18:19], 0, v[4:5]
	v_lshlrev_b64 v[4:5], 1, v[66:67]
	v_mbcnt_lo_u32_b32 v3, -1, 0
	s_mul_i32 s3, s15, s4
	s_mul_hi_u32 s9, s14, s4
	v_lshl_add_u64 v[248:249], s[16:17], 0, v[0:1]
	v_lshl_add_u64 v[250:251], s[18:19], 0, v[0:1]
	v_lshlrev_b64 v[0:1], 1, v[28:29]
	v_lshl_add_u64 v[66:67], s[16:17], 0, v[4:5]
	v_lshl_add_u64 v[68:69], s[18:19], 0, v[4:5]
	v_lshlrev_b64 v[4:5], 1, v[72:73]
	v_mbcnt_hi_u32_b32 v3, -1, v3
	s_add_i32 s25, s9, s3
	s_mul_i32 s24, s14, s4
	v_accvgpr_write_b32 a72, v104
	v_lshl_add_u64 v[252:253], s[16:17], 0, v[0:1]
	v_lshl_add_u64 v[254:255], s[18:19], 0, v[0:1]
	v_lshlrev_b64 v[0:1], 1, v[30:31]
	v_lshl_add_u64 v[70:71], s[16:17], 0, v[4:5]
	v_lshl_add_u64 v[72:73], s[18:19], 0, v[4:5]
	v_lshlrev_b64 v[4:5], 1, v[74:75]
	v_lshlrev_b32_e32 v3, 2, v3
	s_lshl_b64 s[24:25], s[24:25], 1
	v_accvgpr_write_b32 a73, v105
	v_add3_u32 v165, v101, v165, v100
	s_mov_b64 s[26:27], 31
	v_lshl_add_u64 v[44:45], s[16:17], 0, v[0:1]
	v_lshl_add_u64 v[0:1], s[18:19], 0, v[0:1]
	;; [unrolled: 1-line block ×4, first 2 shown]
	v_and_b32_e32 v78, 0x100, v3
	v_mov_b32_e32 v106, 0
	v_mov_b32_e32 v107, v2
	s_mov_b64 s[16:17], s[10:11]
	s_branch .LBB84_152
.LBB84_149:                             ;   in Loop: Header=BB84_152 Depth=1
	s_or_b64 exec, exec, s[28:29]
.LBB84_150:                             ;   in Loop: Header=BB84_152 Depth=1
	s_or_b64 exec, exec, s[18:19]
	v_accvgpr_read_b32 v4, a6
	v_accvgpr_read_b32 v5, a7
	v_lshl_add_u64 v[4:5], v[4:5], 0, v[38:39]
	global_load_ushort v4, v[4:5], off
	v_lshl_add_u64 v[6:7], v[148:149], 0, v[38:39]
	v_lshl_add_u64 v[8:9], v[150:151], 0, v[38:39]
	;; [unrolled: 1-line block ×9, first 2 shown]
	s_waitcnt vmcnt(0)
	v_cvt_f32_f16_e32 v42, v4
	v_accvgpr_read_b32 v4, a8
	v_accvgpr_read_b32 v5, a9
	v_lshl_add_u64 v[4:5], v[4:5], 0, v[38:39]
	global_load_ushort v4, v[4:5], off
	s_waitcnt vmcnt(0)
	v_cvt_f32_f16_e32 v43, v4
	v_accvgpr_read_b32 v4, a10
	v_accvgpr_read_b32 v5, a11
	v_lshl_add_u64 v[4:5], v[4:5], 0, v[38:39]
	global_load_ushort v4, v[4:5], off
	;; [unrolled: 6-line block ×18, first 2 shown]
	s_waitcnt vmcnt(0)
	v_cvt_f32_f16_e32 v104, v4
	v_lshl_add_u64 v[4:5], v[122:123], 0, v[38:39]
	global_load_ushort v4, v[4:5], off
	s_waitcnt vmcnt(0)
	v_cvt_f32_f16_e32 v105, v4
	v_accvgpr_read_b32 v4, a28
	v_accvgpr_read_b32 v5, a29
	v_lshl_add_u64 v[4:5], v[4:5], 0, v[38:39]
	global_load_ushort v4, v[4:5], off
	s_waitcnt vmcnt(0)
	v_cvt_f32_f16_e32 v36, v4
	v_lshl_add_u64 v[4:5], v[124:125], 0, v[38:39]
	global_load_ushort v4, v[4:5], off
	s_waitcnt vmcnt(0)
	v_cvt_f32_f16_e32 v37, v4
	v_accvgpr_read_b32 v4, a30
	v_accvgpr_read_b32 v5, a31
	v_lshl_add_u64 v[4:5], v[4:5], 0, v[38:39]
	global_load_ushort v4, v[4:5], off
	;; [unrolled: 10-line block ×13, first 2 shown]
	s_waitcnt vmcnt(0)
	v_cvt_f32_f16_e32 v4, v4
	global_load_ushort v5, v[6:7], off
	v_accvgpr_read_b32 v6, a54
	v_accvgpr_read_b32 v7, a55
	v_lshl_add_u64 v[6:7], v[6:7], 0, v[38:39]
	global_load_ushort v6, v[6:7], off
	s_waitcnt vmcnt(1)
	v_cvt_f32_f16_e32 v5, v5
	global_load_ushort v7, v[8:9], off
	v_accvgpr_read_b32 v8, a56
	v_accvgpr_read_b32 v9, a57
	v_lshl_add_u64 v[8:9], v[8:9], 0, v[38:39]
	global_load_ushort v8, v[8:9], off
	;; [unrolled: 7-line block ×5, first 2 shown]
	v_cvt_f32_f16_e32 v8, v8
	global_load_ushort v15, v[18:19], off
	v_accvgpr_read_b32 v18, a64
	v_accvgpr_read_b32 v19, a65
	v_lshl_add_u64 v[18:19], v[18:19], 0, v[38:39]
	global_load_ushort v16, v[18:19], off
	s_waitcnt vmcnt(6)
	v_cvt_f32_f16_e32 v10, v10
	s_waitcnt vmcnt(5)
	v_cvt_f32_f16_e32 v11, v11
	;; [unrolled: 2-line block ×7, first 2 shown]
	global_load_ushort v16, v[20:21], off
	v_accvgpr_read_b32 v20, a66
	v_accvgpr_read_b32 v21, a67
	v_lshl_add_u64 v[20:21], v[20:21], 0, v[38:39]
	s_waitcnt vmcnt(0)
	v_cvt_f32_f16_e32 v19, v16
	global_load_ushort v16, v[20:21], off
	s_waitcnt vmcnt(0)
	v_cvt_f32_f16_e32 v20, v16
	global_load_ushort v16, v[22:23], off
	v_accvgpr_read_b32 v22, a68
	v_accvgpr_read_b32 v23, a69
	v_lshl_add_u64 v[22:23], v[22:23], 0, v[38:39]
	s_waitcnt vmcnt(0)
	v_cvt_f32_f16_e32 v21, v16
	global_load_ushort v16, v[22:23], off
	s_waitcnt vmcnt(0)
	v_cvt_f32_f16_e32 v22, v16
	global_load_ushort v16, v[108:109], off
	v_accvgpr_read_b32 v109, a71
	v_accvgpr_read_b32 v108, a70
	v_lshl_add_u64 v[108:109], v[108:109], 0, v[38:39]
	s_waitcnt vmcnt(0)
	v_cvt_f32_f16_e32 v23, v16
	global_load_ushort v16, v[108:109], off
	v_lshl_add_u64 v[108:109], v[166:167], 0, v[38:39]
	global_load_ushort v79, v[108:109], off
	ds_bpermute_b32 v109, v78, v3
	ds_bpermute_b32 v108, v78, v17
	s_waitcnt lgkmcnt(1)
	v_sub_f32_e32 v43, v43, v109
	ds_bpermute_b32 v109, v78, v3 offset:4
	v_mul_f32_e32 v43, v43, v42
	s_waitcnt lgkmcnt(1)
	v_mul_f32_e32 v43, v43, v108
	ds_bpermute_b32 v108, v78, v17 offset:4
	v_pk_add_f32 v[42:43], v[106:107], v[42:43]
	s_waitcnt lgkmcnt(1)
	v_sub_f32_e32 v89, v89, v109
	ds_bpermute_b32 v109, v78, v3 offset:8
	v_mul_f32_e32 v89, v89, v88
	s_waitcnt lgkmcnt(1)
	v_mul_f32_e32 v89, v89, v108
	ds_bpermute_b32 v108, v78, v17 offset:8
	v_pk_add_f32 v[42:43], v[42:43], v[88:89]
	;; [unrolled: 8-line block ×10, first 2 shown]
	s_waitcnt lgkmcnt(1)
	v_sub_f32_e32 v37, v37, v109
	v_mul_f32_e32 v37, v37, v36
	s_waitcnt lgkmcnt(0)
	v_mul_f32_e32 v37, v37, v108
	v_pk_add_f32 v[36:37], v[42:43], v[36:37]
	ds_bpermute_b32 v43, v78, v3 offset:44
	ds_bpermute_b32 v42, v78, v17 offset:44
	s_waitcnt lgkmcnt(1)
	v_sub_f32_e32 v25, v25, v43
	ds_bpermute_b32 v43, v78, v3 offset:48
	v_mul_f32_e32 v25, v25, v24
	s_waitcnt lgkmcnt(1)
	v_mul_f32_e32 v25, v25, v42
	ds_bpermute_b32 v42, v78, v17 offset:48
	v_pk_add_f32 v[24:25], v[36:37], v[24:25]
	s_waitcnt lgkmcnt(1)
	v_sub_f32_e32 v27, v27, v43
	ds_bpermute_b32 v43, v78, v3 offset:52
	v_mul_f32_e32 v27, v27, v26
	s_waitcnt lgkmcnt(1)
	v_mul_f32_e32 v27, v27, v42
	ds_bpermute_b32 v42, v78, v17 offset:52
	v_pk_add_f32 v[24:25], v[24:25], v[26:27]
	s_waitcnt lgkmcnt(1)
	v_sub_f32_e32 v29, v29, v43
	ds_bpermute_b32 v43, v78, v3 offset:56
	v_mul_f32_e32 v29, v29, v28
	s_waitcnt lgkmcnt(1)
	v_mul_f32_e32 v29, v29, v42
	ds_bpermute_b32 v42, v78, v17 offset:56
	ds_bpermute_b32 v27, v78, v3 offset:88
	s_waitcnt lgkmcnt(2)
	v_sub_f32_e32 v31, v31, v43
	ds_bpermute_b32 v43, v78, v3 offset:60
	v_mul_f32_e32 v31, v31, v30
	s_waitcnt lgkmcnt(2)
	v_mul_f32_e32 v31, v31, v42
	ds_bpermute_b32 v42, v78, v17 offset:60
	ds_bpermute_b32 v26, v78, v17 offset:88
	s_waitcnt lgkmcnt(2)
	v_sub_f32_e32 v33, v33, v43
	ds_bpermute_b32 v43, v78, v3 offset:64
	v_mul_f32_e32 v33, v33, v32
	s_waitcnt lgkmcnt(2)
	v_mul_f32_e32 v33, v33, v42
	ds_bpermute_b32 v42, v78, v17 offset:64
	v_sub_f32_e32 v5, v5, v27
	s_waitcnt lgkmcnt(1)
	v_sub_f32_e32 v35, v35, v43
	ds_bpermute_b32 v43, v78, v3 offset:68
	ds_bpermute_b32 v27, v78, v3 offset:92
	v_mul_f32_e32 v35, v35, v34
	v_mul_f32_e32 v5, v5, v4
	s_waitcnt lgkmcnt(2)
	v_mul_f32_e32 v35, v35, v42
	ds_bpermute_b32 v42, v78, v17 offset:68
	v_mul_f32_e32 v5, v5, v26
	ds_bpermute_b32 v26, v78, v17 offset:92
	s_waitcnt lgkmcnt(3)
	v_sub_f32_e32 v43, v83, v43
	s_waitcnt lgkmcnt(2)
	v_sub_f32_e32 v7, v7, v27
	ds_bpermute_b32 v27, v78, v3 offset:96
	v_mul_f32_e32 v43, v43, v82
	v_mul_f32_e32 v7, v7, v6
	s_waitcnt lgkmcnt(2)
	v_mul_f32_e32 v83, v43, v42
	ds_bpermute_b32 v43, v78, v3 offset:72
	s_waitcnt lgkmcnt(2)
	v_mul_f32_e32 v7, v7, v26
	ds_bpermute_b32 v26, v78, v17 offset:96
	ds_bpermute_b32 v42, v78, v17 offset:72
	s_waitcnt lgkmcnt(3)
	v_sub_f32_e32 v9, v9, v27
	ds_bpermute_b32 v27, v78, v3 offset:100
	v_mul_f32_e32 v9, v9, v8
	s_waitcnt lgkmcnt(3)
	v_sub_f32_e32 v43, v169, v43
	s_waitcnt lgkmcnt(2)
	v_mul_f32_e32 v9, v9, v26
	ds_bpermute_b32 v26, v78, v17 offset:100
	v_mul_f32_e32 v43, v43, v168
	s_waitcnt lgkmcnt(2)
	v_mul_f32_e32 v169, v43, v42
	ds_bpermute_b32 v43, v78, v3 offset:76
	s_waitcnt lgkmcnt(2)
	v_sub_f32_e32 v11, v11, v27
	ds_bpermute_b32 v27, v78, v3 offset:104
	ds_bpermute_b32 v42, v78, v17 offset:76
	v_mul_f32_e32 v11, v11, v10
	s_waitcnt lgkmcnt(3)
	v_mul_f32_e32 v11, v11, v26
	ds_bpermute_b32 v26, v78, v17 offset:104
	s_waitcnt lgkmcnt(3)
	v_sub_f32_e32 v43, v85, v43
	v_mul_f32_e32 v43, v43, v84
	s_waitcnt lgkmcnt(2)
	v_sub_f32_e32 v13, v13, v27
	ds_bpermute_b32 v27, v78, v3 offset:108
	s_waitcnt lgkmcnt(2)
	v_mul_f32_e32 v85, v43, v42
	ds_bpermute_b32 v43, v78, v3 offset:80
	v_mul_f32_e32 v13, v13, v12
	s_waitcnt lgkmcnt(2)
	v_mul_f32_e32 v13, v13, v26
	ds_bpermute_b32 v26, v78, v17 offset:108
	ds_bpermute_b32 v42, v78, v17 offset:80
	s_waitcnt lgkmcnt(3)
	v_sub_f32_e32 v15, v15, v27
	ds_bpermute_b32 v27, v78, v3 offset:112
	s_waitcnt lgkmcnt(3)
	v_sub_f32_e32 v41, v41, v43
	ds_bpermute_b32 v43, v78, v3 offset:84
	v_pk_add_f32 v[24:25], v[24:25], v[28:29]
	v_mul_f32_e32 v15, v15, v14
	v_mul_f32_e32 v41, v41, v40
	v_pk_add_f32 v[24:25], v[24:25], v[30:31]
	s_waitcnt lgkmcnt(3)
	v_mul_f32_e32 v15, v15, v26
	ds_bpermute_b32 v26, v78, v17 offset:112
	s_waitcnt lgkmcnt(3)
	v_mul_f32_e32 v41, v41, v42
	ds_bpermute_b32 v42, v78, v17 offset:84
	v_pk_add_f32 v[24:25], v[24:25], v[32:33]
	s_waitcnt lgkmcnt(3)
	v_sub_f32_e32 v19, v19, v27
	v_pk_add_f32 v[24:25], v[24:25], v[34:35]
	ds_bpermute_b32 v27, v78, v3 offset:116
	v_pk_add_f32 v[24:25], v[24:25], v[82:83]
	s_waitcnt lgkmcnt(3)
	v_sub_f32_e32 v43, v87, v43
	v_pk_add_f32 v[24:25], v[24:25], v[168:169]
	v_mul_f32_e32 v19, v19, v18
	v_mul_f32_e32 v43, v43, v86
	v_pk_add_f32 v[24:25], v[24:25], v[84:85]
	s_waitcnt lgkmcnt(2)
	v_mul_f32_e32 v19, v19, v26
	ds_bpermute_b32 v26, v78, v17 offset:116
	s_waitcnt lgkmcnt(2)
	v_mul_f32_e32 v87, v43, v42
	v_pk_add_f32 v[24:25], v[24:25], v[40:41]
	s_waitcnt lgkmcnt(1)
	v_sub_f32_e32 v21, v21, v27
	v_pk_add_f32 v[24:25], v[24:25], v[86:87]
	ds_bpermute_b32 v27, v78, v3 offset:120
	v_pk_add_f32 v[4:5], v[24:25], v[4:5]
	v_mul_f32_e32 v21, v21, v20
	v_pk_add_f32 v[4:5], v[4:5], v[6:7]
	ds_bpermute_b32 v3, v78, v3 offset:124
	s_waitcnt vmcnt(0)
	v_cvt_f32_f16_e32 v79, v79
	s_waitcnt lgkmcnt(2)
	v_mul_f32_e32 v21, v21, v26
	ds_bpermute_b32 v26, v78, v17 offset:120
	v_pk_add_f32 v[4:5], v[4:5], v[8:9]
	v_cvt_f32_f16_e32 v16, v16
	v_pk_add_f32 v[4:5], v[4:5], v[10:11]
	ds_bpermute_b32 v6, v78, v17 offset:124
	v_pk_add_f32 v[4:5], v[4:5], v[12:13]
	s_waitcnt lgkmcnt(3)
	v_sub_f32_e32 v23, v23, v27
	v_pk_add_f32 v[4:5], v[4:5], v[14:15]
	v_mul_f32_e32 v23, v23, v22
	v_pk_add_f32 v[4:5], v[4:5], v[18:19]
	s_waitcnt lgkmcnt(2)
	v_sub_f32_e32 v3, v79, v3
	s_waitcnt lgkmcnt(1)
	v_mul_f32_e32 v23, v23, v26
	v_pk_add_f32 v[4:5], v[4:5], v[20:21]
	v_mul_f32_e32 v3, v3, v16
	v_pk_add_f32 v[4:5], v[4:5], v[22:23]
	s_waitcnt lgkmcnt(0)
	v_mul_f32_e32 v17, v3, v6
	v_pk_add_f32 v[168:169], v[4:5], v[16:17]
.LBB84_151:                             ;   in Loop: Header=BB84_152 Depth=1
	s_add_u32 s16, s16, s4
	s_addc_u32 s17, s17, 0
	v_mov_b64_e32 v[4:5], s[12:13]
	v_cmp_ge_i64_e32 vcc, s[16:17], v[4:5]
	v_accvgpr_read_b32 v4, a6
	v_accvgpr_read_b32 v5, a7
	v_lshl_add_u64 v[4:5], v[4:5], 0, s[24:25]
	v_accvgpr_write_b32 a7, v5
	v_accvgpr_write_b32 a6, v4
	v_accvgpr_read_b32 v4, a8
	v_accvgpr_read_b32 v5, a9
	v_lshl_add_u64 v[4:5], v[4:5], 0, s[24:25]
	v_accvgpr_write_b32 a9, v5
	v_accvgpr_write_b32 a8, v4
	;; [unrolled: 5-line block ×40, first 2 shown]
	v_accvgpr_read_b32 v4, a86
	v_accvgpr_read_b32 v5, a87
	;; [unrolled: 1-line block ×3, first 2 shown]
	v_lshl_add_u64 v[4:5], v[4:5], 0, s[24:25]
	v_accvgpr_read_b32 v102, a4
	v_accvgpr_write_b32 a87, v5
	s_add_u32 s26, s26, s4
	v_lshl_add_u64 v[102:103], v[102:103], 0, s[4:5]
	v_accvgpr_write_b32 a86, v4
	v_lshl_add_u64 v[122:123], v[122:123], 0, s[24:25]
	v_lshl_add_u64 v[124:125], v[124:125], 0, s[24:25]
	;; [unrolled: 1-line block ×85, first 2 shown]
	s_addc_u32 s27, 0, s27
	v_mov_b32_e32 v106, v168
	v_mov_b32_e32 v107, v169
	s_cbranch_vccnz .LBB84_227
.LBB84_152:                             ; =>This Inner Loop Header: Depth=1
	s_add_u32 s18, s10, s26
	s_addc_u32 s19, 0, s27
	v_mov_b64_e32 v[4:5], s[12:13]
	v_cmp_ge_i64_e32 vcc, s[18:19], v[4:5]
	v_accvgpr_write_b32 a4, v102
	v_accvgpr_write_b32 a5, v103
	v_lshl_add_u64 v[82:83], s[10:11], 0, v[102:103]
	s_mov_b64 s[18:19], -1
                                        ; implicit-def: $vgpr168_vgpr169
	s_cbranch_vccz .LBB84_222
; %bb.153:                              ;   in Loop: Header=BB84_152 Depth=1
	s_load_dword s3, s[6:7], 0xc
	v_accvgpr_read_b32 v3, a1
	v_accvgpr_read_b32 v4, a2
	v_mov_b32_e32 v36, 0
	v_mov_b32_e32 v43, 0
	s_waitcnt lgkmcnt(0)
	s_and_b32 s3, s3, 0xffff
	v_mad_u32_u24 v3, v4, s3, v3
	v_and_b32_e32 v4, 63, v3
	v_cmp_gt_u32_e32 vcc, 32, v4
	v_mov_b32_e32 v42, 0
	s_and_saveexec_b64 s[18:19], vcc
	s_cbranch_execz .LBB84_157
; %bb.154:                              ;   in Loop: Header=BB84_152 Depth=1
	v_mov_b32_e32 v5, v2
	v_lshl_add_u64 v[4:5], v[82:83], 0, v[4:5]
	v_cmp_gt_i64_e32 vcc, s[12:13], v[4:5]
	v_mov_b32_e32 v42, 0
	v_mov_b32_e32 v43, 0
	s_and_saveexec_b64 s[28:29], vcc
	s_cbranch_execz .LBB84_156
; %bb.155:                              ;   in Loop: Header=BB84_152 Depth=1
	v_lshlrev_b64 v[4:5], 2, v[4:5]
	v_lshl_add_u64 v[6:7], s[22:23], 0, v[4:5]
	v_lshl_add_u64 v[4:5], s[20:21], 0, v[4:5]
	global_load_dword v42, v[4:5], off
	global_load_dword v43, v[6:7], off
.LBB84_156:                             ;   in Loop: Header=BB84_152 Depth=1
	s_or_b64 exec, exec, s[28:29]
.LBB84_157:                             ;   in Loop: Header=BB84_152 Depth=1
	s_or_b64 exec, exec, s[18:19]
	v_mov_b32_e32 v4, v2
	v_mov_b32_e32 v5, v2
	;; [unrolled: 1-line block ×31, first 2 shown]
	v_mov_b64_e32 v[34:35], v[32:33]
	v_cmp_gt_i64_e32 vcc, s[12:13], v[82:83]
	v_mov_b64_e32 v[32:33], v[30:31]
	v_mov_b64_e32 v[30:31], v[28:29]
	v_mov_b64_e32 v[28:29], v[26:27]
	v_mov_b64_e32 v[26:27], v[24:25]
	v_mov_b64_e32 v[24:25], v[22:23]
	v_mov_b64_e32 v[22:23], v[20:21]
	v_mov_b64_e32 v[20:21], v[18:19]
	v_mov_b64_e32 v[18:19], v[16:17]
	v_mov_b64_e32 v[16:17], v[14:15]
	v_mov_b64_e32 v[14:15], v[12:13]
	v_mov_b64_e32 v[12:13], v[10:11]
	v_mov_b64_e32 v[10:11], v[8:9]
	v_mov_b64_e32 v[8:9], v[6:7]
	v_mov_b64_e32 v[6:7], v[4:5]
	v_mov_b64_e32 v[4:5], v[2:3]
	s_and_saveexec_b64 s[18:19], vcc
	s_cbranch_execz .LBB84_159
; %bb.158:                              ;   in Loop: Header=BB84_152 Depth=1
	v_accvgpr_read_b32 v4, a6
	v_accvgpr_read_b32 v5, a7
	v_lshl_add_u64 v[4:5], v[4:5], 0, v[38:39]
	global_load_ushort v3, v[4:5], off
	v_accvgpr_read_b32 v4, a8
	v_accvgpr_read_b32 v5, a9
	v_lshl_add_u64 v[4:5], v[4:5], 0, v[38:39]
	global_load_ushort v33, v[4:5], off
	v_mov_b32_e32 v5, v2
	v_mov_b32_e32 v6, v2
	;; [unrolled: 1-line block ×30, first 2 shown]
	s_waitcnt vmcnt(1)
	v_cvt_f32_f16_e32 v4, v3
	s_waitcnt vmcnt(0)
	v_cvt_f32_f16_e32 v36, v33
	v_mov_b32_e32 v33, v2
.LBB84_159:                             ;   in Loop: Header=BB84_152 Depth=1
	s_or_b64 exec, exec, s[18:19]
	v_lshl_add_u64 v[40:41], v[82:83], 0, 1
	v_cmp_gt_i64_e32 vcc, s[12:13], v[40:41]
	v_mov_b32_e32 v168, 0
	v_mov_b32_e32 v41, 0
	s_and_saveexec_b64 s[18:19], vcc
	s_cbranch_execz .LBB84_161
; %bb.160:                              ;   in Loop: Header=BB84_152 Depth=1
	v_lshl_add_u64 v[40:41], v[74:75], 0, v[38:39]
	global_load_ushort v3, v[40:41], off
	v_lshl_add_u64 v[40:41], v[76:77], 0, v[38:39]
	global_load_ushort v37, v[40:41], off
	s_waitcnt vmcnt(1)
	v_cvt_f32_f16_e32 v5, v3
	s_waitcnt vmcnt(0)
	v_cvt_f32_f16_e32 v41, v37
.LBB84_161:                             ;   in Loop: Header=BB84_152 Depth=1
	s_or_b64 exec, exec, s[18:19]
	v_lshl_add_u64 v[84:85], v[82:83], 0, 2
	v_cmp_gt_i64_e32 vcc, s[12:13], v[84:85]
	s_and_saveexec_b64 s[18:19], vcc
	s_cbranch_execz .LBB84_163
; %bb.162:                              ;   in Loop: Header=BB84_152 Depth=1
	v_lshl_add_u64 v[84:85], v[70:71], 0, v[38:39]
	global_load_ushort v3, v[84:85], off
	v_lshl_add_u64 v[84:85], v[72:73], 0, v[38:39]
	global_load_ushort v37, v[84:85], off
	s_waitcnt vmcnt(1)
	v_cvt_f32_f16_e32 v6, v3
	s_waitcnt vmcnt(0)
	v_cvt_f32_f16_e32 v168, v37
.LBB84_163:                             ;   in Loop: Header=BB84_152 Depth=1
	s_or_b64 exec, exec, s[18:19]
	v_lshl_add_u64 v[84:85], v[82:83], 0, 3
	v_cmp_gt_i64_e32 vcc, s[12:13], v[84:85]
	v_mov_b32_e32 v105, 0
	v_mov_b32_e32 v110, 0
	s_and_saveexec_b64 s[18:19], vcc
	s_cbranch_execz .LBB84_165
; %bb.164:                              ;   in Loop: Header=BB84_152 Depth=1
	v_lshl_add_u64 v[84:85], v[66:67], 0, v[38:39]
	global_load_ushort v3, v[84:85], off
	v_lshl_add_u64 v[84:85], v[68:69], 0, v[38:39]
	global_load_ushort v37, v[84:85], off
	s_waitcnt vmcnt(1)
	v_cvt_f32_f16_e32 v7, v3
	s_waitcnt vmcnt(0)
	v_cvt_f32_f16_e32 v110, v37
.LBB84_165:                             ;   in Loop: Header=BB84_152 Depth=1
	s_or_b64 exec, exec, s[18:19]
	v_lshl_add_u64 v[84:85], v[82:83], 0, 4
	v_cmp_gt_i64_e32 vcc, s[12:13], v[84:85]
	s_and_saveexec_b64 s[18:19], vcc
	s_cbranch_execz .LBB84_167
; %bb.166:                              ;   in Loop: Header=BB84_152 Depth=1
	v_lshl_add_u64 v[84:85], v[62:63], 0, v[38:39]
	global_load_ushort v3, v[84:85], off
	v_lshl_add_u64 v[84:85], v[64:65], 0, v[38:39]
	global_load_ushort v37, v[84:85], off
	s_waitcnt vmcnt(1)
	v_cvt_f32_f16_e32 v8, v3
	s_waitcnt vmcnt(0)
	v_cvt_f32_f16_e32 v105, v37
.LBB84_167:                             ;   in Loop: Header=BB84_152 Depth=1
	;; [unrolled: 32-line block ×15, first 2 shown]
	s_or_b64 exec, exec, s[18:19]
	v_lshl_add_u64 v[112:113], v[82:83], 0, 31
	v_cmp_gt_i64_e32 vcc, s[12:13], v[112:113]
	v_mov_b32_e32 v3, 0
	s_and_saveexec_b64 s[18:19], vcc
	s_cbranch_execz .LBB84_221
; %bb.220:                              ;   in Loop: Header=BB84_152 Depth=1
	v_lshl_add_u64 v[112:113], v[80:81], 0, v[38:39]
	global_load_ushort v3, v[112:113], off
	v_lshl_add_u64 v[112:113], v[170:171], 0, v[38:39]
	global_load_ushort v37, v[112:113], off
	s_waitcnt vmcnt(1)
	v_cvt_f32_f16_e32 v35, v3
	s_waitcnt vmcnt(0)
	v_cvt_f32_f16_e32 v3, v37
.LBB84_221:                             ;   in Loop: Header=BB84_152 Depth=1
	s_or_b64 exec, exec, s[18:19]
	s_waitcnt vmcnt(1)
	ds_bpermute_b32 v111, v78, v42
	s_waitcnt vmcnt(0)
	ds_bpermute_b32 v37, v78, v43
	ds_bpermute_b32 v112, v78, v42 offset:12
	v_mov_b32_e32 v116, v11
	v_mov_b32_e32 v114, v10
	s_waitcnt lgkmcnt(2)
	v_sub_f32_e32 v36, v36, v111
	ds_bpermute_b32 v111, v78, v42 offset:4
	v_mul_f32_e32 v36, v4, v36
	s_waitcnt lgkmcnt(2)
	v_mul_f32_e32 v37, v36, v37
	ds_bpermute_b32 v36, v78, v43 offset:4
	s_waitcnt lgkmcnt(2)
	v_sub_f32_e32 v110, v110, v112
	s_waitcnt lgkmcnt(1)
	v_sub_f32_e32 v41, v41, v111
	ds_bpermute_b32 v111, v78, v42 offset:8
	v_mul_f32_e32 v41, v5, v41
	s_waitcnt lgkmcnt(1)
	v_mul_f32_e32 v41, v41, v36
	ds_bpermute_b32 v36, v78, v43 offset:8
	v_mul_f32_e32 v110, v7, v110
	s_waitcnt lgkmcnt(1)
	v_sub_f32_e32 v111, v168, v111
	v_mul_f32_e32 v111, v6, v111
	v_mov_b32_e32 v112, v7
	s_waitcnt lgkmcnt(0)
	v_mul_f32_e32 v111, v111, v36
	ds_bpermute_b32 v36, v78, v43 offset:12
	ds_bpermute_b32 v7, v78, v42 offset:44
	v_mov_b32_e32 v168, v13
	v_mov_b32_e32 v118, v12
	;; [unrolled: 1-line block ×3, first 2 shown]
	s_waitcnt lgkmcnt(1)
	v_mul_f32_e32 v113, v110, v36
	ds_bpermute_b32 v110, v78, v42 offset:16
	ds_bpermute_b32 v36, v78, v43 offset:16
	s_waitcnt lgkmcnt(2)
	v_sub_f32_e32 v7, v102, v7
	v_mul_f32_e32 v7, v15, v7
	s_mov_b64 s[18:19], 0
	s_waitcnt lgkmcnt(1)
	v_sub_f32_e32 v105, v105, v110
	ds_bpermute_b32 v110, v78, v42 offset:20
	v_mul_f32_e32 v105, v8, v105
	s_waitcnt lgkmcnt(1)
	v_mul_f32_e32 v105, v105, v36
	ds_bpermute_b32 v36, v78, v43 offset:20
	s_waitcnt lgkmcnt(1)
	v_sub_f32_e32 v109, v109, v110
	ds_bpermute_b32 v110, v78, v42 offset:24
	v_mul_f32_e32 v109, v9, v109
	s_waitcnt lgkmcnt(1)
	v_mul_f32_e32 v109, v109, v36
	ds_bpermute_b32 v36, v78, v43 offset:24
	s_waitcnt lgkmcnt(1)
	v_sub_f32_e32 v104, v104, v110
	v_mul_f32_e32 v104, v10, v104
	v_mov_b32_e32 v110, v6
	s_waitcnt lgkmcnt(0)
	v_mul_f32_e32 v115, v104, v36
	ds_bpermute_b32 v104, v78, v42 offset:28
	ds_bpermute_b32 v36, v78, v43 offset:28
	;; [unrolled: 1-line block ×3, first 2 shown]
	v_mov_b32_e32 v10, v17
	s_waitcnt lgkmcnt(2)
	v_sub_f32_e32 v104, v108, v104
	v_mul_f32_e32 v104, v11, v104
	s_waitcnt lgkmcnt(1)
	v_mul_f32_e32 v117, v104, v36
	ds_bpermute_b32 v104, v78, v42 offset:32
	s_waitcnt lgkmcnt(1)
	v_mul_f32_e32 v7, v7, v6
	ds_bpermute_b32 v6, v78, v43 offset:48
	ds_bpermute_b32 v36, v78, v43 offset:32
	v_mov_b32_e32 v108, v9
	s_waitcnt lgkmcnt(2)
	v_sub_f32_e32 v103, v103, v104
	v_mov_b32_e32 v104, v8
	ds_bpermute_b32 v8, v78, v42 offset:48
	v_mul_f32_e32 v103, v12, v103
	s_waitcnt lgkmcnt(1)
	v_mul_f32_e32 v119, v103, v36
	ds_bpermute_b32 v103, v78, v42 offset:36
	ds_bpermute_b32 v36, v78, v43 offset:36
	s_waitcnt lgkmcnt(2)
	v_sub_f32_e32 v8, v96, v8
	v_mul_f32_e32 v8, v16, v8
	v_mul_f32_e32 v9, v8, v6
	ds_bpermute_b32 v8, v78, v42 offset:52
	ds_bpermute_b32 v6, v78, v43 offset:52
	s_waitcnt lgkmcnt(3)
	v_sub_f32_e32 v103, v169, v103
	v_mul_f32_e32 v103, v13, v103
	s_waitcnt lgkmcnt(2)
	v_mul_f32_e32 v169, v103, v36
	s_waitcnt lgkmcnt(1)
	v_sub_f32_e32 v8, v101, v8
	v_mul_f32_e32 v8, v17, v8
	s_waitcnt lgkmcnt(0)
	v_mul_f32_e32 v11, v8, v6
	ds_bpermute_b32 v8, v78, v42 offset:56
	ds_bpermute_b32 v6, v78, v43 offset:56
	;; [unrolled: 1-line block ×4, first 2 shown]
	v_mov_b32_e32 v12, v18
	s_waitcnt lgkmcnt(3)
	v_sub_f32_e32 v8, v95, v8
	v_mul_f32_e32 v8, v18, v8
	s_waitcnt lgkmcnt(2)
	v_mul_f32_e32 v13, v8, v6
	ds_bpermute_b32 v8, v78, v42 offset:60
	ds_bpermute_b32 v6, v78, v43 offset:60
	s_waitcnt lgkmcnt(3)
	v_sub_f32_e32 v40, v40, v103
	v_mul_f32_e32 v40, v14, v40
	s_waitcnt lgkmcnt(2)
	v_mul_f32_e32 v121, v40, v36
	v_mov_b32_e32 v36, v4
	s_waitcnt lgkmcnt(1)
	v_sub_f32_e32 v8, v100, v8
	v_pk_add_f32 v[36:37], v[106:107], v[36:37]
	v_mov_b32_e32 v40, v5
	v_mul_f32_e32 v8, v19, v8
	v_pk_add_f32 v[4:5], v[40:41], v[36:37]
	s_waitcnt lgkmcnt(0)
	v_mul_f32_e32 v37, v8, v6
	ds_bpermute_b32 v8, v78, v42 offset:64
	ds_bpermute_b32 v6, v78, v43 offset:64
	v_pk_add_f32 v[4:5], v[110:111], v[4:5]
	v_mov_b32_e32 v36, v19
	v_pk_add_f32 v[4:5], v[112:113], v[4:5]
	s_waitcnt lgkmcnt(1)
	v_sub_f32_e32 v8, v94, v8
	v_mul_f32_e32 v8, v20, v8
	s_waitcnt lgkmcnt(0)
	v_mul_f32_e32 v41, v8, v6
	ds_bpermute_b32 v8, v78, v42 offset:68
	ds_bpermute_b32 v6, v78, v43 offset:68
	v_pk_add_f32 v[4:5], v[104:105], v[4:5]
	v_mov_b32_e32 v94, v21
	v_pk_add_f32 v[4:5], v[108:109], v[4:5]
	s_waitcnt lgkmcnt(1)
	v_sub_f32_e32 v8, v99, v8
	v_mul_f32_e32 v8, v21, v8
	;; [unrolled: 10-line block ×4, first 2 shown]
	s_waitcnt lgkmcnt(0)
	v_mul_f32_e32 v99, v8, v6
	ds_bpermute_b32 v8, v78, v42 offset:80
	ds_bpermute_b32 v6, v78, v43 offset:80
	v_pk_add_f32 v[4:5], v[120:121], v[4:5]
	v_mov_b32_e32 v98, v23
	v_mov_b32_e32 v96, v25
	s_waitcnt lgkmcnt(1)
	v_sub_f32_e32 v8, v92, v8
	v_mul_f32_e32 v8, v24, v8
	s_waitcnt lgkmcnt(0)
	v_mul_f32_e32 v101, v8, v6
	ds_bpermute_b32 v8, v78, v42 offset:84
	ds_bpermute_b32 v6, v78, v43 offset:84
	v_mov_b32_e32 v92, v22
	v_mov_b32_e32 v14, v30
	v_mov_b32_e32 v18, v32
	s_waitcnt lgkmcnt(1)
	v_sub_f32_e32 v8, v97, v8
	v_mul_f32_e32 v8, v25, v8
	s_waitcnt lgkmcnt(0)
	v_mul_f32_e32 v97, v8, v6
	v_mov_b32_e32 v6, v15
	v_pk_add_f32 v[4:5], v[6:7], v[4:5]
	ds_bpermute_b32 v7, v78, v42 offset:88
	ds_bpermute_b32 v6, v78, v43 offset:88
	v_mov_b32_e32 v8, v16
	v_pk_add_f32 v[4:5], v[8:9], v[4:5]
	ds_bpermute_b32 v8, v78, v42 offset:92
	s_waitcnt lgkmcnt(2)
	v_sub_f32_e32 v7, v87, v7
	v_mul_f32_e32 v7, v26, v7
	s_waitcnt lgkmcnt(1)
	v_mul_f32_e32 v7, v7, v6
	ds_bpermute_b32 v6, v78, v43 offset:92
	s_waitcnt lgkmcnt(1)
	v_sub_f32_e32 v8, v91, v8
	v_mul_f32_e32 v8, v27, v8
	v_pk_add_f32 v[4:5], v[10:11], v[4:5]
	v_mov_b32_e32 v10, v28
	s_waitcnt lgkmcnt(0)
	v_mul_f32_e32 v9, v8, v6
	ds_bpermute_b32 v8, v78, v42 offset:96
	ds_bpermute_b32 v6, v78, v43 offset:96
	v_pk_add_f32 v[4:5], v[12:13], v[4:5]
	v_mov_b32_e32 v12, v29
	v_pk_add_f32 v[4:5], v[36:37], v[4:5]
	s_waitcnt lgkmcnt(1)
	v_sub_f32_e32 v8, v86, v8
	v_mul_f32_e32 v8, v28, v8
	s_waitcnt lgkmcnt(0)
	v_mul_f32_e32 v11, v8, v6
	ds_bpermute_b32 v8, v78, v42 offset:100
	ds_bpermute_b32 v6, v78, v43 offset:100
	v_pk_add_f32 v[4:5], v[40:41], v[4:5]
	v_mov_b32_e32 v16, v31
	v_pk_add_f32 v[4:5], v[94:95], v[4:5]
	s_waitcnt lgkmcnt(1)
	v_sub_f32_e32 v8, v90, v8
	v_mul_f32_e32 v8, v29, v8
	;; [unrolled: 10-line block ×4, first 2 shown]
	s_waitcnt lgkmcnt(0)
	v_mul_f32_e32 v17, v8, v6
	ds_bpermute_b32 v8, v78, v42 offset:112
	ds_bpermute_b32 v6, v78, v43 offset:112
	s_waitcnt lgkmcnt(1)
	v_sub_f32_e32 v8, v84, v8
	v_mul_f32_e32 v8, v32, v8
	s_waitcnt lgkmcnt(0)
	v_mul_f32_e32 v19, v8, v6
	ds_bpermute_b32 v8, v78, v42 offset:116
	ds_bpermute_b32 v6, v78, v43 offset:116
	s_waitcnt lgkmcnt(1)
	v_sub_f32_e32 v8, v88, v8
	v_mul_f32_e32 v8, v33, v8
	s_waitcnt lgkmcnt(0)
	v_mul_f32_e32 v21, v8, v6
	ds_bpermute_b32 v8, v78, v42 offset:120
	ds_bpermute_b32 v6, v78, v43 offset:120
	s_waitcnt lgkmcnt(1)
	v_sub_f32_e32 v8, v79, v8
	v_mul_f32_e32 v8, v34, v8
	s_waitcnt lgkmcnt(0)
	v_mul_f32_e32 v23, v8, v6
	v_mov_b32_e32 v6, v26
	v_pk_add_f32 v[4:5], v[6:7], v[4:5]
	v_mov_b32_e32 v8, v27
	v_pk_add_f32 v[4:5], v[8:9], v[4:5]
	ds_bpermute_b32 v7, v78, v42 offset:124
	v_pk_add_f32 v[4:5], v[10:11], v[4:5]
	ds_bpermute_b32 v6, v78, v43 offset:124
	v_pk_add_f32 v[4:5], v[12:13], v[4:5]
	s_waitcnt lgkmcnt(1)
	v_sub_f32_e32 v3, v3, v7
	v_pk_add_f32 v[4:5], v[14:15], v[4:5]
	v_mul_f32_e32 v3, v35, v3
	v_pk_add_f32 v[4:5], v[16:17], v[4:5]
	s_waitcnt lgkmcnt(0)
	v_mul_f32_e32 v7, v3, v6
	v_pk_add_f32 v[4:5], v[18:19], v[4:5]
	v_mov_b32_e32 v6, v35
	v_pk_add_f32 v[4:5], v[20:21], v[4:5]
	s_nop 0
	v_pk_add_f32 v[4:5], v[22:23], v[4:5]
	s_nop 0
	v_pk_add_f32 v[168:169], v[6:7], v[4:5]
.LBB84_222:                             ;   in Loop: Header=BB84_152 Depth=1
	s_and_b64 vcc, exec, s[18:19]
	s_cbranch_vccz .LBB84_151
; %bb.223:                              ;   in Loop: Header=BB84_152 Depth=1
	s_load_dword s3, s[6:7], 0x0
	v_accvgpr_read_b32 v4, a1
	v_accvgpr_read_b32 v5, a2
	v_mov_b32_e32 v17, 0
	s_waitcnt lgkmcnt(0)
	s_cmp_lt_u32 s2, s3
	s_cselect_b32 s3, 12, 18
	s_add_u32 s18, s6, s3
	s_addc_u32 s19, s7, 0
	global_load_ushort v3, v2, s[18:19]
	s_waitcnt vmcnt(0)
	v_mad_u32_u24 v3, v5, v3, v4
	v_and_b32_e32 v4, 63, v3
	v_cmp_gt_u32_e32 vcc, 32, v4
	v_mov_b32_e32 v3, 0
	s_and_saveexec_b64 s[18:19], vcc
	s_cbranch_execz .LBB84_150
; %bb.224:                              ;   in Loop: Header=BB84_152 Depth=1
	v_mov_b32_e32 v5, v2
	v_lshl_add_u64 v[4:5], v[82:83], 0, v[4:5]
	v_cmp_gt_i64_e32 vcc, s[12:13], v[4:5]
	v_mov_b32_e32 v3, 0
	v_mov_b32_e32 v17, 0
	s_and_saveexec_b64 s[28:29], vcc
	s_cbranch_execz .LBB84_149
; %bb.225:                              ;   in Loop: Header=BB84_152 Depth=1
	v_lshlrev_b64 v[4:5], 2, v[4:5]
	v_lshl_add_u64 v[6:7], s[22:23], 0, v[4:5]
	v_lshl_add_u64 v[4:5], s[20:21], 0, v[4:5]
	global_load_dword v3, v[4:5], off
	global_load_dword v17, v[6:7], off
	s_branch .LBB84_149
.LBB84_226:
	v_mov_b32_e32 v168, 0
	v_mov_b32_e32 v169, v168
	s_branch .LBB84_228
.LBB84_227:
	v_accvgpr_read_b32 v0, a0
.LBB84_228:
	s_mov_b32 s3, 0
	s_lshl_b64 s[2:3], s[2:3], 5
	v_and_b32_e32 v1, 0x3ff, v0
	v_or_b32_e32 v8, s2, v1
	v_mov_b32_e32 v9, s3
	v_cmp_gt_i64_e32 vcc, s[14:15], v[8:9]
	s_and_saveexec_b64 s[2:3], vcc
	s_cbranch_execz .LBB84_233
; %bb.229:
	s_load_dword s2, s[0:1], 0x4c
	s_load_dwordx4 s[4:7], s[0:1], 0x30
	v_bfe_u32 v2, v0, 10, 10
	v_mov_b32_e32 v3, 0
	v_mov_b32_e32 v4, s8
	s_waitcnt lgkmcnt(0)
	s_lshr_b32 s0, s2, 16
	v_mad_u64_u32 v[2:3], s[0:1], s0, v4, v[2:3]
	s_cmp_eq_u64 s[4:5], 0
	v_mul_lo_u32 v3, v3, s14
	v_mul_lo_u32 v4, v2, s15
	s_cbranch_scc1 .LBB84_231
; %bb.230:
	v_cvt_f16_f32_e32 v5, v169
	v_mad_u64_u32 v[6:7], s[0:1], v2, s14, 0
	v_add3_u32 v7, v7, v4, v3
	v_lshl_add_u64 v[6:7], v[6:7], 1, s[4:5]
	v_lshl_add_u64 v[6:7], v[8:9], 1, v[6:7]
	global_store_short v[6:7], v5, off
.LBB84_231:
	s_cmp_eq_u64 s[6:7], 0
	s_cbranch_scc1 .LBB84_233
; %bb.232:
	v_cvt_f16_f32_e32 v5, v168
	v_mad_u64_u32 v[6:7], s[0:1], v2, s14, 0
	v_add3_u32 v7, v7, v4, v3
	v_lshl_add_u64 v[2:3], v[6:7], 1, s[6:7]
	v_lshl_add_u64 v[0:1], v[8:9], 1, v[2:3]
	global_store_short v[0:1], v5, off
.LBB84_233:
	s_endpgm
	.section	.rodata,"a",@progbits
	.p2align	6, 0x0
	.amdhsa_kernel _ZN2at6native12_GLOBAL__N_135GammaBetaBackwardCUDAKernelTemplateIN3c104HalfEfLj32ELj1ELj32ELb1ELb0ELb0EEEvllPKT_S7_PKT0_SA_PS5_SB_
		.amdhsa_group_segment_fixed_size 0
		.amdhsa_private_segment_fixed_size 0
		.amdhsa_kernarg_size 320
		.amdhsa_user_sgpr_count 2
		.amdhsa_user_sgpr_dispatch_ptr 0
		.amdhsa_user_sgpr_queue_ptr 0
		.amdhsa_user_sgpr_kernarg_segment_ptr 1
		.amdhsa_user_sgpr_dispatch_id 0
		.amdhsa_user_sgpr_kernarg_preload_length 0
		.amdhsa_user_sgpr_kernarg_preload_offset 0
		.amdhsa_user_sgpr_private_segment_size 0
		.amdhsa_uses_dynamic_stack 0
		.amdhsa_enable_private_segment 0
		.amdhsa_system_sgpr_workgroup_id_x 1
		.amdhsa_system_sgpr_workgroup_id_y 1
		.amdhsa_system_sgpr_workgroup_id_z 0
		.amdhsa_system_sgpr_workgroup_info 0
		.amdhsa_system_vgpr_workitem_id 1
		.amdhsa_next_free_vgpr 344
		.amdhsa_next_free_sgpr 40
		.amdhsa_accum_offset 256
		.amdhsa_reserve_vcc 1
		.amdhsa_float_round_mode_32 0
		.amdhsa_float_round_mode_16_64 0
		.amdhsa_float_denorm_mode_32 3
		.amdhsa_float_denorm_mode_16_64 3
		.amdhsa_dx10_clamp 1
		.amdhsa_ieee_mode 1
		.amdhsa_fp16_overflow 0
		.amdhsa_tg_split 0
		.amdhsa_exception_fp_ieee_invalid_op 0
		.amdhsa_exception_fp_denorm_src 0
		.amdhsa_exception_fp_ieee_div_zero 0
		.amdhsa_exception_fp_ieee_overflow 0
		.amdhsa_exception_fp_ieee_underflow 0
		.amdhsa_exception_fp_ieee_inexact 0
		.amdhsa_exception_int_div_zero 0
	.end_amdhsa_kernel
	.section	.text._ZN2at6native12_GLOBAL__N_135GammaBetaBackwardCUDAKernelTemplateIN3c104HalfEfLj32ELj1ELj32ELb1ELb0ELb0EEEvllPKT_S7_PKT0_SA_PS5_SB_,"axG",@progbits,_ZN2at6native12_GLOBAL__N_135GammaBetaBackwardCUDAKernelTemplateIN3c104HalfEfLj32ELj1ELj32ELb1ELb0ELb0EEEvllPKT_S7_PKT0_SA_PS5_SB_,comdat
.Lfunc_end84:
	.size	_ZN2at6native12_GLOBAL__N_135GammaBetaBackwardCUDAKernelTemplateIN3c104HalfEfLj32ELj1ELj32ELb1ELb0ELb0EEEvllPKT_S7_PKT0_SA_PS5_SB_, .Lfunc_end84-_ZN2at6native12_GLOBAL__N_135GammaBetaBackwardCUDAKernelTemplateIN3c104HalfEfLj32ELj1ELj32ELb1ELb0ELb0EEEvllPKT_S7_PKT0_SA_PS5_SB_
                                        ; -- End function
	.set _ZN2at6native12_GLOBAL__N_135GammaBetaBackwardCUDAKernelTemplateIN3c104HalfEfLj32ELj1ELj32ELb1ELb0ELb0EEEvllPKT_S7_PKT0_SA_PS5_SB_.num_vgpr, 256
	.set _ZN2at6native12_GLOBAL__N_135GammaBetaBackwardCUDAKernelTemplateIN3c104HalfEfLj32ELj1ELj32ELb1ELb0ELb0EEEvllPKT_S7_PKT0_SA_PS5_SB_.num_agpr, 88
	.set _ZN2at6native12_GLOBAL__N_135GammaBetaBackwardCUDAKernelTemplateIN3c104HalfEfLj32ELj1ELj32ELb1ELb0ELb0EEEvllPKT_S7_PKT0_SA_PS5_SB_.numbered_sgpr, 40
	.set _ZN2at6native12_GLOBAL__N_135GammaBetaBackwardCUDAKernelTemplateIN3c104HalfEfLj32ELj1ELj32ELb1ELb0ELb0EEEvllPKT_S7_PKT0_SA_PS5_SB_.num_named_barrier, 0
	.set _ZN2at6native12_GLOBAL__N_135GammaBetaBackwardCUDAKernelTemplateIN3c104HalfEfLj32ELj1ELj32ELb1ELb0ELb0EEEvllPKT_S7_PKT0_SA_PS5_SB_.private_seg_size, 0
	.set _ZN2at6native12_GLOBAL__N_135GammaBetaBackwardCUDAKernelTemplateIN3c104HalfEfLj32ELj1ELj32ELb1ELb0ELb0EEEvllPKT_S7_PKT0_SA_PS5_SB_.uses_vcc, 1
	.set _ZN2at6native12_GLOBAL__N_135GammaBetaBackwardCUDAKernelTemplateIN3c104HalfEfLj32ELj1ELj32ELb1ELb0ELb0EEEvllPKT_S7_PKT0_SA_PS5_SB_.uses_flat_scratch, 0
	.set _ZN2at6native12_GLOBAL__N_135GammaBetaBackwardCUDAKernelTemplateIN3c104HalfEfLj32ELj1ELj32ELb1ELb0ELb0EEEvllPKT_S7_PKT0_SA_PS5_SB_.has_dyn_sized_stack, 0
	.set _ZN2at6native12_GLOBAL__N_135GammaBetaBackwardCUDAKernelTemplateIN3c104HalfEfLj32ELj1ELj32ELb1ELb0ELb0EEEvllPKT_S7_PKT0_SA_PS5_SB_.has_recursion, 0
	.set _ZN2at6native12_GLOBAL__N_135GammaBetaBackwardCUDAKernelTemplateIN3c104HalfEfLj32ELj1ELj32ELb1ELb0ELb0EEEvllPKT_S7_PKT0_SA_PS5_SB_.has_indirect_call, 0
	.section	.AMDGPU.csdata,"",@progbits
; Kernel info:
; codeLenInByte = 26984
; TotalNumSgprs: 46
; NumVgprs: 256
; NumAgprs: 88
; TotalNumVgprs: 344
; ScratchSize: 0
; MemoryBound: 0
; FloatMode: 240
; IeeeMode: 1
; LDSByteSize: 0 bytes/workgroup (compile time only)
; SGPRBlocks: 5
; VGPRBlocks: 42
; NumSGPRsForWavesPerEU: 46
; NumVGPRsForWavesPerEU: 344
; AccumOffset: 256
; Occupancy: 1
; WaveLimiterHint : 0
; COMPUTE_PGM_RSRC2:SCRATCH_EN: 0
; COMPUTE_PGM_RSRC2:USER_SGPR: 2
; COMPUTE_PGM_RSRC2:TRAP_HANDLER: 0
; COMPUTE_PGM_RSRC2:TGID_X_EN: 1
; COMPUTE_PGM_RSRC2:TGID_Y_EN: 1
; COMPUTE_PGM_RSRC2:TGID_Z_EN: 0
; COMPUTE_PGM_RSRC2:TIDIG_COMP_CNT: 1
; COMPUTE_PGM_RSRC3_GFX90A:ACCUM_OFFSET: 63
; COMPUTE_PGM_RSRC3_GFX90A:TG_SPLIT: 0
	.section	.text._ZN2at6native12_GLOBAL__N_135GammaBetaBackwardCUDAKernelTemplateIN3c104HalfEfLj32ELj1ELj8ELb1ELb1ELb0EEEvllPKT_S7_PKT0_SA_PS5_SB_,"axG",@progbits,_ZN2at6native12_GLOBAL__N_135GammaBetaBackwardCUDAKernelTemplateIN3c104HalfEfLj32ELj1ELj8ELb1ELb1ELb0EEEvllPKT_S7_PKT0_SA_PS5_SB_,comdat
	.globl	_ZN2at6native12_GLOBAL__N_135GammaBetaBackwardCUDAKernelTemplateIN3c104HalfEfLj32ELj1ELj8ELb1ELb1ELb0EEEvllPKT_S7_PKT0_SA_PS5_SB_ ; -- Begin function _ZN2at6native12_GLOBAL__N_135GammaBetaBackwardCUDAKernelTemplateIN3c104HalfEfLj32ELj1ELj8ELb1ELb1ELb0EEEvllPKT_S7_PKT0_SA_PS5_SB_
	.p2align	8
	.type	_ZN2at6native12_GLOBAL__N_135GammaBetaBackwardCUDAKernelTemplateIN3c104HalfEfLj32ELj1ELj8ELb1ELb1ELb0EEEvllPKT_S7_PKT0_SA_PS5_SB_,@function
_ZN2at6native12_GLOBAL__N_135GammaBetaBackwardCUDAKernelTemplateIN3c104HalfEfLj32ELj1ELj8ELb1ELb1ELb0EEEvllPKT_S7_PKT0_SA_PS5_SB_: ; @_ZN2at6native12_GLOBAL__N_135GammaBetaBackwardCUDAKernelTemplateIN3c104HalfEfLj32ELj1ELj8ELb1ELb1ELb0EEEvllPKT_S7_PKT0_SA_PS5_SB_
; %bb.0:
	s_load_dwordx4 s[16:19], s[0:1], 0x0
	s_lshl_b32 s6, s3, 3
	s_mov_b32 s7, 0
	v_mov_b64_e32 v[2:3], s[6:7]
	s_mov_b32 s4, s3
	s_waitcnt lgkmcnt(0)
	v_cmp_gt_i64_e32 vcc, s[16:17], v[2:3]
	v_bfe_u32 v1, v0, 10, 10
	s_cbranch_vccnz .LBB85_2
; %bb.1:
	s_add_u32 s24, s0, 64
	s_addc_u32 s25, s1, 0
	s_mov_b64 s[8:9], 0
	v_bfe_u32 v2, v0, 10, 10
	s_branch .LBB85_3
.LBB85_2:
	s_mov_b64 s[8:9], -1
                                        ; implicit-def: $sgpr24_sgpr25
                                        ; implicit-def: $vgpr2
.LBB85_3:
	s_load_dwordx4 s[20:23], s[0:1], 0x30
	v_and_b32_e32 v0, 0x3ff, v0
	s_mov_b32 s27, 0
	s_andn2_b64 vcc, exec, s[8:9]
	v_mov_b32_e32 v6, 0
	s_cbranch_vccnz .LBB85_11
; %bb.4:
	s_load_dword s3, s[0:1], 0x4c
	s_load_dword s5, s[0:1], 0x44
	s_load_dwordx8 s[8:15], s[0:1], 0x10
	s_add_u32 s24, s0, 64
	s_addc_u32 s25, s1, 0
	s_waitcnt lgkmcnt(0)
	s_and_b32 s0, s3, 0xffff
	v_mad_u32_u24 v2, v1, s0, v0
	v_and_b32_e32 v4, 63, v2
	v_lshlrev_b32_e32 v2, 3, v1
	v_mov_b32_e32 v3, 0
	v_mbcnt_lo_u32_b32 v6, -1, 0
	v_mov_b32_e32 v5, v3
	v_mbcnt_hi_u32_b32 v6, -1, v6
	s_lshl_b32 s26, s5, 3
	v_lshl_add_u64 v[10:11], v[2:3], 0, s[6:7]
	v_cmp_gt_u32_e64 s[0:1], 8, v4
	v_lshl_add_u32 v8, s2, 5, v0
	v_mov_b32_e32 v9, v3
	v_lshlrev_b32_e32 v6, 2, v6
	v_lshl_add_u64 v[4:5], v[10:11], 0, v[4:5]
	v_mul_lo_u32 v2, s19, v10
	v_mul_lo_u32 v20, s18, v11
	v_mad_u64_u32 v[10:11], s[30:31], s18, v10, 0
	s_mul_i32 s3, s19, s26
	s_mul_hi_u32 s5, s18, s26
	v_and_b32_e32 v12, 0x100, v6
	v_add3_u32 v11, v11, v20, v2
	v_lshlrev_b64 v[8:9], 1, v[8:9]
	s_add_i32 s31, s5, s3
	s_mul_i32 s30, s18, s26
	v_or_b32_e32 v13, 4, v12
	v_or_b32_e32 v14, 8, v12
	;; [unrolled: 1-line block ×7, first 2 shown]
	v_lshlrev_b64 v[6:7], 2, v[4:5]
	s_lshl_b64 s[28:29], s[26:27], 2
	v_lshl_add_u64 v[8:9], v[10:11], 1, v[8:9]
	s_lshl_b64 s[30:31], s[30:31], 1
	s_lshl_b64 s[34:35], s[18:19], 1
	v_mov_b64_e32 v[10:11], s[16:17]
	v_mov_b32_e32 v2, v3
	s_branch .LBB85_7
.LBB85_5:                               ;   in Loop: Header=BB85_7 Depth=1
	s_or_b64 exec, exec, s[38:39]
.LBB85_6:                               ;   in Loop: Header=BB85_7 Depth=1
	s_or_b64 exec, exec, s[36:37]
	v_lshl_add_u64 v[22:23], s[8:9], 0, v[8:9]
	global_load_ushort v26, v[22:23], off
	v_lshl_add_u64 v[24:25], s[10:11], 0, v[8:9]
	v_lshl_add_u64 v[22:23], v[22:23], 0, s[34:35]
	global_load_ushort v27, v[24:25], off
	global_load_ushort v28, v[22:23], off
	v_lshl_add_u64 v[24:25], v[24:25], 0, s[34:35]
	v_lshl_add_u64 v[22:23], v[22:23], 0, s[34:35]
	global_load_ushort v29, v[24:25], off
	;; [unrolled: 4-line block ×7, first 2 shown]
	global_load_ushort v40, v[22:23], off
	v_lshl_add_u64 v[22:23], v[24:25], 0, s[34:35]
	global_load_ushort v23, v[22:23], off
	s_waitcnt vmcnt(17)
	ds_bpermute_b32 v41, v12, v20
	s_waitcnt vmcnt(16)
	ds_bpermute_b32 v25, v12, v21
	ds_bpermute_b32 v42, v13, v21
	;; [unrolled: 1-line block ×15, first 2 shown]
	s_add_u32 s6, s6, s26
	s_addc_u32 s7, s7, 0
	v_cmp_lt_i64_e32 vcc, s[6:7], v[10:11]
	v_lshl_add_u64 v[6:7], v[6:7], 0, s[28:29]
	v_lshl_add_u64 v[4:5], v[4:5], 0, s[26:27]
	;; [unrolled: 1-line block ×3, first 2 shown]
	s_and_b64 vcc, exec, vcc
	s_waitcnt vmcnt(15)
	v_cvt_f32_f16_e32 v20, v26
	s_waitcnt vmcnt(14)
	v_cvt_f32_f16_e32 v21, v27
	;; [unrolled: 2-line block ×5, first 2 shown]
	s_waitcnt lgkmcnt(14)
	v_sub_f32_e32 v21, v21, v41
	v_mul_f32_e32 v21, v21, v20
	s_waitcnt vmcnt(10)
	v_cvt_f32_f16_e32 v29, v31
	s_waitcnt vmcnt(9)
	v_cvt_f32_f16_e32 v26, v32
	s_waitcnt lgkmcnt(12)
	v_sub_f32_e32 v27, v27, v43
	v_mul_f32_e32 v21, v21, v25
	s_waitcnt vmcnt(8)
	v_cvt_f32_f16_e32 v31, v33
	s_waitcnt vmcnt(7)
	v_cvt_f32_f16_e32 v28, v34
	v_mul_f32_e32 v25, v27, v22
	s_waitcnt lgkmcnt(5)
	v_sub_f32_e32 v27, v29, v45
	s_waitcnt vmcnt(6)
	v_cvt_f32_f16_e32 v33, v35
	s_waitcnt vmcnt(5)
	v_cvt_f32_f16_e32 v30, v36
	v_pk_add_f32 v[2:3], v[2:3], v[20:21]
	s_waitcnt vmcnt(4)
	v_cvt_f32_f16_e32 v35, v37
	s_waitcnt vmcnt(3)
	v_cvt_f32_f16_e32 v32, v38
	s_waitcnt lgkmcnt(3)
	v_sub_f32_e32 v21, v33, v49
	s_waitcnt vmcnt(2)
	v_cvt_f32_f16_e32 v36, v39
	s_waitcnt vmcnt(1)
	v_cvt_f32_f16_e32 v34, v40
	;; [unrolled: 2-line block ×3, first 2 shown]
	v_mul_f32_e32 v23, v25, v42
	v_mul_f32_e32 v25, v27, v24
	v_sub_f32_e32 v27, v31, v47
	v_mul_f32_e32 v25, v25, v44
	v_mul_f32_e32 v20, v27, v26
	v_pk_add_f32 v[2:3], v[2:3], v[22:23]
	v_mul_f32_e32 v27, v20, v46
	v_mul_f32_e32 v20, v21, v28
	s_waitcnt lgkmcnt(2)
	v_sub_f32_e32 v21, v35, v51
	v_pk_add_f32 v[2:3], v[2:3], v[24:25]
	v_mul_f32_e32 v29, v20, v48
	v_mul_f32_e32 v20, v21, v30
	s_waitcnt lgkmcnt(1)
	v_sub_f32_e32 v21, v36, v53
	v_pk_add_f32 v[2:3], v[2:3], v[26:27]
	v_mul_f32_e32 v31, v20, v50
	v_mul_f32_e32 v20, v21, v32
	v_pk_add_f32 v[2:3], v[2:3], v[28:29]
	s_waitcnt lgkmcnt(0)
	v_sub_f32_e32 v21, v37, v55
	v_mul_f32_e32 v33, v20, v52
	v_pk_add_f32 v[2:3], v[2:3], v[30:31]
	v_mul_f32_e32 v20, v21, v34
	v_pk_add_f32 v[2:3], v[2:3], v[32:33]
	;; [unrolled: 2-line block ×3, first 2 shown]
	s_cbranch_vccz .LBB85_10
.LBB85_7:                               ; =>This Inner Loop Header: Depth=1
	v_mov_b32_e32 v21, 0
	v_mov_b32_e32 v20, 0
	s_and_saveexec_b64 s[36:37], s[0:1]
	s_cbranch_execz .LBB85_6
; %bb.8:                                ;   in Loop: Header=BB85_7 Depth=1
	v_cmp_gt_i64_e32 vcc, s[16:17], v[4:5]
	v_mov_b32_e32 v20, 0
	v_mov_b32_e32 v21, 0
	s_and_saveexec_b64 s[38:39], vcc
	s_cbranch_execz .LBB85_5
; %bb.9:                                ;   in Loop: Header=BB85_7 Depth=1
	v_lshl_add_u64 v[24:25], s[12:13], 0, v[6:7]
	v_lshl_add_u64 v[22:23], s[14:15], 0, v[6:7]
	global_load_dword v20, v[24:25], off
	global_load_dword v21, v[22:23], off
	s_branch .LBB85_5
.LBB85_10:
	v_cvt_pk_f16_f32 v6, v2, v3
	v_mov_b32_e32 v2, v1
.LBB85_11:
	s_load_dword s5, s[24:25], 0xc
	s_mov_b32 s3, 0
	v_mov_b32_e32 v1, 0
	s_lshl_b64 s[0:1], s[2:3], 5
	v_lshl_add_u64 v[4:5], s[0:1], 0, v[0:1]
	s_waitcnt lgkmcnt(0)
	s_lshr_b32 s0, s5, 16
	v_mov_b32_e32 v3, v1
	v_mov_b32_e32 v0, s4
	v_mad_u64_u32 v[0:1], s[0:1], s0, v0, v[2:3]
	s_cmp_eq_u64 s[20:21], 0
	v_mul_lo_u32 v1, v1, s18
	v_mul_lo_u32 v2, v0, s19
	s_cbranch_scc1 .LBB85_13
; %bb.12:
	v_mad_u64_u32 v[8:9], s[0:1], v0, s18, 0
	v_add3_u32 v9, v9, v2, v1
	v_lshl_add_u64 v[8:9], v[8:9], 1, s[20:21]
	v_lshl_add_u64 v[8:9], v[4:5], 1, v[8:9]
	global_store_short_d16_hi v[8:9], v6, off
.LBB85_13:
	s_cmp_eq_u64 s[22:23], 0
	s_cbranch_scc1 .LBB85_15
; %bb.14:
	v_mad_u64_u32 v[8:9], s[0:1], v0, s18, 0
	v_add3_u32 v9, v9, v2, v1
	v_lshl_add_u64 v[0:1], v[8:9], 1, s[22:23]
	v_lshl_add_u64 v[0:1], v[4:5], 1, v[0:1]
	global_store_short v[0:1], v6, off
.LBB85_15:
	s_endpgm
	.section	.rodata,"a",@progbits
	.p2align	6, 0x0
	.amdhsa_kernel _ZN2at6native12_GLOBAL__N_135GammaBetaBackwardCUDAKernelTemplateIN3c104HalfEfLj32ELj1ELj8ELb1ELb1ELb0EEEvllPKT_S7_PKT0_SA_PS5_SB_
		.amdhsa_group_segment_fixed_size 0
		.amdhsa_private_segment_fixed_size 0
		.amdhsa_kernarg_size 320
		.amdhsa_user_sgpr_count 2
		.amdhsa_user_sgpr_dispatch_ptr 0
		.amdhsa_user_sgpr_queue_ptr 0
		.amdhsa_user_sgpr_kernarg_segment_ptr 1
		.amdhsa_user_sgpr_dispatch_id 0
		.amdhsa_user_sgpr_kernarg_preload_length 0
		.amdhsa_user_sgpr_kernarg_preload_offset 0
		.amdhsa_user_sgpr_private_segment_size 0
		.amdhsa_uses_dynamic_stack 0
		.amdhsa_enable_private_segment 0
		.amdhsa_system_sgpr_workgroup_id_x 1
		.amdhsa_system_sgpr_workgroup_id_y 1
		.amdhsa_system_sgpr_workgroup_id_z 0
		.amdhsa_system_sgpr_workgroup_info 0
		.amdhsa_system_vgpr_workitem_id 1
		.amdhsa_next_free_vgpr 56
		.amdhsa_next_free_sgpr 40
		.amdhsa_accum_offset 56
		.amdhsa_reserve_vcc 1
		.amdhsa_float_round_mode_32 0
		.amdhsa_float_round_mode_16_64 0
		.amdhsa_float_denorm_mode_32 3
		.amdhsa_float_denorm_mode_16_64 3
		.amdhsa_dx10_clamp 1
		.amdhsa_ieee_mode 1
		.amdhsa_fp16_overflow 0
		.amdhsa_tg_split 0
		.amdhsa_exception_fp_ieee_invalid_op 0
		.amdhsa_exception_fp_denorm_src 0
		.amdhsa_exception_fp_ieee_div_zero 0
		.amdhsa_exception_fp_ieee_overflow 0
		.amdhsa_exception_fp_ieee_underflow 0
		.amdhsa_exception_fp_ieee_inexact 0
		.amdhsa_exception_int_div_zero 0
	.end_amdhsa_kernel
	.section	.text._ZN2at6native12_GLOBAL__N_135GammaBetaBackwardCUDAKernelTemplateIN3c104HalfEfLj32ELj1ELj8ELb1ELb1ELb0EEEvllPKT_S7_PKT0_SA_PS5_SB_,"axG",@progbits,_ZN2at6native12_GLOBAL__N_135GammaBetaBackwardCUDAKernelTemplateIN3c104HalfEfLj32ELj1ELj8ELb1ELb1ELb0EEEvllPKT_S7_PKT0_SA_PS5_SB_,comdat
.Lfunc_end85:
	.size	_ZN2at6native12_GLOBAL__N_135GammaBetaBackwardCUDAKernelTemplateIN3c104HalfEfLj32ELj1ELj8ELb1ELb1ELb0EEEvllPKT_S7_PKT0_SA_PS5_SB_, .Lfunc_end85-_ZN2at6native12_GLOBAL__N_135GammaBetaBackwardCUDAKernelTemplateIN3c104HalfEfLj32ELj1ELj8ELb1ELb1ELb0EEEvllPKT_S7_PKT0_SA_PS5_SB_
                                        ; -- End function
	.set _ZN2at6native12_GLOBAL__N_135GammaBetaBackwardCUDAKernelTemplateIN3c104HalfEfLj32ELj1ELj8ELb1ELb1ELb0EEEvllPKT_S7_PKT0_SA_PS5_SB_.num_vgpr, 56
	.set _ZN2at6native12_GLOBAL__N_135GammaBetaBackwardCUDAKernelTemplateIN3c104HalfEfLj32ELj1ELj8ELb1ELb1ELb0EEEvllPKT_S7_PKT0_SA_PS5_SB_.num_agpr, 0
	.set _ZN2at6native12_GLOBAL__N_135GammaBetaBackwardCUDAKernelTemplateIN3c104HalfEfLj32ELj1ELj8ELb1ELb1ELb0EEEvllPKT_S7_PKT0_SA_PS5_SB_.numbered_sgpr, 40
	.set _ZN2at6native12_GLOBAL__N_135GammaBetaBackwardCUDAKernelTemplateIN3c104HalfEfLj32ELj1ELj8ELb1ELb1ELb0EEEvllPKT_S7_PKT0_SA_PS5_SB_.num_named_barrier, 0
	.set _ZN2at6native12_GLOBAL__N_135GammaBetaBackwardCUDAKernelTemplateIN3c104HalfEfLj32ELj1ELj8ELb1ELb1ELb0EEEvllPKT_S7_PKT0_SA_PS5_SB_.private_seg_size, 0
	.set _ZN2at6native12_GLOBAL__N_135GammaBetaBackwardCUDAKernelTemplateIN3c104HalfEfLj32ELj1ELj8ELb1ELb1ELb0EEEvllPKT_S7_PKT0_SA_PS5_SB_.uses_vcc, 1
	.set _ZN2at6native12_GLOBAL__N_135GammaBetaBackwardCUDAKernelTemplateIN3c104HalfEfLj32ELj1ELj8ELb1ELb1ELb0EEEvllPKT_S7_PKT0_SA_PS5_SB_.uses_flat_scratch, 0
	.set _ZN2at6native12_GLOBAL__N_135GammaBetaBackwardCUDAKernelTemplateIN3c104HalfEfLj32ELj1ELj8ELb1ELb1ELb0EEEvllPKT_S7_PKT0_SA_PS5_SB_.has_dyn_sized_stack, 0
	.set _ZN2at6native12_GLOBAL__N_135GammaBetaBackwardCUDAKernelTemplateIN3c104HalfEfLj32ELj1ELj8ELb1ELb1ELb0EEEvllPKT_S7_PKT0_SA_PS5_SB_.has_recursion, 0
	.set _ZN2at6native12_GLOBAL__N_135GammaBetaBackwardCUDAKernelTemplateIN3c104HalfEfLj32ELj1ELj8ELb1ELb1ELb0EEEvllPKT_S7_PKT0_SA_PS5_SB_.has_indirect_call, 0
	.section	.AMDGPU.csdata,"",@progbits
; Kernel info:
; codeLenInByte = 1376
; TotalNumSgprs: 46
; NumVgprs: 56
; NumAgprs: 0
; TotalNumVgprs: 56
; ScratchSize: 0
; MemoryBound: 0
; FloatMode: 240
; IeeeMode: 1
; LDSByteSize: 0 bytes/workgroup (compile time only)
; SGPRBlocks: 5
; VGPRBlocks: 6
; NumSGPRsForWavesPerEU: 46
; NumVGPRsForWavesPerEU: 56
; AccumOffset: 56
; Occupancy: 8
; WaveLimiterHint : 0
; COMPUTE_PGM_RSRC2:SCRATCH_EN: 0
; COMPUTE_PGM_RSRC2:USER_SGPR: 2
; COMPUTE_PGM_RSRC2:TRAP_HANDLER: 0
; COMPUTE_PGM_RSRC2:TGID_X_EN: 1
; COMPUTE_PGM_RSRC2:TGID_Y_EN: 1
; COMPUTE_PGM_RSRC2:TGID_Z_EN: 0
; COMPUTE_PGM_RSRC2:TIDIG_COMP_CNT: 1
; COMPUTE_PGM_RSRC3_GFX90A:ACCUM_OFFSET: 13
; COMPUTE_PGM_RSRC3_GFX90A:TG_SPLIT: 0
	.section	.text._ZN2at6native12_GLOBAL__N_135GammaBetaBackwardCUDAKernelTemplateIN3c104HalfEfLj32ELj1ELj8ELb1ELb0ELb0EEEvllPKT_S7_PKT0_SA_PS5_SB_,"axG",@progbits,_ZN2at6native12_GLOBAL__N_135GammaBetaBackwardCUDAKernelTemplateIN3c104HalfEfLj32ELj1ELj8ELb1ELb0ELb0EEEvllPKT_S7_PKT0_SA_PS5_SB_,comdat
	.globl	_ZN2at6native12_GLOBAL__N_135GammaBetaBackwardCUDAKernelTemplateIN3c104HalfEfLj32ELj1ELj8ELb1ELb0ELb0EEEvllPKT_S7_PKT0_SA_PS5_SB_ ; -- Begin function _ZN2at6native12_GLOBAL__N_135GammaBetaBackwardCUDAKernelTemplateIN3c104HalfEfLj32ELj1ELj8ELb1ELb0ELb0EEEvllPKT_S7_PKT0_SA_PS5_SB_
	.p2align	8
	.type	_ZN2at6native12_GLOBAL__N_135GammaBetaBackwardCUDAKernelTemplateIN3c104HalfEfLj32ELj1ELj8ELb1ELb0ELb0EEEvllPKT_S7_PKT0_SA_PS5_SB_,@function
_ZN2at6native12_GLOBAL__N_135GammaBetaBackwardCUDAKernelTemplateIN3c104HalfEfLj32ELj1ELj8ELb1ELb0ELb0EEEvllPKT_S7_PKT0_SA_PS5_SB_: ; @_ZN2at6native12_GLOBAL__N_135GammaBetaBackwardCUDAKernelTemplateIN3c104HalfEfLj32ELj1ELj8ELb1ELb0ELb0EEEvllPKT_S7_PKT0_SA_PS5_SB_
; %bb.0:
	s_load_dwordx8 s[12:19], s[0:1], 0x0
	s_load_dwordx4 s[20:23], s[0:1], 0x20
	s_mov_b32 s8, s3
	s_lshl_b32 s3, s2, 5
	s_mov_b32 s11, 0
	s_lshl_b32 s10, s8, 3
	s_or_b32 s4, s3, 31
	v_mov_b64_e32 v[2:3], s[10:11]
	v_mov_b32_e32 v20, s4
	v_mov_b32_e32 v21, 0
	s_waitcnt lgkmcnt(0)
	v_cmp_gt_i64_e64 s[4:5], s[12:13], v[2:3]
	v_cmp_le_i64_e32 vcc, s[14:15], v[20:21]
	s_nop 0
	v_cndmask_b32_e64 v1, 0, 1, s[4:5]
	v_cmp_ne_u32_e64 s[4:5], 1, v1
	s_cbranch_vccz .LBB86_48
; %bb.1:
	s_and_b64 vcc, exec, s[4:5]
	v_mov_b32_e32 v20, 0
	s_cbranch_vccnz .LBB86_49
; %bb.2:
	v_and_b32_e32 v1, 0x3ff, v0
	v_mov_b32_e32 v2, 0
	v_bfe_u32 v62, v0, 10, 10
	v_add_u32_e32 v4, s3, v1
	v_mov_b32_e32 v5, v2
	v_lshlrev_b32_e32 v22, 3, v62
	v_mov_b32_e32 v23, v2
	v_cmp_gt_i64_e64 s[6:7], s[14:15], v[4:5]
	v_lshlrev_b64 v[24:25], 1, v[4:5]
	v_lshl_add_u64 v[4:5], v[22:23], 0, s[10:11]
	v_mul_lo_u32 v3, s15, v4
	v_mul_lo_u32 v8, s14, v5
	v_mad_u64_u32 v[6:7], s[28:29], s14, v4, 0
	v_add3_u32 v7, v7, v8, v3
	v_lshlrev_b64 v[6:7], 1, v[6:7]
	v_lshl_add_u64 v[26:27], s[16:17], 0, v[6:7]
	v_lshl_add_u64 v[28:29], s[18:19], 0, v[6:7]
	v_lshl_add_u64 v[6:7], v[4:5], 0, 7
	v_mul_lo_u32 v9, s15, v6
	v_mul_lo_u32 v10, s14, v7
	v_mad_u64_u32 v[6:7], s[34:35], s14, v6, 0
	v_add3_u32 v7, v7, v10, v9
	v_lshlrev_b64 v[6:7], 1, v[6:7]
	v_lshl_add_u64 v[30:31], s[16:17], 0, v[6:7]
	v_lshl_add_u64 v[32:33], s[18:19], 0, v[6:7]
	;; [unrolled: 8-line block ×6, first 2 shown]
	v_lshl_add_u64 v[6:7], v[4:5], 0, 2
	s_load_dword s9, s[0:1], 0x44
	v_mul_lo_u32 v5, s15, v6
	v_mul_lo_u32 v9, s14, v7
	v_mad_u64_u32 v[6:7], s[34:35], s14, v6, 0
	v_add3_u32 v7, v7, v9, v5
	v_lshlrev_b64 v[6:7], 1, v[6:7]
	v_lshl_add_u64 v[50:51], s[16:17], 0, v[6:7]
	v_lshl_add_u64 v[52:53], s[18:19], 0, v[6:7]
	v_mov_b64_e32 v[6:7], s[14:15]
	s_add_u32 s26, s0, 64
	v_mad_u64_u32 v[4:5], s[34:35], s14, v4, v[6:7]
	s_addc_u32 s27, s1, 0
	s_waitcnt lgkmcnt(0)
	s_lshl_b32 s24, s9, 3
	v_add3_u32 v5, v3, v5, v8
	v_mbcnt_lo_u32_b32 v3, -1, 0
	s_mul_i32 s9, s15, s24
	s_mul_hi_u32 s28, s14, s24
	v_mbcnt_hi_u32_b32 v3, -1, v3
	s_add_i32 s29, s28, s9
	s_mul_i32 s28, s14, s24
	v_lshlrev_b64 v[4:5], 1, v[4:5]
	v_lshlrev_b32_e32 v3, 2, v3
	s_mov_b32 s25, 0
	s_lshl_b64 s[28:29], s[28:29], 1
	s_mov_b64 s[30:31], 7
	v_lshl_add_u64 v[54:55], s[16:17], 0, v[4:5]
	v_lshl_add_u64 v[56:57], s[18:19], 0, v[4:5]
	v_and_b32_e32 v63, 0x100, v3
	s_mov_b64 s[34:35], s[10:11]
	v_mov_b32_e32 v20, 0
	v_mov_b32_e32 v21, v2
	s_branch .LBB86_5
.LBB86_3:                               ;   in Loop: Header=BB86_5 Depth=1
	s_or_b64 exec, exec, s[36:37]
	s_waitcnt vmcnt(1)
	ds_bpermute_b32 v3, v63, v61
	ds_bpermute_b32 v58, v63, v61 offset:4
	s_waitcnt vmcnt(0)
	ds_bpermute_b32 v59, v63, v60
	ds_bpermute_b32 v64, v63, v60 offset:4
	v_mov_b32_e32 v66, v8
	s_waitcnt lgkmcnt(3)
	v_sub_f32_e32 v3, v12, v3
	v_mul_f32_e32 v3, v4, v3
	s_waitcnt lgkmcnt(2)
	v_sub_f32_e32 v12, v13, v58
	s_waitcnt lgkmcnt(1)
	v_mul_f32_e32 v13, v3, v59
	ds_bpermute_b32 v3, v63, v61 offset:8
	v_mul_f32_e32 v12, v5, v12
	s_waitcnt lgkmcnt(1)
	v_mul_f32_e32 v59, v12, v64
	ds_bpermute_b32 v12, v63, v60 offset:8
	ds_bpermute_b32 v58, v63, v61 offset:12
	s_waitcnt lgkmcnt(2)
	v_sub_f32_e32 v3, v14, v3
	ds_bpermute_b32 v14, v63, v60 offset:12
	v_mul_f32_e32 v3, v6, v3
	s_waitcnt lgkmcnt(2)
	v_mul_f32_e32 v65, v3, v12
	s_waitcnt lgkmcnt(1)
	v_sub_f32_e32 v3, v15, v58
	ds_bpermute_b32 v12, v63, v61 offset:16
	v_mul_f32_e32 v3, v7, v3
	s_waitcnt lgkmcnt(1)
	v_mul_f32_e32 v15, v3, v14
	ds_bpermute_b32 v3, v63, v60 offset:16
	ds_bpermute_b32 v14, v63, v61 offset:20
	s_waitcnt lgkmcnt(2)
	v_sub_f32_e32 v12, v16, v12
	ds_bpermute_b32 v16, v63, v60 offset:20
	v_mul_f32_e32 v12, v8, v12
	s_waitcnt lgkmcnt(2)
	v_mul_f32_e32 v67, v12, v3
	v_mov_b32_e32 v12, v4
	s_waitcnt lgkmcnt(1)
	v_sub_f32_e32 v3, v17, v14
	v_pk_add_f32 v[12:13], v[20:21], v[12:13]
	v_mov_b32_e32 v58, v5
	v_mul_f32_e32 v3, v9, v3
	v_pk_add_f32 v[4:5], v[58:59], v[12:13]
	v_mov_b32_e32 v64, v6
	s_waitcnt lgkmcnt(0)
	v_mul_f32_e32 v17, v3, v16
	v_pk_add_f32 v[4:5], v[64:65], v[4:5]
	v_mov_b32_e32 v14, v7
	ds_bpermute_b32 v3, v63, v61 offset:24
	v_pk_add_f32 v[4:5], v[14:15], v[4:5]
	v_mov_b32_e32 v16, v9
	v_pk_add_f32 v[4:5], v[66:67], v[4:5]
	s_waitcnt lgkmcnt(0)
	v_sub_f32_e32 v8, v18, v3
	v_pk_add_f32 v[6:7], v[16:17], v[4:5]
	ds_bpermute_b32 v5, v63, v60 offset:24
	ds_bpermute_b32 v3, v63, v60 offset:28
	;; [unrolled: 1-line block ×3, first 2 shown]
	v_mul_f32_e32 v8, v10, v8
	s_waitcnt lgkmcnt(2)
	v_mul_f32_e32 v9, v8, v5
	v_mov_b32_e32 v8, v10
	v_pk_add_f32 v[60:61], v[8:9], v[6:7]
.LBB86_4:                               ;   in Loop: Header=BB86_5 Depth=1
	s_waitcnt lgkmcnt(0)
	v_sub_f32_e32 v4, v19, v4
	v_mul_f32_e32 v4, v11, v4
	v_mul_f32_e32 v5, v4, v3
	v_mov_b32_e32 v4, v11
	s_add_u32 s34, s34, s24
	v_pk_add_f32 v[20:21], v[60:61], v[4:5]
	s_addc_u32 s35, s35, 0
	v_mov_b64_e32 v[4:5], s[12:13]
	s_add_u32 s30, s30, s24
	v_cmp_lt_i64_e32 vcc, s[34:35], v[4:5]
	v_lshl_add_u64 v[26:27], v[26:27], 0, s[28:29]
	v_lshl_add_u64 v[28:29], v[28:29], 0, s[28:29]
	;; [unrolled: 1-line block ×17, first 2 shown]
	s_addc_u32 s31, 0, s31
	s_cbranch_vccz .LBB86_49
.LBB86_5:                               ; =>This Inner Loop Header: Depth=1
	s_add_u32 s36, s10, s30
	s_addc_u32 s37, 0, s31
	v_mov_b64_e32 v[4:5], s[12:13]
	v_cmp_ge_i64_e32 vcc, s[36:37], v[4:5]
	v_lshl_add_u64 v[58:59], s[10:11], 0, v[22:23]
	s_mov_b64 s[36:37], -1
	s_and_b64 vcc, exec, vcc
                                        ; implicit-def: $vgpr4_vgpr5_vgpr6_vgpr7_vgpr8_vgpr9_vgpr10_vgpr11
                                        ; implicit-def: $vgpr60_vgpr61
                                        ; implicit-def: $vgpr3
                                        ; implicit-def: $vgpr12_vgpr13_vgpr14_vgpr15_vgpr16_vgpr17_vgpr18_vgpr19
                                        ; implicit-def: $vgpr4
	s_cbranch_vccz .LBB86_27
; %bb.6:                                ;   in Loop: Header=BB86_5 Depth=1
	s_load_dword s9, s[26:27], 0xc
	v_mov_b32_e32 v60, 0
	v_mov_b32_e32 v61, 0
	s_waitcnt lgkmcnt(0)
	s_and_b32 s9, s9, 0xffff
	v_mad_u32_u24 v3, v62, s9, v1
	v_and_b32_e32 v4, 63, v3
	v_cmp_gt_u32_e32 vcc, 8, v4
	s_and_saveexec_b64 s[36:37], vcc
	s_cbranch_execz .LBB86_10
; %bb.7:                                ;   in Loop: Header=BB86_5 Depth=1
	v_mov_b32_e32 v5, v2
	v_lshl_add_u64 v[4:5], v[58:59], 0, v[4:5]
	v_cmp_gt_i64_e32 vcc, s[12:13], v[4:5]
	v_mov_b32_e32 v61, 0
	v_mov_b32_e32 v60, 0
	s_and_saveexec_b64 s[38:39], vcc
	s_cbranch_execz .LBB86_9
; %bb.8:                                ;   in Loop: Header=BB86_5 Depth=1
	v_lshlrev_b64 v[4:5], 2, v[4:5]
	v_lshl_add_u64 v[6:7], s[22:23], 0, v[4:5]
	v_lshl_add_u64 v[4:5], s[20:21], 0, v[4:5]
	global_load_dword v61, v[4:5], off
	global_load_dword v60, v[6:7], off
.LBB86_9:                               ;   in Loop: Header=BB86_5 Depth=1
	s_or_b64 exec, exec, s[38:39]
.LBB86_10:                              ;   in Loop: Header=BB86_5 Depth=1
	s_or_b64 exec, exec, s[36:37]
	v_mov_b32_e32 v8, v2
	v_mov_b32_e32 v9, v2
	;; [unrolled: 1-line block ×7, first 2 shown]
	v_mov_b64_e32 v[18:19], v[8:9]
	v_cmp_gt_i64_e32 vcc, s[12:13], v[58:59]
	v_mov_b64_e32 v[16:17], v[6:7]
	v_mov_b64_e32 v[14:15], v[4:5]
	v_mov_b64_e32 v[12:13], v[2:3]
	v_mov_b64_e32 v[10:11], v[8:9]
	s_and_b64 s[38:39], s[6:7], vcc
	v_mov_b64_e32 v[8:9], v[6:7]
	v_mov_b64_e32 v[6:7], v[4:5]
	;; [unrolled: 1-line block ×3, first 2 shown]
	s_and_saveexec_b64 s[36:37], s[38:39]
	s_cbranch_execz .LBB86_12
; %bb.11:                               ;   in Loop: Header=BB86_5 Depth=1
	v_lshl_add_u64 v[4:5], v[26:27], 0, v[24:25]
	global_load_ushort v3, v[4:5], off
	v_lshl_add_u64 v[4:5], v[28:29], 0, v[24:25]
	global_load_ushort v12, v[4:5], off
	v_mov_b32_e32 v5, v2
	v_mov_b32_e32 v6, v2
	v_mov_b32_e32 v7, v2
	v_mov_b32_e32 v8, v2
	v_mov_b32_e32 v9, v2
	v_mov_b32_e32 v10, v2
	v_mov_b32_e32 v11, v2
	v_mov_b32_e32 v13, v2
	v_mov_b32_e32 v14, v2
	v_mov_b32_e32 v15, v2
	v_mov_b32_e32 v16, v2
	v_mov_b32_e32 v17, v2
	v_mov_b32_e32 v18, v2
	v_mov_b32_e32 v19, v2
	s_waitcnt vmcnt(1)
	v_cvt_f32_f16_e32 v4, v3
	s_waitcnt vmcnt(0)
	v_cvt_f32_f16_e32 v12, v12
.LBB86_12:                              ;   in Loop: Header=BB86_5 Depth=1
	s_or_b64 exec, exec, s[36:37]
	v_lshl_add_u64 v[64:65], v[58:59], 0, 1
	v_cmp_gt_i64_e32 vcc, s[12:13], v[64:65]
	s_and_b64 s[38:39], s[6:7], vcc
	s_and_saveexec_b64 s[36:37], s[38:39]
	s_cbranch_execz .LBB86_14
; %bb.13:                               ;   in Loop: Header=BB86_5 Depth=1
	v_lshl_add_u64 v[64:65], v[54:55], 0, v[24:25]
	global_load_ushort v3, v[64:65], off
	v_lshl_add_u64 v[64:65], v[56:57], 0, v[24:25]
	global_load_ushort v13, v[64:65], off
	s_waitcnt vmcnt(1)
	v_cvt_f32_f16_e32 v5, v3
	s_waitcnt vmcnt(0)
	v_cvt_f32_f16_e32 v13, v13
.LBB86_14:                              ;   in Loop: Header=BB86_5 Depth=1
	s_or_b64 exec, exec, s[36:37]
	v_lshl_add_u64 v[64:65], v[58:59], 0, 2
	v_cmp_gt_i64_e32 vcc, s[12:13], v[64:65]
	s_and_b64 s[38:39], s[6:7], vcc
	s_and_saveexec_b64 s[36:37], s[38:39]
	s_cbranch_execz .LBB86_16
; %bb.15:                               ;   in Loop: Header=BB86_5 Depth=1
	v_lshl_add_u64 v[64:65], v[50:51], 0, v[24:25]
	global_load_ushort v3, v[64:65], off
	v_lshl_add_u64 v[64:65], v[52:53], 0, v[24:25]
	global_load_ushort v14, v[64:65], off
	s_waitcnt vmcnt(1)
	v_cvt_f32_f16_e32 v6, v3
	s_waitcnt vmcnt(0)
	v_cvt_f32_f16_e32 v14, v14
.LBB86_16:                              ;   in Loop: Header=BB86_5 Depth=1
	;; [unrolled: 16-line block ×7, first 2 shown]
	s_or_b64 exec, exec, s[36:37]
	s_waitcnt vmcnt(1)
	ds_bpermute_b32 v3, v63, v61
	ds_bpermute_b32 v64, v63, v61 offset:4
	s_waitcnt vmcnt(0)
	ds_bpermute_b32 v65, v63, v60
	ds_bpermute_b32 v66, v63, v60 offset:4
	v_mov_b32_e32 v68, v8
	s_waitcnt lgkmcnt(3)
	v_sub_f32_e32 v3, v12, v3
	v_mul_f32_e32 v3, v4, v3
	s_waitcnt lgkmcnt(2)
	v_sub_f32_e32 v12, v13, v64
	s_waitcnt lgkmcnt(1)
	v_mul_f32_e32 v13, v3, v65
	ds_bpermute_b32 v3, v63, v61 offset:8
	v_mul_f32_e32 v12, v5, v12
	s_waitcnt lgkmcnt(1)
	v_mul_f32_e32 v65, v12, v66
	ds_bpermute_b32 v12, v63, v60 offset:8
	ds_bpermute_b32 v64, v63, v61 offset:12
	s_waitcnt lgkmcnt(2)
	v_sub_f32_e32 v3, v14, v3
	ds_bpermute_b32 v14, v63, v60 offset:12
	v_mul_f32_e32 v3, v6, v3
	s_waitcnt lgkmcnt(2)
	v_mul_f32_e32 v67, v3, v12
	ds_bpermute_b32 v12, v63, v61 offset:16
	s_waitcnt lgkmcnt(2)
	v_sub_f32_e32 v3, v15, v64
	v_mul_f32_e32 v3, v7, v3
	s_waitcnt lgkmcnt(1)
	v_mul_f32_e32 v15, v3, v14
	ds_bpermute_b32 v3, v63, v60 offset:16
	ds_bpermute_b32 v14, v63, v61 offset:20
	s_waitcnt lgkmcnt(2)
	v_sub_f32_e32 v12, v16, v12
	ds_bpermute_b32 v16, v63, v60 offset:20
	v_mul_f32_e32 v12, v8, v12
	s_waitcnt lgkmcnt(2)
	v_mul_f32_e32 v69, v12, v3
	s_waitcnt lgkmcnt(1)
	v_sub_f32_e32 v3, v17, v14
	v_mov_b32_e32 v12, v4
	v_mul_f32_e32 v3, v9, v3
	v_pk_add_f32 v[12:13], v[20:21], v[12:13]
	v_mov_b32_e32 v64, v5
	s_waitcnt lgkmcnt(0)
	v_mul_f32_e32 v17, v3, v16
	v_pk_add_f32 v[4:5], v[64:65], v[12:13]
	v_mov_b32_e32 v66, v6
	ds_bpermute_b32 v3, v63, v61 offset:24
	v_pk_add_f32 v[4:5], v[66:67], v[4:5]
	v_mov_b32_e32 v14, v7
	v_pk_add_f32 v[4:5], v[14:15], v[4:5]
	v_mov_b32_e32 v16, v9
	v_pk_add_f32 v[4:5], v[68:69], v[4:5]
	s_waitcnt lgkmcnt(0)
	v_sub_f32_e32 v3, v18, v3
	v_pk_add_f32 v[6:7], v[16:17], v[4:5]
	ds_bpermute_b32 v5, v63, v60 offset:24
	v_mul_f32_e32 v8, v10, v3
	ds_bpermute_b32 v3, v63, v60 offset:28
	ds_bpermute_b32 v4, v63, v61 offset:28
	s_mov_b64 s[36:37], 0
	s_waitcnt lgkmcnt(2)
	v_mul_f32_e32 v9, v8, v5
	v_mov_b32_e32 v8, v10
	v_pk_add_f32 v[60:61], v[8:9], v[6:7]
.LBB86_27:                              ;   in Loop: Header=BB86_5 Depth=1
	s_and_b64 vcc, exec, s[36:37]
	s_cbranch_vccz .LBB86_4
; %bb.28:                               ;   in Loop: Header=BB86_5 Depth=1
	s_load_dword s9, s[26:27], 0x0
	v_mov_b32_e32 v60, 0
	v_mov_b32_e32 v61, 0
	s_waitcnt lgkmcnt(0)
	s_cmp_lt_u32 s2, s9
	s_cselect_b32 s9, 12, 18
	s_add_u32 s36, s26, s9
	s_addc_u32 s37, s27, 0
	global_load_ushort v3, v2, s[36:37]
	s_waitcnt vmcnt(0)
	v_mad_u32_u24 v3, v62, v3, v1
	v_and_b32_e32 v4, 63, v3
	v_cmp_gt_u32_e32 vcc, 8, v4
	s_and_saveexec_b64 s[36:37], vcc
	s_cbranch_execz .LBB86_32
; %bb.29:                               ;   in Loop: Header=BB86_5 Depth=1
	v_mov_b32_e32 v5, v2
	v_lshl_add_u64 v[4:5], v[58:59], 0, v[4:5]
	v_cmp_gt_i64_e32 vcc, s[12:13], v[4:5]
	v_mov_b32_e32 v61, 0
	v_mov_b32_e32 v60, 0
	s_and_saveexec_b64 s[38:39], vcc
	s_cbranch_execz .LBB86_31
; %bb.30:                               ;   in Loop: Header=BB86_5 Depth=1
	v_lshlrev_b64 v[4:5], 2, v[4:5]
	v_lshl_add_u64 v[6:7], s[22:23], 0, v[4:5]
	v_lshl_add_u64 v[4:5], s[20:21], 0, v[4:5]
	global_load_dword v61, v[4:5], off
	global_load_dword v60, v[6:7], off
.LBB86_31:                              ;   in Loop: Header=BB86_5 Depth=1
	s_or_b64 exec, exec, s[38:39]
.LBB86_32:                              ;   in Loop: Header=BB86_5 Depth=1
	s_or_b64 exec, exec, s[36:37]
	v_mov_b32_e32 v8, v2
	v_mov_b32_e32 v9, v2
	;; [unrolled: 1-line block ×7, first 2 shown]
	v_mov_b64_e32 v[18:19], v[8:9]
	v_mov_b64_e32 v[16:17], v[6:7]
	;; [unrolled: 1-line block ×8, first 2 shown]
	s_and_saveexec_b64 s[36:37], s[6:7]
	s_cbranch_execnz .LBB86_40
; %bb.33:                               ;   in Loop: Header=BB86_5 Depth=1
	s_or_b64 exec, exec, s[36:37]
	s_and_saveexec_b64 s[36:37], s[6:7]
	s_cbranch_execnz .LBB86_41
.LBB86_34:                              ;   in Loop: Header=BB86_5 Depth=1
	s_or_b64 exec, exec, s[36:37]
	s_and_saveexec_b64 s[36:37], s[6:7]
	s_cbranch_execnz .LBB86_42
.LBB86_35:                              ;   in Loop: Header=BB86_5 Depth=1
	s_or_b64 exec, exec, s[36:37]
	s_and_saveexec_b64 s[36:37], s[6:7]
	s_cbranch_execnz .LBB86_43
.LBB86_36:                              ;   in Loop: Header=BB86_5 Depth=1
	s_or_b64 exec, exec, s[36:37]
	s_and_saveexec_b64 s[36:37], s[6:7]
	s_cbranch_execnz .LBB86_44
.LBB86_37:                              ;   in Loop: Header=BB86_5 Depth=1
	s_or_b64 exec, exec, s[36:37]
	s_and_saveexec_b64 s[36:37], s[6:7]
	s_cbranch_execnz .LBB86_45
.LBB86_38:                              ;   in Loop: Header=BB86_5 Depth=1
	s_or_b64 exec, exec, s[36:37]
	s_and_saveexec_b64 s[36:37], s[6:7]
	s_cbranch_execnz .LBB86_46
.LBB86_39:                              ;   in Loop: Header=BB86_5 Depth=1
	s_or_b64 exec, exec, s[36:37]
	s_and_saveexec_b64 s[36:37], s[6:7]
	s_cbranch_execz .LBB86_3
	s_branch .LBB86_47
.LBB86_40:                              ;   in Loop: Header=BB86_5 Depth=1
	v_lshl_add_u64 v[4:5], v[26:27], 0, v[24:25]
	global_load_ushort v3, v[4:5], off
	v_lshl_add_u64 v[4:5], v[28:29], 0, v[24:25]
	global_load_ushort v12, v[4:5], off
	v_mov_b32_e32 v5, v2
	v_mov_b32_e32 v6, v2
	;; [unrolled: 1-line block ×14, first 2 shown]
	s_waitcnt vmcnt(1)
	v_cvt_f32_f16_e32 v4, v3
	s_waitcnt vmcnt(0)
	v_cvt_f32_f16_e32 v12, v12
	s_or_b64 exec, exec, s[36:37]
	s_and_saveexec_b64 s[36:37], s[6:7]
	s_cbranch_execz .LBB86_34
.LBB86_41:                              ;   in Loop: Header=BB86_5 Depth=1
	v_lshl_add_u64 v[58:59], v[54:55], 0, v[24:25]
	global_load_ushort v3, v[58:59], off
	v_lshl_add_u64 v[58:59], v[56:57], 0, v[24:25]
	global_load_ushort v13, v[58:59], off
	s_waitcnt vmcnt(1)
	v_cvt_f32_f16_e32 v5, v3
	s_waitcnt vmcnt(0)
	v_cvt_f32_f16_e32 v13, v13
	s_or_b64 exec, exec, s[36:37]
	s_and_saveexec_b64 s[36:37], s[6:7]
	s_cbranch_execz .LBB86_35
.LBB86_42:                              ;   in Loop: Header=BB86_5 Depth=1
	v_lshl_add_u64 v[58:59], v[50:51], 0, v[24:25]
	global_load_ushort v3, v[58:59], off
	v_lshl_add_u64 v[58:59], v[52:53], 0, v[24:25]
	global_load_ushort v14, v[58:59], off
	s_waitcnt vmcnt(1)
	v_cvt_f32_f16_e32 v6, v3
	s_waitcnt vmcnt(0)
	v_cvt_f32_f16_e32 v14, v14
	s_or_b64 exec, exec, s[36:37]
	s_and_saveexec_b64 s[36:37], s[6:7]
	s_cbranch_execz .LBB86_36
.LBB86_43:                              ;   in Loop: Header=BB86_5 Depth=1
	v_lshl_add_u64 v[58:59], v[46:47], 0, v[24:25]
	global_load_ushort v3, v[58:59], off
	v_lshl_add_u64 v[58:59], v[48:49], 0, v[24:25]
	global_load_ushort v15, v[58:59], off
	s_waitcnt vmcnt(1)
	v_cvt_f32_f16_e32 v7, v3
	s_waitcnt vmcnt(0)
	v_cvt_f32_f16_e32 v15, v15
	s_or_b64 exec, exec, s[36:37]
	s_and_saveexec_b64 s[36:37], s[6:7]
	s_cbranch_execz .LBB86_37
.LBB86_44:                              ;   in Loop: Header=BB86_5 Depth=1
	v_lshl_add_u64 v[58:59], v[42:43], 0, v[24:25]
	global_load_ushort v3, v[58:59], off
	v_lshl_add_u64 v[58:59], v[44:45], 0, v[24:25]
	global_load_ushort v16, v[58:59], off
	s_waitcnt vmcnt(1)
	v_cvt_f32_f16_e32 v8, v3
	s_waitcnt vmcnt(0)
	v_cvt_f32_f16_e32 v16, v16
	s_or_b64 exec, exec, s[36:37]
	s_and_saveexec_b64 s[36:37], s[6:7]
	s_cbranch_execz .LBB86_38
.LBB86_45:                              ;   in Loop: Header=BB86_5 Depth=1
	v_lshl_add_u64 v[58:59], v[38:39], 0, v[24:25]
	global_load_ushort v3, v[58:59], off
	v_lshl_add_u64 v[58:59], v[40:41], 0, v[24:25]
	global_load_ushort v17, v[58:59], off
	s_waitcnt vmcnt(1)
	v_cvt_f32_f16_e32 v9, v3
	s_waitcnt vmcnt(0)
	v_cvt_f32_f16_e32 v17, v17
	s_or_b64 exec, exec, s[36:37]
	s_and_saveexec_b64 s[36:37], s[6:7]
	s_cbranch_execz .LBB86_39
.LBB86_46:                              ;   in Loop: Header=BB86_5 Depth=1
	v_lshl_add_u64 v[58:59], v[34:35], 0, v[24:25]
	global_load_ushort v3, v[58:59], off
	v_lshl_add_u64 v[58:59], v[36:37], 0, v[24:25]
	global_load_ushort v18, v[58:59], off
	s_waitcnt vmcnt(1)
	v_cvt_f32_f16_e32 v10, v3
	s_waitcnt vmcnt(0)
	v_cvt_f32_f16_e32 v18, v18
	s_or_b64 exec, exec, s[36:37]
	s_and_saveexec_b64 s[36:37], s[6:7]
	s_cbranch_execz .LBB86_3
.LBB86_47:                              ;   in Loop: Header=BB86_5 Depth=1
	v_lshl_add_u64 v[58:59], v[30:31], 0, v[24:25]
	global_load_ushort v3, v[58:59], off
	v_lshl_add_u64 v[58:59], v[32:33], 0, v[24:25]
	global_load_ushort v19, v[58:59], off
	s_waitcnt vmcnt(1)
	v_cvt_f32_f16_e32 v11, v3
	s_waitcnt vmcnt(0)
	v_cvt_f32_f16_e32 v19, v19
	s_branch .LBB86_3
.LBB86_48:
                                        ; implicit-def: $vgpr21
	s_branch .LBB86_50
.LBB86_49:
	s_cbranch_execnz .LBB86_81
.LBB86_50:
	v_mov_b32_e32 v21, 0
	s_and_b64 vcc, exec, s[4:5]
	v_mov_b32_e32 v20, v21
	s_cbranch_vccnz .LBB86_81
; %bb.51:
	v_mov_b32_e32 v2, 0
	v_bfe_u32 v90, v0, 10, 10
	v_lshlrev_b32_e32 v6, 4, v90
	v_mov_b32_e32 v7, v2
	v_lshl_add_u64 v[6:7], s[10:11], 1, v[6:7]
	v_lshl_add_u64 v[8:9], v[6:7], 0, 2
	v_mov_b64_e32 v[10:11], s[16:17]
	v_lshl_add_u64 v[12:13], v[6:7], 0, 4
	v_lshl_add_u64 v[14:15], v[6:7], 0, 6
	;; [unrolled: 1-line block ×6, first 2 shown]
	v_mad_u64_u32 v[24:25], s[4:5], s14, v8, v[10:11]
	v_mad_u64_u32 v[26:27], s[4:5], s14, v12, v[10:11]
	;; [unrolled: 1-line block ×7, first 2 shown]
	v_mov_b64_e32 v[10:11], s[18:19]
	v_mul_lo_u32 v9, s14, v9
	v_mul_lo_u32 v40, s15, v8
	v_mad_u64_u32 v[38:39], s[4:5], s14, v8, v[10:11]
	v_add3_u32 v25, v40, v25, v9
	v_mul_lo_u32 v13, s14, v13
	v_mul_lo_u32 v42, s15, v12
	v_add3_u32 v39, v40, v39, v9
	v_mad_u64_u32 v[40:41], s[4:5], s14, v12, v[10:11]
	v_add3_u32 v27, v42, v27, v13
	v_mul_lo_u32 v15, s14, v15
	v_mul_lo_u32 v44, s15, v14
	v_add3_u32 v41, v42, v41, v13
	;; [unrolled: 5-line block ×4, first 2 shown]
	v_mad_u64_u32 v[46:47], s[4:5], s14, v18, v[10:11]
	v_lshlrev_b32_e32 v22, 3, v90
	v_mov_b32_e32 v23, v2
	v_add3_u32 v33, v48, v33, v19
	v_mul_lo_u32 v21, s14, v21
	v_mul_lo_u32 v50, s15, v20
	v_add3_u32 v47, v48, v47, v19
	v_mad_u64_u32 v[48:49], s[4:5], s14, v20, v[10:11]
	v_lshl_add_u64 v[4:5], v[22:23], 0, s[10:11]
	v_add3_u32 v35, v50, v35, v21
	v_mul_lo_u32 v7, s14, v7
	v_mul_lo_u32 v8, s15, v6
	v_add3_u32 v49, v50, v49, v21
	v_mad_u64_u32 v[50:51], s[4:5], s14, v6, v[10:11]
	v_add3_u32 v37, v8, v37, v7
	v_add3_u32 v51, v8, v51, v7
	v_lshl_add_u64 v[6:7], v[4:5], 0, 7
	v_mul_lo_u32 v8, s15, v6
	v_mul_lo_u32 v9, s14, v7
	v_mad_u64_u32 v[6:7], s[4:5], s14, v6, 0
	v_add3_u32 v7, v7, v9, v8
	v_lshl_add_u64 v[8:9], v[4:5], 0, 6
	v_mul_lo_u32 v10, s15, v8
	v_mul_lo_u32 v11, s14, v9
	v_mad_u64_u32 v[8:9], s[4:5], s14, v8, 0
	v_add3_u32 v9, v9, v11, v10
	v_lshl_add_u64 v[10:11], v[4:5], 0, 5
	v_mul_lo_u32 v12, s15, v10
	v_mul_lo_u32 v13, s14, v11
	v_mad_u64_u32 v[10:11], s[4:5], s14, v10, 0
	v_add3_u32 v11, v11, v13, v12
	v_lshl_add_u64 v[12:13], v[4:5], 0, 4
	v_mul_lo_u32 v14, s15, v12
	v_mul_lo_u32 v15, s14, v13
	v_mad_u64_u32 v[12:13], s[4:5], s14, v12, 0
	v_add3_u32 v13, v13, v15, v14
	v_lshl_add_u64 v[14:15], v[4:5], 0, 3
	v_mul_lo_u32 v16, s15, v14
	v_mul_lo_u32 v17, s14, v15
	v_mad_u64_u32 v[14:15], s[4:5], s14, v14, 0
	v_add3_u32 v15, v15, v17, v16
	v_lshl_add_u64 v[16:17], v[4:5], 0, 2
	v_mul_lo_u32 v52, s14, v5
	v_mul_lo_u32 v5, s15, v16
	v_mul_lo_u32 v18, s14, v17
	v_mad_u64_u32 v[16:17], s[4:5], s14, v16, 0
	v_add3_u32 v17, v17, v18, v5
	v_mov_b64_e32 v[18:19], s[14:15]
	v_mul_lo_u32 v3, s15, v4
	v_mad_u64_u32 v[18:19], s[4:5], s14, v4, v[18:19]
	v_mad_u64_u32 v[4:5], s[4:5], s14, v4, 0
	v_and_b32_e32 v1, 0x3ff, v0
	v_add3_u32 v5, v5, v52, v3
	v_add_u32_e32 v20, s3, v1
	s_load_dword s3, s[0:1], 0x44
	v_lshlrev_b64 v[4:5], 1, v[4:5]
	v_lshl_add_u64 v[54:55], s[16:17], 0, v[4:5]
	v_lshl_add_u64 v[56:57], s[18:19], 0, v[4:5]
	v_lshlrev_b64 v[4:5], 1, v[6:7]
	v_lshl_add_u64 v[58:59], s[16:17], 0, v[4:5]
	v_lshl_add_u64 v[60:61], s[18:19], 0, v[4:5]
	;; [unrolled: 3-line block ×3, first 2 shown]
	v_lshlrev_b64 v[4:5], 1, v[10:11]
	s_add_u32 s6, s0, 64
	v_lshl_add_u64 v[66:67], s[16:17], 0, v[4:5]
	v_lshl_add_u64 v[68:69], s[18:19], 0, v[4:5]
	v_lshlrev_b64 v[4:5], 1, v[12:13]
	v_add3_u32 v19, v3, v19, v52
	s_addc_u32 s7, s1, 0
	s_waitcnt lgkmcnt(0)
	s_lshl_b32 s4, s3, 3
	v_lshl_add_u64 v[70:71], s[16:17], 0, v[4:5]
	v_lshl_add_u64 v[72:73], s[18:19], 0, v[4:5]
	v_lshlrev_b64 v[4:5], 1, v[14:15]
	v_mbcnt_lo_u32_b32 v3, -1, 0
	s_mul_i32 s3, s15, s4
	s_mul_hi_u32 s9, s14, s4
	v_lshl_add_u64 v[74:75], s[16:17], 0, v[4:5]
	v_lshl_add_u64 v[76:77], s[18:19], 0, v[4:5]
	v_lshlrev_b64 v[4:5], 1, v[16:17]
	v_mbcnt_hi_u32_b32 v3, -1, v3
	v_mov_b32_e32 v21, v2
	s_add_i32 s25, s9, s3
	s_mul_i32 s24, s14, s4
	v_lshl_add_u64 v[78:79], s[16:17], 0, v[4:5]
	v_lshl_add_u64 v[80:81], s[18:19], 0, v[4:5]
	v_lshlrev_b64 v[4:5], 1, v[18:19]
	v_lshlrev_b32_e32 v3, 2, v3
	s_mov_b32 s5, 0
	v_lshlrev_b64 v[52:53], 1, v[20:21]
	s_lshl_b64 s[24:25], s[24:25], 1
	s_mov_b64 s[26:27], 7
	v_lshl_add_u64 v[82:83], s[16:17], 0, v[4:5]
	v_lshl_add_u64 v[84:85], s[18:19], 0, v[4:5]
	v_and_b32_e32 v91, 0x100, v3
	s_mov_b64 s[16:17], s[10:11]
	v_mov_b32_e32 v20, 0
	s_branch .LBB86_55
.LBB86_52:                              ;   in Loop: Header=BB86_55 Depth=1
	s_or_b64 exec, exec, s[28:29]
.LBB86_53:                              ;   in Loop: Header=BB86_55 Depth=1
	s_or_b64 exec, exec, s[18:19]
	v_lshl_add_u64 v[4:5], v[54:55], 0, v[52:53]
	global_load_ushort v7, v[4:5], off
	v_lshl_add_u64 v[4:5], v[56:57], 0, v[52:53]
	global_load_ushort v8, v[4:5], off
	;; [unrolled: 2-line block ×16, first 2 shown]
	s_waitcnt vmcnt(17)
	ds_bpermute_b32 v89, v91, v6
	ds_bpermute_b32 v93, v91, v6 offset:4
	ds_bpermute_b32 v104, v91, v6 offset:28
	s_waitcnt vmcnt(16)
	ds_bpermute_b32 v88, v91, v3
	ds_bpermute_b32 v95, v91, v6 offset:8
	ds_bpermute_b32 v97, v91, v6 offset:12
	;; [unrolled: 1-line block ×12, first 2 shown]
	s_waitcnt vmcnt(15)
	v_cvt_f32_f16_e32 v4, v7
	s_waitcnt vmcnt(14)
	v_cvt_f32_f16_e32 v7, v8
	;; [unrolled: 2-line block ×4, first 2 shown]
	s_waitcnt lgkmcnt(14)
	v_sub_f32_e32 v7, v7, v89
	s_waitcnt vmcnt(11)
	v_cvt_f32_f16_e32 v8, v11
	v_mul_f32_e32 v7, v7, v4
	s_waitcnt vmcnt(10)
	v_cvt_f32_f16_e32 v11, v12
	v_sub_f32_e32 v9, v9, v93
	s_waitcnt vmcnt(9)
	v_cvt_f32_f16_e32 v10, v13
	v_mul_f32_e32 v9, v9, v6
	s_waitcnt vmcnt(8)
	v_cvt_f32_f16_e32 v13, v14
	s_waitcnt lgkmcnt(11)
	v_sub_f32_e32 v11, v11, v95
	s_waitcnt vmcnt(7)
	v_cvt_f32_f16_e32 v12, v15
	v_mul_f32_e32 v11, v11, v8
	s_waitcnt vmcnt(6)
	v_cvt_f32_f16_e32 v15, v16
	s_waitcnt lgkmcnt(10)
	;; [unrolled: 7-line block ×5, first 2 shown]
	v_sub_f32_e32 v19, v19, v103
	v_mul_f32_e32 v19, v19, v16
	v_sub_f32_e32 v5, v5, v104
	v_mul_f32_e32 v20, v5, v18
	v_mul_f32_e32 v5, v7, v88
	s_waitcnt lgkmcnt(6)
	v_mul_f32_e32 v7, v9, v92
	v_pk_add_f32 v[4:5], v[86:87], v[4:5]
	s_waitcnt lgkmcnt(5)
	v_mul_f32_e32 v9, v11, v94
	v_pk_add_f32 v[4:5], v[4:5], v[6:7]
	;; [unrolled: 3-line block ×7, first 2 shown]
	s_nop 0
	v_pk_add_f32 v[20:21], v[4:5], v[18:19]
.LBB86_54:                              ;   in Loop: Header=BB86_55 Depth=1
	s_add_u32 s16, s16, s4
	s_addc_u32 s17, s17, 0
	v_mov_b64_e32 v[4:5], s[12:13]
	s_add_u32 s26, s26, s4
	v_cmp_ge_i64_e32 vcc, s[16:17], v[4:5]
	v_lshl_add_u64 v[54:55], v[54:55], 0, s[24:25]
	v_lshl_add_u64 v[56:57], v[56:57], 0, s[24:25]
	;; [unrolled: 1-line block ×31, first 2 shown]
	s_addc_u32 s27, 0, s27
	s_cbranch_vccnz .LBB86_81
.LBB86_55:                              ; =>This Inner Loop Header: Depth=1
	s_add_u32 s18, s10, s26
	s_addc_u32 s19, 0, s27
	v_mov_b64_e32 v[4:5], s[12:13]
	v_cmp_ge_i64_e32 vcc, s[18:19], v[4:5]
	v_mov_b32_e32 v86, v20
	v_mov_b32_e32 v87, v21
	v_lshl_add_u64 v[88:89], s[10:11], 0, v[22:23]
	s_mov_b64 s[18:19], -1
                                        ; implicit-def: $vgpr21
	s_cbranch_vccz .LBB86_77
; %bb.56:                               ;   in Loop: Header=BB86_55 Depth=1
	s_load_dword s3, s[6:7], 0xc
	v_mov_b32_e32 v20, 0
	v_mov_b32_e32 v21, 0
	s_waitcnt lgkmcnt(0)
	s_and_b32 s3, s3, 0xffff
	v_mad_u32_u24 v3, v90, s3, v1
	v_and_b32_e32 v4, 63, v3
	v_cmp_gt_u32_e32 vcc, 8, v4
	s_and_saveexec_b64 s[18:19], vcc
	s_cbranch_execz .LBB86_60
; %bb.57:                               ;   in Loop: Header=BB86_55 Depth=1
	v_mov_b32_e32 v5, v2
	v_lshl_add_u64 v[4:5], v[88:89], 0, v[4:5]
	v_cmp_gt_i64_e32 vcc, s[12:13], v[4:5]
	v_mov_b32_e32 v21, 0
	v_mov_b32_e32 v20, 0
	s_and_saveexec_b64 s[28:29], vcc
	s_cbranch_execz .LBB86_59
; %bb.58:                               ;   in Loop: Header=BB86_55 Depth=1
	v_lshlrev_b64 v[4:5], 2, v[4:5]
	v_lshl_add_u64 v[6:7], s[22:23], 0, v[4:5]
	v_lshl_add_u64 v[4:5], s[20:21], 0, v[4:5]
	global_load_dword v21, v[4:5], off
	global_load_dword v20, v[6:7], off
.LBB86_59:                              ;   in Loop: Header=BB86_55 Depth=1
	s_or_b64 exec, exec, s[28:29]
.LBB86_60:                              ;   in Loop: Header=BB86_55 Depth=1
	s_or_b64 exec, exec, s[18:19]
	v_mov_b32_e32 v8, v2
	v_mov_b32_e32 v9, v2
	;; [unrolled: 1-line block ×7, first 2 shown]
	v_mov_b64_e32 v[18:19], v[8:9]
	v_mov_b64_e32 v[16:17], v[6:7]
	;; [unrolled: 1-line block ×5, first 2 shown]
	v_cmp_gt_i64_e32 vcc, s[12:13], v[88:89]
	v_mov_b64_e32 v[8:9], v[6:7]
	v_mov_b64_e32 v[6:7], v[4:5]
	;; [unrolled: 1-line block ×3, first 2 shown]
	s_and_saveexec_b64 s[18:19], vcc
	s_cbranch_execz .LBB86_62
; %bb.61:                               ;   in Loop: Header=BB86_55 Depth=1
	v_lshl_add_u64 v[4:5], v[54:55], 0, v[52:53]
	global_load_ushort v3, v[4:5], off
	v_lshl_add_u64 v[4:5], v[56:57], 0, v[52:53]
	global_load_ushort v12, v[4:5], off
	v_mov_b32_e32 v5, v2
	v_mov_b32_e32 v6, v2
	;; [unrolled: 1-line block ×14, first 2 shown]
	s_waitcnt vmcnt(1)
	v_cvt_f32_f16_e32 v4, v3
	s_waitcnt vmcnt(0)
	v_cvt_f32_f16_e32 v12, v12
.LBB86_62:                              ;   in Loop: Header=BB86_55 Depth=1
	s_or_b64 exec, exec, s[18:19]
	v_lshl_add_u64 v[92:93], v[88:89], 0, 1
	v_cmp_gt_i64_e32 vcc, s[12:13], v[92:93]
	s_and_saveexec_b64 s[18:19], vcc
	s_cbranch_execz .LBB86_64
; %bb.63:                               ;   in Loop: Header=BB86_55 Depth=1
	v_lshl_add_u64 v[92:93], v[82:83], 0, v[52:53]
	global_load_ushort v3, v[92:93], off
	v_lshl_add_u64 v[92:93], v[84:85], 0, v[52:53]
	global_load_ushort v13, v[92:93], off
	s_waitcnt vmcnt(1)
	v_cvt_f32_f16_e32 v5, v3
	s_waitcnt vmcnt(0)
	v_cvt_f32_f16_e32 v13, v13
.LBB86_64:                              ;   in Loop: Header=BB86_55 Depth=1
	s_or_b64 exec, exec, s[18:19]
	v_lshl_add_u64 v[92:93], v[88:89], 0, 2
	v_cmp_gt_i64_e32 vcc, s[12:13], v[92:93]
	s_and_saveexec_b64 s[18:19], vcc
	s_cbranch_execz .LBB86_66
; %bb.65:                               ;   in Loop: Header=BB86_55 Depth=1
	v_lshl_add_u64 v[92:93], v[78:79], 0, v[52:53]
	global_load_ushort v3, v[92:93], off
	v_lshl_add_u64 v[92:93], v[80:81], 0, v[52:53]
	global_load_ushort v14, v[92:93], off
	s_waitcnt vmcnt(1)
	v_cvt_f32_f16_e32 v6, v3
	s_waitcnt vmcnt(0)
	v_cvt_f32_f16_e32 v14, v14
.LBB86_66:                              ;   in Loop: Header=BB86_55 Depth=1
	;; [unrolled: 15-line block ×7, first 2 shown]
	s_or_b64 exec, exec, s[18:19]
	s_waitcnt vmcnt(1)
	ds_bpermute_b32 v3, v91, v21
	s_waitcnt vmcnt(0)
	ds_bpermute_b32 v92, v91, v20
	ds_bpermute_b32 v95, v91, v21 offset:4
	ds_bpermute_b32 v94, v91, v20 offset:4
	ds_bpermute_b32 v96, v91, v21 offset:8
	s_waitcnt lgkmcnt(4)
	v_sub_f32_e32 v3, v12, v3
	v_mul_f32_e32 v3, v4, v3
	ds_bpermute_b32 v12, v91, v20 offset:8
	s_waitcnt lgkmcnt(4)
	v_mul_f32_e32 v93, v3, v92
	s_waitcnt lgkmcnt(3)
	v_sub_f32_e32 v3, v13, v95
	v_mul_f32_e32 v3, v5, v3
	s_waitcnt lgkmcnt(2)
	v_mul_f32_e32 v13, v3, v94
	s_waitcnt lgkmcnt(1)
	v_sub_f32_e32 v3, v14, v96
	ds_bpermute_b32 v14, v91, v21 offset:12
	v_mul_f32_e32 v3, v6, v3
	s_waitcnt lgkmcnt(1)
	v_mul_f32_e32 v95, v3, v12
	ds_bpermute_b32 v3, v91, v20 offset:12
	ds_bpermute_b32 v12, v91, v21 offset:16
	;; [unrolled: 1-line block ×3, first 2 shown]
	s_waitcnt lgkmcnt(3)
	v_sub_f32_e32 v14, v15, v14
	v_mul_f32_e32 v14, v7, v14
	s_waitcnt lgkmcnt(2)
	v_mul_f32_e32 v15, v14, v3
	s_waitcnt lgkmcnt(1)
	v_sub_f32_e32 v3, v16, v12
	ds_bpermute_b32 v12, v91, v21 offset:20
	v_mul_f32_e32 v3, v8, v3
	s_waitcnt lgkmcnt(1)
	v_mul_f32_e32 v97, v3, v92
	ds_bpermute_b32 v3, v91, v20 offset:20
	ds_bpermute_b32 v14, v91, v21 offset:24
	;; [unrolled: 1-line block ×3, first 2 shown]
	s_waitcnt lgkmcnt(3)
	v_sub_f32_e32 v12, v17, v12
	v_mul_f32_e32 v12, v9, v12
	s_waitcnt lgkmcnt(2)
	v_mul_f32_e32 v17, v12, v3
	s_waitcnt lgkmcnt(1)
	v_sub_f32_e32 v3, v18, v14
	v_mul_f32_e32 v3, v10, v3
	s_waitcnt lgkmcnt(0)
	v_mul_f32_e32 v99, v3, v16
	v_mov_b32_e32 v92, v4
	ds_bpermute_b32 v3, v91, v21 offset:28
	v_pk_add_f32 v[92:93], v[86:87], v[92:93]
	v_mov_b32_e32 v12, v5
	v_pk_add_f32 v[4:5], v[12:13], v[92:93]
	v_mov_b32_e32 v94, v6
	ds_bpermute_b32 v6, v91, v20 offset:28
	v_pk_add_f32 v[4:5], v[94:95], v[4:5]
	v_mov_b32_e32 v14, v7
	v_pk_add_f32 v[4:5], v[14:15], v[4:5]
	v_mov_b32_e32 v96, v8
	;; [unrolled: 2-line block ×3, first 2 shown]
	s_waitcnt lgkmcnt(1)
	v_sub_f32_e32 v3, v19, v3
	v_pk_add_f32 v[4:5], v[16:17], v[4:5]
	v_mov_b32_e32 v98, v10
	v_mul_f32_e32 v3, v11, v3
	v_pk_add_f32 v[4:5], v[98:99], v[4:5]
	s_waitcnt lgkmcnt(0)
	v_mul_f32_e32 v7, v3, v6
	v_mov_b32_e32 v6, v11
	v_pk_add_f32 v[20:21], v[6:7], v[4:5]
	s_mov_b64 s[18:19], 0
.LBB86_77:                              ;   in Loop: Header=BB86_55 Depth=1
	s_and_b64 vcc, exec, s[18:19]
	s_cbranch_vccz .LBB86_54
; %bb.78:                               ;   in Loop: Header=BB86_55 Depth=1
	s_load_dword s3, s[6:7], 0x0
	v_mov_b32_e32 v3, 0
	v_mov_b32_e32 v6, 0
	s_waitcnt lgkmcnt(0)
	s_cmp_lt_u32 s2, s3
	s_cselect_b32 s3, 12, 18
	s_add_u32 s18, s6, s3
	s_addc_u32 s19, s7, 0
	global_load_ushort v4, v2, s[18:19]
	s_waitcnt vmcnt(0)
	v_mad_u32_u24 v4, v90, v4, v1
	v_and_b32_e32 v4, 63, v4
	v_cmp_gt_u32_e32 vcc, 8, v4
	s_and_saveexec_b64 s[18:19], vcc
	s_cbranch_execz .LBB86_53
; %bb.79:                               ;   in Loop: Header=BB86_55 Depth=1
	v_mov_b32_e32 v5, v2
	v_lshl_add_u64 v[4:5], v[88:89], 0, v[4:5]
	v_cmp_gt_i64_e32 vcc, s[12:13], v[4:5]
	v_mov_b32_e32 v6, 0
	v_mov_b32_e32 v3, 0
	s_and_saveexec_b64 s[28:29], vcc
	s_cbranch_execz .LBB86_52
; %bb.80:                               ;   in Loop: Header=BB86_55 Depth=1
	v_lshlrev_b64 v[4:5], 2, v[4:5]
	v_lshl_add_u64 v[8:9], s[22:23], 0, v[4:5]
	v_lshl_add_u64 v[4:5], s[20:21], 0, v[4:5]
	global_load_dword v6, v[4:5], off
	global_load_dword v3, v[8:9], off
	s_branch .LBB86_52
.LBB86_81:
	s_mov_b32 s3, 0
	s_lshl_b64 s[2:3], s[2:3], 5
	v_and_b32_e32 v1, 0x3ff, v0
	v_or_b32_e32 v2, s2, v1
	v_mov_b32_e32 v3, s3
	v_cmp_gt_i64_e32 vcc, s[14:15], v[2:3]
	s_and_saveexec_b64 s[2:3], vcc
	s_cbranch_execz .LBB86_86
; %bb.82:
	s_load_dword s2, s[0:1], 0x4c
	s_load_dwordx4 s[4:7], s[0:1], 0x30
	v_bfe_u32 v0, v0, 10, 10
	v_mov_b32_e32 v1, 0
	v_mov_b32_e32 v4, s8
	s_waitcnt lgkmcnt(0)
	s_lshr_b32 s0, s2, 16
	v_mad_u64_u32 v[0:1], s[0:1], s0, v4, v[0:1]
	s_cmp_eq_u64 s[4:5], 0
	v_mul_lo_u32 v1, v1, s14
	v_mul_lo_u32 v4, v0, s15
	s_cbranch_scc1 .LBB86_84
; %bb.83:
	v_cvt_f16_f32_e32 v5, v21
	v_mad_u64_u32 v[6:7], s[0:1], v0, s14, 0
	v_add3_u32 v7, v7, v4, v1
	v_lshl_add_u64 v[6:7], v[6:7], 1, s[4:5]
	v_lshl_add_u64 v[6:7], v[2:3], 1, v[6:7]
	global_store_short v[6:7], v5, off
.LBB86_84:
	s_cmp_eq_u64 s[6:7], 0
	s_cbranch_scc1 .LBB86_86
; %bb.85:
	v_cvt_f16_f32_e32 v5, v20
	v_mad_u64_u32 v[6:7], s[0:1], v0, s14, 0
	v_add3_u32 v7, v7, v4, v1
	v_lshl_add_u64 v[0:1], v[6:7], 1, s[6:7]
	v_lshl_add_u64 v[0:1], v[2:3], 1, v[0:1]
	global_store_short v[0:1], v5, off
.LBB86_86:
	s_endpgm
	.section	.rodata,"a",@progbits
	.p2align	6, 0x0
	.amdhsa_kernel _ZN2at6native12_GLOBAL__N_135GammaBetaBackwardCUDAKernelTemplateIN3c104HalfEfLj32ELj1ELj8ELb1ELb0ELb0EEEvllPKT_S7_PKT0_SA_PS5_SB_
		.amdhsa_group_segment_fixed_size 0
		.amdhsa_private_segment_fixed_size 0
		.amdhsa_kernarg_size 320
		.amdhsa_user_sgpr_count 2
		.amdhsa_user_sgpr_dispatch_ptr 0
		.amdhsa_user_sgpr_queue_ptr 0
		.amdhsa_user_sgpr_kernarg_segment_ptr 1
		.amdhsa_user_sgpr_dispatch_id 0
		.amdhsa_user_sgpr_kernarg_preload_length 0
		.amdhsa_user_sgpr_kernarg_preload_offset 0
		.amdhsa_user_sgpr_private_segment_size 0
		.amdhsa_uses_dynamic_stack 0
		.amdhsa_enable_private_segment 0
		.amdhsa_system_sgpr_workgroup_id_x 1
		.amdhsa_system_sgpr_workgroup_id_y 1
		.amdhsa_system_sgpr_workgroup_id_z 0
		.amdhsa_system_sgpr_workgroup_info 0
		.amdhsa_system_vgpr_workitem_id 1
		.amdhsa_next_free_vgpr 105
		.amdhsa_next_free_sgpr 40
		.amdhsa_accum_offset 108
		.amdhsa_reserve_vcc 1
		.amdhsa_float_round_mode_32 0
		.amdhsa_float_round_mode_16_64 0
		.amdhsa_float_denorm_mode_32 3
		.amdhsa_float_denorm_mode_16_64 3
		.amdhsa_dx10_clamp 1
		.amdhsa_ieee_mode 1
		.amdhsa_fp16_overflow 0
		.amdhsa_tg_split 0
		.amdhsa_exception_fp_ieee_invalid_op 0
		.amdhsa_exception_fp_denorm_src 0
		.amdhsa_exception_fp_ieee_div_zero 0
		.amdhsa_exception_fp_ieee_overflow 0
		.amdhsa_exception_fp_ieee_underflow 0
		.amdhsa_exception_fp_ieee_inexact 0
		.amdhsa_exception_int_div_zero 0
	.end_amdhsa_kernel
	.section	.text._ZN2at6native12_GLOBAL__N_135GammaBetaBackwardCUDAKernelTemplateIN3c104HalfEfLj32ELj1ELj8ELb1ELb0ELb0EEEvllPKT_S7_PKT0_SA_PS5_SB_,"axG",@progbits,_ZN2at6native12_GLOBAL__N_135GammaBetaBackwardCUDAKernelTemplateIN3c104HalfEfLj32ELj1ELj8ELb1ELb0ELb0EEEvllPKT_S7_PKT0_SA_PS5_SB_,comdat
.Lfunc_end86:
	.size	_ZN2at6native12_GLOBAL__N_135GammaBetaBackwardCUDAKernelTemplateIN3c104HalfEfLj32ELj1ELj8ELb1ELb0ELb0EEEvllPKT_S7_PKT0_SA_PS5_SB_, .Lfunc_end86-_ZN2at6native12_GLOBAL__N_135GammaBetaBackwardCUDAKernelTemplateIN3c104HalfEfLj32ELj1ELj8ELb1ELb0ELb0EEEvllPKT_S7_PKT0_SA_PS5_SB_
                                        ; -- End function
	.set _ZN2at6native12_GLOBAL__N_135GammaBetaBackwardCUDAKernelTemplateIN3c104HalfEfLj32ELj1ELj8ELb1ELb0ELb0EEEvllPKT_S7_PKT0_SA_PS5_SB_.num_vgpr, 105
	.set _ZN2at6native12_GLOBAL__N_135GammaBetaBackwardCUDAKernelTemplateIN3c104HalfEfLj32ELj1ELj8ELb1ELb0ELb0EEEvllPKT_S7_PKT0_SA_PS5_SB_.num_agpr, 0
	.set _ZN2at6native12_GLOBAL__N_135GammaBetaBackwardCUDAKernelTemplateIN3c104HalfEfLj32ELj1ELj8ELb1ELb0ELb0EEEvllPKT_S7_PKT0_SA_PS5_SB_.numbered_sgpr, 40
	.set _ZN2at6native12_GLOBAL__N_135GammaBetaBackwardCUDAKernelTemplateIN3c104HalfEfLj32ELj1ELj8ELb1ELb0ELb0EEEvllPKT_S7_PKT0_SA_PS5_SB_.num_named_barrier, 0
	.set _ZN2at6native12_GLOBAL__N_135GammaBetaBackwardCUDAKernelTemplateIN3c104HalfEfLj32ELj1ELj8ELb1ELb0ELb0EEEvllPKT_S7_PKT0_SA_PS5_SB_.private_seg_size, 0
	.set _ZN2at6native12_GLOBAL__N_135GammaBetaBackwardCUDAKernelTemplateIN3c104HalfEfLj32ELj1ELj8ELb1ELb0ELb0EEEvllPKT_S7_PKT0_SA_PS5_SB_.uses_vcc, 1
	.set _ZN2at6native12_GLOBAL__N_135GammaBetaBackwardCUDAKernelTemplateIN3c104HalfEfLj32ELj1ELj8ELb1ELb0ELb0EEEvllPKT_S7_PKT0_SA_PS5_SB_.uses_flat_scratch, 0
	.set _ZN2at6native12_GLOBAL__N_135GammaBetaBackwardCUDAKernelTemplateIN3c104HalfEfLj32ELj1ELj8ELb1ELb0ELb0EEEvllPKT_S7_PKT0_SA_PS5_SB_.has_dyn_sized_stack, 0
	.set _ZN2at6native12_GLOBAL__N_135GammaBetaBackwardCUDAKernelTemplateIN3c104HalfEfLj32ELj1ELj8ELb1ELb0ELb0EEEvllPKT_S7_PKT0_SA_PS5_SB_.has_recursion, 0
	.set _ZN2at6native12_GLOBAL__N_135GammaBetaBackwardCUDAKernelTemplateIN3c104HalfEfLj32ELj1ELj8ELb1ELb0ELb0EEEvllPKT_S7_PKT0_SA_PS5_SB_.has_indirect_call, 0
	.section	.AMDGPU.csdata,"",@progbits
; Kernel info:
; codeLenInByte = 7092
; TotalNumSgprs: 46
; NumVgprs: 105
; NumAgprs: 0
; TotalNumVgprs: 105
; ScratchSize: 0
; MemoryBound: 0
; FloatMode: 240
; IeeeMode: 1
; LDSByteSize: 0 bytes/workgroup (compile time only)
; SGPRBlocks: 5
; VGPRBlocks: 13
; NumSGPRsForWavesPerEU: 46
; NumVGPRsForWavesPerEU: 105
; AccumOffset: 108
; Occupancy: 4
; WaveLimiterHint : 0
; COMPUTE_PGM_RSRC2:SCRATCH_EN: 0
; COMPUTE_PGM_RSRC2:USER_SGPR: 2
; COMPUTE_PGM_RSRC2:TRAP_HANDLER: 0
; COMPUTE_PGM_RSRC2:TGID_X_EN: 1
; COMPUTE_PGM_RSRC2:TGID_Y_EN: 1
; COMPUTE_PGM_RSRC2:TGID_Z_EN: 0
; COMPUTE_PGM_RSRC2:TIDIG_COMP_CNT: 1
; COMPUTE_PGM_RSRC3_GFX90A:ACCUM_OFFSET: 26
; COMPUTE_PGM_RSRC3_GFX90A:TG_SPLIT: 0
	.section	.text._ZN2at6native12_GLOBAL__N_135GammaBetaBackwardCUDAKernelTemplateIN3c104HalfEfLj32ELj8ELj64ELb0ELb1ELb0EEEvllPKT_S7_PKT0_SA_PS5_SB_,"axG",@progbits,_ZN2at6native12_GLOBAL__N_135GammaBetaBackwardCUDAKernelTemplateIN3c104HalfEfLj32ELj8ELj64ELb0ELb1ELb0EEEvllPKT_S7_PKT0_SA_PS5_SB_,comdat
	.globl	_ZN2at6native12_GLOBAL__N_135GammaBetaBackwardCUDAKernelTemplateIN3c104HalfEfLj32ELj8ELj64ELb0ELb1ELb0EEEvllPKT_S7_PKT0_SA_PS5_SB_ ; -- Begin function _ZN2at6native12_GLOBAL__N_135GammaBetaBackwardCUDAKernelTemplateIN3c104HalfEfLj32ELj8ELj64ELb0ELb1ELb0EEEvllPKT_S7_PKT0_SA_PS5_SB_
	.p2align	8
	.type	_ZN2at6native12_GLOBAL__N_135GammaBetaBackwardCUDAKernelTemplateIN3c104HalfEfLj32ELj8ELj64ELb0ELb1ELb0EEEvllPKT_S7_PKT0_SA_PS5_SB_,@function
_ZN2at6native12_GLOBAL__N_135GammaBetaBackwardCUDAKernelTemplateIN3c104HalfEfLj32ELj8ELj64ELb0ELb1ELb0EEEvllPKT_S7_PKT0_SA_PS5_SB_: ; @_ZN2at6native12_GLOBAL__N_135GammaBetaBackwardCUDAKernelTemplateIN3c104HalfEfLj32ELj8ELj64ELb0ELb1ELb0EEEvllPKT_S7_PKT0_SA_PS5_SB_
; %bb.0:
	s_load_dwordx4 s[16:19], s[0:1], 0x0
	s_lshl_b32 s20, s3, 6
	s_mov_b32 s21, 0
	v_mov_b64_e32 v[2:3], s[20:21]
	v_bfe_u32 v12, v0, 10, 10
	s_waitcnt lgkmcnt(0)
	v_cmp_gt_i64_e32 vcc, s[16:17], v[2:3]
	s_cbranch_vccnz .LBB87_2
; %bb.1:
	s_mov_b64 s[4:5], 0
	v_bfe_u32 v2, v0, 10, 10
	s_branch .LBB87_3
.LBB87_2:
	s_mov_b64 s[4:5], -1
                                        ; implicit-def: $vgpr2
.LBB87_3:
	s_load_dwordx4 s[12:15], s[0:1], 0x30
	v_mov_b32_e32 v1, 0
	v_and_b32_e32 v10, 0x3ff, v0
	s_andn2_b64 vcc, exec, s[4:5]
	v_mbcnt_lo_u32_b32 v11, -1, 0
	v_mov_b32_e32 v0, v1
	s_cbranch_vccnz .LBB87_11
; %bb.4:
	s_load_dword s3, s[0:1], 0x4c
	s_load_dword s22, s[0:1], 0x44
	s_load_dwordx8 s[4:11], s[0:1], 0x10
	v_lshlrev_b32_e32 v0, 3, v12
	v_mbcnt_hi_u32_b32 v4, -1, v11
	s_waitcnt lgkmcnt(0)
	s_and_b32 s0, s3, 0xffff
	v_mad_u32_u24 v1, v12, s0, v10
	v_and_b32_e32 v2, 63, v1
	v_mov_b32_e32 v1, 0
	v_mov_b32_e32 v3, v1
	v_lshl_add_u64 v[8:9], v[0:1], 0, s[20:21]
	v_cmp_gt_u32_e64 s[0:1], 8, v2
	s_lshl_b32 s22, s22, 6
	v_lshl_add_u64 v[2:3], v[8:9], 0, v[2:3]
	v_mul_lo_u32 v0, s19, v8
	v_mul_lo_u32 v21, s18, v9
	v_mad_u64_u32 v[8:9], s[26:27], s18, v8, 0
	v_lshl_add_u32 v6, s2, 5, v10
	v_mov_b32_e32 v7, v1
	v_lshlrev_b32_e32 v4, 2, v4
	s_mul_i32 s3, s19, s22
	s_mul_hi_u32 s26, s18, s22
	s_mov_b32 s23, 0
	v_and_b32_e32 v13, 0x100, v4
	v_add3_u32 v9, v9, v21, v0
	v_lshlrev_b64 v[6:7], 1, v[6:7]
	s_add_i32 s27, s26, s3
	s_mul_i32 s26, s18, s22
	v_or_b32_e32 v14, 4, v13
	v_or_b32_e32 v15, 8, v13
	;; [unrolled: 1-line block ×7, first 2 shown]
	v_lshlrev_b64 v[4:5], 2, v[2:3]
	s_lshl_b64 s[24:25], s[22:23], 2
	v_lshl_add_u64 v[6:7], v[8:9], 1, v[6:7]
	s_lshl_b64 s[26:27], s[26:27], 1
	s_lshl_b64 s[18:19], s[18:19], 1
	v_mov_b64_e32 v[8:9], s[16:17]
	v_mov_b32_e32 v0, v1
	s_branch .LBB87_7
.LBB87_5:                               ;   in Loop: Header=BB87_7 Depth=1
	s_or_b64 exec, exec, s[30:31]
.LBB87_6:                               ;   in Loop: Header=BB87_7 Depth=1
	s_or_b64 exec, exec, s[28:29]
	v_lshl_add_u64 v[24:25], s[4:5], 0, v[6:7]
	global_load_ushort v23, v[24:25], off
	v_lshl_add_u64 v[26:27], s[6:7], 0, v[6:7]
	v_lshl_add_u64 v[24:25], v[24:25], 0, s[18:19]
	global_load_ushort v28, v[26:27], off
	global_load_ushort v29, v[24:25], off
	v_lshl_add_u64 v[26:27], v[26:27], 0, s[18:19]
	v_lshl_add_u64 v[24:25], v[24:25], 0, s[18:19]
	global_load_ushort v30, v[26:27], off
	;; [unrolled: 4-line block ×7, first 2 shown]
	global_load_ushort v41, v[24:25], off
	v_lshl_add_u64 v[24:25], v[26:27], 0, s[18:19]
	global_load_ushort v25, v[24:25], off
	s_waitcnt vmcnt(17)
	ds_bpermute_b32 v42, v13, v21
	s_waitcnt vmcnt(16)
	ds_bpermute_b32 v27, v13, v22
	ds_bpermute_b32 v43, v14, v22
	;; [unrolled: 1-line block ×15, first 2 shown]
	s_add_u32 s20, s20, s22
	s_addc_u32 s21, s21, 0
	v_cmp_lt_i64_e32 vcc, s[20:21], v[8:9]
	v_lshl_add_u64 v[4:5], v[4:5], 0, s[24:25]
	v_lshl_add_u64 v[2:3], v[2:3], 0, s[22:23]
	;; [unrolled: 1-line block ×3, first 2 shown]
	s_and_b64 vcc, exec, vcc
	s_waitcnt vmcnt(15)
	v_cvt_f32_f16_e32 v22, v23
	s_waitcnt vmcnt(14)
	v_cvt_f32_f16_e32 v23, v28
	;; [unrolled: 2-line block ×5, first 2 shown]
	s_waitcnt lgkmcnt(14)
	v_sub_f32_e32 v23, v23, v42
	v_mul_f32_e32 v23, v23, v22
	s_waitcnt vmcnt(10)
	v_cvt_f32_f16_e32 v31, v32
	s_waitcnt vmcnt(9)
	v_cvt_f32_f16_e32 v28, v33
	s_waitcnt lgkmcnt(12)
	v_sub_f32_e32 v29, v29, v44
	v_mul_f32_e32 v23, v23, v27
	s_waitcnt vmcnt(8)
	v_cvt_f32_f16_e32 v33, v34
	s_waitcnt vmcnt(7)
	v_cvt_f32_f16_e32 v30, v35
	v_mul_f32_e32 v27, v29, v24
	s_waitcnt lgkmcnt(5)
	v_sub_f32_e32 v29, v31, v46
	s_waitcnt vmcnt(6)
	v_cvt_f32_f16_e32 v35, v36
	s_waitcnt vmcnt(5)
	v_cvt_f32_f16_e32 v32, v37
	v_pk_add_f32 v[0:1], v[0:1], v[22:23]
	s_waitcnt vmcnt(4)
	v_cvt_f32_f16_e32 v37, v38
	s_waitcnt vmcnt(3)
	v_cvt_f32_f16_e32 v34, v39
	s_waitcnt lgkmcnt(3)
	v_sub_f32_e32 v23, v35, v50
	s_waitcnt vmcnt(2)
	v_cvt_f32_f16_e32 v38, v40
	s_waitcnt vmcnt(1)
	v_cvt_f32_f16_e32 v36, v41
	;; [unrolled: 2-line block ×3, first 2 shown]
	v_mul_f32_e32 v25, v27, v43
	v_mul_f32_e32 v27, v29, v26
	v_sub_f32_e32 v29, v33, v48
	v_mul_f32_e32 v27, v27, v45
	v_mul_f32_e32 v22, v29, v28
	v_pk_add_f32 v[0:1], v[0:1], v[24:25]
	v_mul_f32_e32 v29, v22, v47
	v_mul_f32_e32 v22, v23, v30
	s_waitcnt lgkmcnt(2)
	v_sub_f32_e32 v23, v37, v52
	v_pk_add_f32 v[0:1], v[0:1], v[26:27]
	v_mul_f32_e32 v31, v22, v49
	v_mul_f32_e32 v22, v23, v32
	s_waitcnt lgkmcnt(1)
	v_sub_f32_e32 v23, v38, v54
	v_pk_add_f32 v[0:1], v[0:1], v[28:29]
	v_mul_f32_e32 v33, v22, v51
	v_mul_f32_e32 v22, v23, v34
	v_pk_add_f32 v[0:1], v[0:1], v[30:31]
	s_waitcnt lgkmcnt(0)
	v_sub_f32_e32 v21, v39, v21
	v_mul_f32_e32 v35, v22, v53
	v_pk_add_f32 v[0:1], v[0:1], v[32:33]
	v_mul_f32_e32 v21, v21, v36
	v_pk_add_f32 v[0:1], v[0:1], v[34:35]
	;; [unrolled: 2-line block ×3, first 2 shown]
	s_cbranch_vccz .LBB87_10
.LBB87_7:                               ; =>This Inner Loop Header: Depth=1
	v_mov_b32_e32 v22, 0
	v_mov_b32_e32 v21, 0
	s_and_saveexec_b64 s[28:29], s[0:1]
	s_cbranch_execz .LBB87_6
; %bb.8:                                ;   in Loop: Header=BB87_7 Depth=1
	v_cmp_gt_i64_e32 vcc, s[16:17], v[2:3]
	v_mov_b32_e32 v21, 0
	v_mov_b32_e32 v22, 0
	s_and_saveexec_b64 s[30:31], vcc
	s_cbranch_execz .LBB87_5
; %bb.9:                                ;   in Loop: Header=BB87_7 Depth=1
	v_lshl_add_u64 v[26:27], s[8:9], 0, v[4:5]
	v_lshl_add_u64 v[24:25], s[10:11], 0, v[4:5]
	global_load_dword v21, v[26:27], off
	global_load_dword v22, v[24:25], off
	s_branch .LBB87_5
.LBB87_10:
	v_mov_b32_e32 v2, v12
.LBB87_11:
	v_mad_u32_u24 v3, v2, 33, v10
	v_sub_u32_e32 v7, v3, v2
	s_movk_i32 s0, 0x800
	v_lshl_add_u32 v4, v3, 2, 0
	v_cmp_gt_u32_e32 vcc, s0, v7
	ds_write_b32 v4, v1
	ds_write_b32 v4, v0 offset:1056
	s_waitcnt lgkmcnt(0)
	s_barrier
	s_and_saveexec_b64 s[0:1], vcc
	s_cbranch_execz .LBB87_75
; %bb.12:
	v_and_b32_e32 v1, 63, v7
	v_lshrrev_b32_e32 v0, 6, v7
	v_cmp_lt_u32_e64 s[4:5], 7, v1
	v_cmp_gt_u32_e64 s[6:7], 8, v1
	v_mul_u32_u24_e32 v6, 33, v1
                                        ; implicit-def: $vgpr2
	s_and_saveexec_b64 s[0:1], s[6:7]
	s_cbranch_execz .LBB87_14
; %bb.13:
	v_add_u32_e32 v1, v0, v6
	v_lshl_add_u32 v1, v1, 2, 0
	ds_read_b32 v3, v1
	ds_read_b32 v2, v1 offset:1056
.LBB87_14:
	s_or_b64 exec, exec, s[0:1]
	v_mbcnt_hi_u32_b32 v1, -1, v11
	v_and_b32_e32 v4, 64, v1
	v_add_u32_e32 v11, 64, v4
	v_xor_b32_e32 v4, 4, v1
	v_cmp_lt_i32_e32 vcc, v4, v11
	v_xor_b32_e32 v9, 2, v1
	v_cmp_eq_u32_e64 s[0:1], 0, v10
	v_cndmask_b32_e32 v4, v1, v4, vcc
	v_lshlrev_b32_e32 v8, 2, v4
	s_waitcnt lgkmcnt(1)
	ds_bpermute_b32 v5, v8, v3
	s_waitcnt lgkmcnt(1)
	ds_bpermute_b32 v4, v8, v2
	v_cmp_lt_i32_e32 vcc, v9, v11
	v_xor_b32_e32 v10, 1, v1
	s_mov_b32 s3, 0
	v_cndmask_b32_e32 v9, v1, v9, vcc
	v_lshlrev_b32_e32 v9, 2, v9
	s_waitcnt lgkmcnt(0)
	v_pk_add_f32 v[2:3], v[2:3], v[4:5]
	ds_bpermute_b32 v5, v9, v3
	ds_bpermute_b32 v4, v9, v2
	v_cmp_lt_i32_e32 vcc, v10, v11
	s_lshl_b64 s[2:3], s[2:3], 5
	s_cmp_lg_u64 s[12:13], 0
	v_cndmask_b32_e32 v1, v1, v10, vcc
	v_lshlrev_b32_e32 v10, 2, v1
	s_waitcnt lgkmcnt(0)
	v_pk_add_f32 v[2:3], v[2:3], v[4:5]
	ds_bpermute_b32 v5, v10, v3
	ds_bpermute_b32 v4, v10, v2
	s_cselect_b64 s[10:11], -1, 0
	s_cmp_lg_u64 s[14:15], 0
	s_cselect_b64 s[8:9], -1, 0
	v_mov_b32_e32 v1, 0
	s_waitcnt lgkmcnt(0)
	v_pk_add_f32 v[2:3], v[2:3], v[4:5]
	s_and_saveexec_b64 s[16:17], s[0:1]
	s_cbranch_execz .LBB87_19
; %bb.15:
	v_mov_b32_e32 v5, s3
	s_andn2_b64 vcc, exec, s[10:11]
	v_or_b32_e32 v4, s2, v0
	s_cbranch_vccnz .LBB87_17
; %bb.16:
	v_cvt_f16_f32_e32 v11, v3
	v_lshl_add_u64 v[12:13], v[4:5], 1, s[12:13]
	global_store_short v[12:13], v11, off
.LBB87_17:
	s_andn2_b64 vcc, exec, s[8:9]
	s_cbranch_vccnz .LBB87_19
; %bb.18:
	v_cvt_f16_f32_e32 v11, v2
	v_lshl_add_u64 v[4:5], v[4:5], 1, s[14:15]
	global_store_short v[4:5], v11, off
.LBB87_19:
	s_or_b64 exec, exec, s[16:17]
	s_movk_i32 s16, 0x700
	v_cmp_gt_u32_e32 vcc, s16, v7
	s_and_b64 exec, exec, vcc
	s_cbranch_execz .LBB87_75
; %bb.20:
	s_and_saveexec_b64 s[16:17], s[4:5]
	s_xor_b64 s[16:17], exec, s[16:17]
	s_andn2_saveexec_b64 s[16:17], s[16:17]
	s_cbranch_execz .LBB87_22
; %bb.21:
	v_add_u32_e32 v2, v0, v6
	v_lshl_add_u32 v2, v2, 2, 0
	ds_read_b32 v3, v2 offset:16
	ds_read_b32 v2, v2 offset:1072
.LBB87_22:
	s_or_b64 exec, exec, s[16:17]
	s_waitcnt lgkmcnt(1)
	ds_bpermute_b32 v5, v8, v3
	s_waitcnt lgkmcnt(1)
	ds_bpermute_b32 v4, v8, v2
	s_waitcnt lgkmcnt(0)
	v_pk_add_f32 v[2:3], v[2:3], v[4:5]
	ds_bpermute_b32 v5, v9, v3
	ds_bpermute_b32 v4, v9, v2
	s_waitcnt lgkmcnt(0)
	v_pk_add_f32 v[2:3], v[2:3], v[4:5]
	ds_bpermute_b32 v5, v10, v3
	ds_bpermute_b32 v4, v10, v2
	s_waitcnt lgkmcnt(0)
	v_pk_add_f32 v[2:3], v[2:3], v[4:5]
	s_and_saveexec_b64 s[16:17], s[0:1]
	s_cbranch_execz .LBB87_27
; %bb.23:
	s_andn2_b64 vcc, exec, s[10:11]
	s_cbranch_vccnz .LBB87_25
; %bb.24:
	v_cvt_f16_f32_e32 v11, v3
	v_lshl_add_u64 v[4:5], s[2:3], 0, v[0:1]
	v_lshl_add_u64 v[4:5], v[4:5], 1, s[12:13]
	global_store_short v[4:5], v11, off offset:8
.LBB87_25:
	s_andn2_b64 vcc, exec, s[8:9]
	s_cbranch_vccnz .LBB87_27
; %bb.26:
	v_cvt_f16_f32_e32 v11, v2
	v_lshl_add_u64 v[4:5], s[2:3], 0, v[0:1]
	v_lshl_add_u64 v[4:5], v[4:5], 1, s[14:15]
	global_store_short v[4:5], v11, off offset:8
.LBB87_27:
	s_or_b64 exec, exec, s[16:17]
	s_movk_i32 s16, 0x600
	v_cmp_gt_u32_e32 vcc, s16, v7
	s_and_b64 exec, exec, vcc
	s_cbranch_execz .LBB87_75
; %bb.28:
	s_and_saveexec_b64 s[16:17], s[4:5]
	s_xor_b64 s[16:17], exec, s[16:17]
	s_andn2_saveexec_b64 s[16:17], s[16:17]
	s_cbranch_execz .LBB87_30
; %bb.29:
	v_add_u32_e32 v2, v0, v6
	v_lshl_add_u32 v2, v2, 2, 0
	ds_read_b32 v3, v2 offset:32
	ds_read_b32 v2, v2 offset:1088
.LBB87_30:
	s_or_b64 exec, exec, s[16:17]
	s_waitcnt lgkmcnt(1)
	ds_bpermute_b32 v5, v8, v3
	s_waitcnt lgkmcnt(1)
	ds_bpermute_b32 v4, v8, v2
	s_waitcnt lgkmcnt(0)
	v_pk_add_f32 v[2:3], v[2:3], v[4:5]
	ds_bpermute_b32 v5, v9, v3
	ds_bpermute_b32 v4, v9, v2
	s_waitcnt lgkmcnt(0)
	v_pk_add_f32 v[2:3], v[2:3], v[4:5]
	ds_bpermute_b32 v5, v10, v3
	ds_bpermute_b32 v4, v10, v2
	s_waitcnt lgkmcnt(0)
	v_pk_add_f32 v[2:3], v[2:3], v[4:5]
	s_and_saveexec_b64 s[16:17], s[0:1]
	s_cbranch_execz .LBB87_35
; %bb.31:
	s_andn2_b64 vcc, exec, s[10:11]
	s_cbranch_vccnz .LBB87_33
; %bb.32:
	v_cvt_f16_f32_e32 v11, v3
	v_lshl_add_u64 v[4:5], s[2:3], 0, v[0:1]
	v_lshl_add_u64 v[4:5], v[4:5], 1, s[12:13]
	global_store_short v[4:5], v11, off offset:16
.LBB87_33:
	s_andn2_b64 vcc, exec, s[8:9]
	s_cbranch_vccnz .LBB87_35
; %bb.34:
	v_cvt_f16_f32_e32 v11, v2
	v_lshl_add_u64 v[4:5], s[2:3], 0, v[0:1]
	v_lshl_add_u64 v[4:5], v[4:5], 1, s[14:15]
	global_store_short v[4:5], v11, off offset:16
.LBB87_35:
	;; [unrolled: 50-line block ×6, first 2 shown]
	s_or_b64 exec, exec, s[4:5]
	s_movk_i32 s4, 0x100
	v_cmp_gt_u32_e32 vcc, s4, v7
	s_and_b64 exec, exec, vcc
	s_cbranch_execz .LBB87_75
; %bb.68:
	s_and_saveexec_b64 s[4:5], s[6:7]
	s_cbranch_execz .LBB87_70
; %bb.69:
	v_add_u32_e32 v2, v0, v6
	v_lshl_add_u32 v2, v2, 2, 0
	ds_read_b32 v3, v2 offset:112
	ds_read_b32 v2, v2 offset:1168
.LBB87_70:
	s_or_b64 exec, exec, s[4:5]
	s_waitcnt lgkmcnt(1)
	ds_bpermute_b32 v4, v8, v3
	s_waitcnt lgkmcnt(1)
	ds_bpermute_b32 v5, v8, v2
	s_waitcnt lgkmcnt(1)
	v_add_f32_e32 v3, v3, v4
	s_waitcnt lgkmcnt(0)
	v_add_f32_e32 v2, v2, v5
	ds_bpermute_b32 v4, v9, v3
	ds_bpermute_b32 v5, v9, v2
	s_waitcnt lgkmcnt(1)
	v_add_f32_e32 v4, v3, v4
	s_waitcnt lgkmcnt(0)
	v_add_f32_e32 v2, v2, v5
	ds_bpermute_b32 v5, v10, v4
	ds_bpermute_b32 v3, v10, v2
	s_and_b64 exec, exec, s[0:1]
	s_cbranch_execz .LBB87_75
; %bb.71:
	s_andn2_b64 vcc, exec, s[10:11]
	v_lshl_add_u64 v[0:1], s[2:3], 0, v[0:1]
	s_cbranch_vccnz .LBB87_73
; %bb.72:
	s_waitcnt lgkmcnt(1)
	v_add_f32_e32 v4, v4, v5
	v_cvt_f16_f32_e32 v6, v4
	v_lshl_add_u64 v[4:5], v[0:1], 1, s[12:13]
	global_store_short v[4:5], v6, off offset:56
.LBB87_73:
	s_andn2_b64 vcc, exec, s[8:9]
	s_cbranch_vccnz .LBB87_75
; %bb.74:
	s_waitcnt lgkmcnt(0)
	v_add_f32_e32 v2, v2, v3
	v_cvt_f16_f32_e32 v2, v2
	v_lshl_add_u64 v[0:1], v[0:1], 1, s[14:15]
	global_store_short v[0:1], v2, off offset:56
.LBB87_75:
	s_endpgm
	.section	.rodata,"a",@progbits
	.p2align	6, 0x0
	.amdhsa_kernel _ZN2at6native12_GLOBAL__N_135GammaBetaBackwardCUDAKernelTemplateIN3c104HalfEfLj32ELj8ELj64ELb0ELb1ELb0EEEvllPKT_S7_PKT0_SA_PS5_SB_
		.amdhsa_group_segment_fixed_size 0
		.amdhsa_private_segment_fixed_size 0
		.amdhsa_kernarg_size 320
		.amdhsa_user_sgpr_count 2
		.amdhsa_user_sgpr_dispatch_ptr 0
		.amdhsa_user_sgpr_queue_ptr 0
		.amdhsa_user_sgpr_kernarg_segment_ptr 1
		.amdhsa_user_sgpr_dispatch_id 0
		.amdhsa_user_sgpr_kernarg_preload_length 0
		.amdhsa_user_sgpr_kernarg_preload_offset 0
		.amdhsa_user_sgpr_private_segment_size 0
		.amdhsa_uses_dynamic_stack 0
		.amdhsa_enable_private_segment 0
		.amdhsa_system_sgpr_workgroup_id_x 1
		.amdhsa_system_sgpr_workgroup_id_y 1
		.amdhsa_system_sgpr_workgroup_id_z 0
		.amdhsa_system_sgpr_workgroup_info 0
		.amdhsa_system_vgpr_workitem_id 1
		.amdhsa_next_free_vgpr 56
		.amdhsa_next_free_sgpr 32
		.amdhsa_accum_offset 56
		.amdhsa_reserve_vcc 1
		.amdhsa_float_round_mode_32 0
		.amdhsa_float_round_mode_16_64 0
		.amdhsa_float_denorm_mode_32 3
		.amdhsa_float_denorm_mode_16_64 3
		.amdhsa_dx10_clamp 1
		.amdhsa_ieee_mode 1
		.amdhsa_fp16_overflow 0
		.amdhsa_tg_split 0
		.amdhsa_exception_fp_ieee_invalid_op 0
		.amdhsa_exception_fp_denorm_src 0
		.amdhsa_exception_fp_ieee_div_zero 0
		.amdhsa_exception_fp_ieee_overflow 0
		.amdhsa_exception_fp_ieee_underflow 0
		.amdhsa_exception_fp_ieee_inexact 0
		.amdhsa_exception_int_div_zero 0
	.end_amdhsa_kernel
	.section	.text._ZN2at6native12_GLOBAL__N_135GammaBetaBackwardCUDAKernelTemplateIN3c104HalfEfLj32ELj8ELj64ELb0ELb1ELb0EEEvllPKT_S7_PKT0_SA_PS5_SB_,"axG",@progbits,_ZN2at6native12_GLOBAL__N_135GammaBetaBackwardCUDAKernelTemplateIN3c104HalfEfLj32ELj8ELj64ELb0ELb1ELb0EEEvllPKT_S7_PKT0_SA_PS5_SB_,comdat
.Lfunc_end87:
	.size	_ZN2at6native12_GLOBAL__N_135GammaBetaBackwardCUDAKernelTemplateIN3c104HalfEfLj32ELj8ELj64ELb0ELb1ELb0EEEvllPKT_S7_PKT0_SA_PS5_SB_, .Lfunc_end87-_ZN2at6native12_GLOBAL__N_135GammaBetaBackwardCUDAKernelTemplateIN3c104HalfEfLj32ELj8ELj64ELb0ELb1ELb0EEEvllPKT_S7_PKT0_SA_PS5_SB_
                                        ; -- End function
	.set _ZN2at6native12_GLOBAL__N_135GammaBetaBackwardCUDAKernelTemplateIN3c104HalfEfLj32ELj8ELj64ELb0ELb1ELb0EEEvllPKT_S7_PKT0_SA_PS5_SB_.num_vgpr, 56
	.set _ZN2at6native12_GLOBAL__N_135GammaBetaBackwardCUDAKernelTemplateIN3c104HalfEfLj32ELj8ELj64ELb0ELb1ELb0EEEvllPKT_S7_PKT0_SA_PS5_SB_.num_agpr, 0
	.set _ZN2at6native12_GLOBAL__N_135GammaBetaBackwardCUDAKernelTemplateIN3c104HalfEfLj32ELj8ELj64ELb0ELb1ELb0EEEvllPKT_S7_PKT0_SA_PS5_SB_.numbered_sgpr, 32
	.set _ZN2at6native12_GLOBAL__N_135GammaBetaBackwardCUDAKernelTemplateIN3c104HalfEfLj32ELj8ELj64ELb0ELb1ELb0EEEvllPKT_S7_PKT0_SA_PS5_SB_.num_named_barrier, 0
	.set _ZN2at6native12_GLOBAL__N_135GammaBetaBackwardCUDAKernelTemplateIN3c104HalfEfLj32ELj8ELj64ELb0ELb1ELb0EEEvllPKT_S7_PKT0_SA_PS5_SB_.private_seg_size, 0
	.set _ZN2at6native12_GLOBAL__N_135GammaBetaBackwardCUDAKernelTemplateIN3c104HalfEfLj32ELj8ELj64ELb0ELb1ELb0EEEvllPKT_S7_PKT0_SA_PS5_SB_.uses_vcc, 1
	.set _ZN2at6native12_GLOBAL__N_135GammaBetaBackwardCUDAKernelTemplateIN3c104HalfEfLj32ELj8ELj64ELb0ELb1ELb0EEEvllPKT_S7_PKT0_SA_PS5_SB_.uses_flat_scratch, 0
	.set _ZN2at6native12_GLOBAL__N_135GammaBetaBackwardCUDAKernelTemplateIN3c104HalfEfLj32ELj8ELj64ELb0ELb1ELb0EEEvllPKT_S7_PKT0_SA_PS5_SB_.has_dyn_sized_stack, 0
	.set _ZN2at6native12_GLOBAL__N_135GammaBetaBackwardCUDAKernelTemplateIN3c104HalfEfLj32ELj8ELj64ELb0ELb1ELb0EEEvllPKT_S7_PKT0_SA_PS5_SB_.has_recursion, 0
	.set _ZN2at6native12_GLOBAL__N_135GammaBetaBackwardCUDAKernelTemplateIN3c104HalfEfLj32ELj8ELj64ELb0ELb1ELb0EEEvllPKT_S7_PKT0_SA_PS5_SB_.has_indirect_call, 0
	.section	.AMDGPU.csdata,"",@progbits
; Kernel info:
; codeLenInByte = 3256
; TotalNumSgprs: 38
; NumVgprs: 56
; NumAgprs: 0
; TotalNumVgprs: 56
; ScratchSize: 0
; MemoryBound: 0
; FloatMode: 240
; IeeeMode: 1
; LDSByteSize: 0 bytes/workgroup (compile time only)
; SGPRBlocks: 4
; VGPRBlocks: 6
; NumSGPRsForWavesPerEU: 38
; NumVGPRsForWavesPerEU: 56
; AccumOffset: 56
; Occupancy: 8
; WaveLimiterHint : 0
; COMPUTE_PGM_RSRC2:SCRATCH_EN: 0
; COMPUTE_PGM_RSRC2:USER_SGPR: 2
; COMPUTE_PGM_RSRC2:TRAP_HANDLER: 0
; COMPUTE_PGM_RSRC2:TGID_X_EN: 1
; COMPUTE_PGM_RSRC2:TGID_Y_EN: 1
; COMPUTE_PGM_RSRC2:TGID_Z_EN: 0
; COMPUTE_PGM_RSRC2:TIDIG_COMP_CNT: 1
; COMPUTE_PGM_RSRC3_GFX90A:ACCUM_OFFSET: 13
; COMPUTE_PGM_RSRC3_GFX90A:TG_SPLIT: 0
	.section	.text._ZN2at6native12_GLOBAL__N_135GammaBetaBackwardCUDAKernelTemplateIN3c104HalfEfLj32ELj8ELj64ELb0ELb0ELb0EEEvllPKT_S7_PKT0_SA_PS5_SB_,"axG",@progbits,_ZN2at6native12_GLOBAL__N_135GammaBetaBackwardCUDAKernelTemplateIN3c104HalfEfLj32ELj8ELj64ELb0ELb0ELb0EEEvllPKT_S7_PKT0_SA_PS5_SB_,comdat
	.globl	_ZN2at6native12_GLOBAL__N_135GammaBetaBackwardCUDAKernelTemplateIN3c104HalfEfLj32ELj8ELj64ELb0ELb0ELb0EEEvllPKT_S7_PKT0_SA_PS5_SB_ ; -- Begin function _ZN2at6native12_GLOBAL__N_135GammaBetaBackwardCUDAKernelTemplateIN3c104HalfEfLj32ELj8ELj64ELb0ELb0ELb0EEEvllPKT_S7_PKT0_SA_PS5_SB_
	.p2align	8
	.type	_ZN2at6native12_GLOBAL__N_135GammaBetaBackwardCUDAKernelTemplateIN3c104HalfEfLj32ELj8ELj64ELb0ELb0ELb0EEEvllPKT_S7_PKT0_SA_PS5_SB_,@function
_ZN2at6native12_GLOBAL__N_135GammaBetaBackwardCUDAKernelTemplateIN3c104HalfEfLj32ELj8ELj64ELb0ELb0ELb0EEEvllPKT_S7_PKT0_SA_PS5_SB_: ; @_ZN2at6native12_GLOBAL__N_135GammaBetaBackwardCUDAKernelTemplateIN3c104HalfEfLj32ELj8ELj64ELb0ELb0ELb0EEEvllPKT_S7_PKT0_SA_PS5_SB_
; %bb.0:
	s_load_dwordx8 s[8:15], s[0:1], 0x0
	s_load_dwordx4 s[16:19], s[0:1], 0x20
	s_lshl_b32 s33, s2, 5
	s_mov_b32 s21, 0
	s_lshl_b32 s20, s3, 6
	s_or_b32 s4, s33, 31
	v_mov_b64_e32 v[2:3], s[20:21]
	v_mov_b32_e32 v28, s4
	v_mov_b32_e32 v29, 0
	s_waitcnt lgkmcnt(0)
	v_cmp_gt_i64_e64 s[4:5], s[8:9], v[2:3]
	v_cmp_le_i64_e32 vcc, s[10:11], v[28:29]
	s_nop 0
	v_cndmask_b32_e64 v1, 0, 1, s[4:5]
	v_cmp_ne_u32_e64 s[4:5], 1, v1
	s_cbranch_vccz .LBB88_48
; %bb.1:
	s_and_b64 vcc, exec, s[4:5]
	v_mov_b32_e32 v28, 0
	s_cbranch_vccnz .LBB88_49
; %bb.2:
	v_and_b32_e32 v1, 0x3ff, v0
	v_mov_b32_e32 v2, 0
	v_bfe_u32 v62, v0, 10, 10
	v_add_u32_e32 v4, s33, v1
	v_mov_b32_e32 v5, v2
	v_lshlrev_b32_e32 v20, 3, v62
	v_mov_b32_e32 v21, v2
	v_cmp_gt_i64_e64 s[6:7], s[10:11], v[4:5]
	v_lshlrev_b64 v[22:23], 1, v[4:5]
	v_lshl_add_u64 v[4:5], v[20:21], 0, s[20:21]
	v_mul_lo_u32 v3, s11, v4
	v_mul_lo_u32 v8, s10, v5
	v_mad_u64_u32 v[6:7], s[24:25], s10, v4, 0
	v_add3_u32 v7, v7, v8, v3
	v_lshlrev_b64 v[6:7], 1, v[6:7]
	v_lshl_add_u64 v[24:25], s[12:13], 0, v[6:7]
	v_lshl_add_u64 v[26:27], s[14:15], 0, v[6:7]
	v_lshl_add_u64 v[6:7], v[4:5], 0, 7
	v_mul_lo_u32 v9, s11, v6
	v_mul_lo_u32 v10, s10, v7
	v_mad_u64_u32 v[6:7], s[26:27], s10, v6, 0
	v_add3_u32 v7, v7, v10, v9
	v_lshlrev_b64 v[6:7], 1, v[6:7]
	v_lshl_add_u64 v[30:31], s[12:13], 0, v[6:7]
	v_lshl_add_u64 v[32:33], s[14:15], 0, v[6:7]
	;; [unrolled: 8-line block ×5, first 2 shown]
	v_lshl_add_u64 v[6:7], v[4:5], 0, 3
	v_mul_lo_u32 v9, s11, v6
	v_mul_lo_u32 v10, s10, v7
	v_mad_u64_u32 v[6:7], s[26:27], s10, v6, 0
	v_add3_u32 v7, v7, v10, v9
	s_load_dword s3, s[0:1], 0x44
	v_lshlrev_b64 v[6:7], 1, v[6:7]
	v_lshl_add_u64 v[46:47], s[12:13], 0, v[6:7]
	v_lshl_add_u64 v[48:49], s[14:15], 0, v[6:7]
	;; [unrolled: 1-line block ×3, first 2 shown]
	v_mul_lo_u32 v5, s11, v6
	v_mul_lo_u32 v9, s10, v7
	v_mad_u64_u32 v[6:7], s[26:27], s10, v6, 0
	v_add3_u32 v7, v7, v9, v5
	s_add_u32 s22, s0, 64
	v_lshlrev_b64 v[6:7], 1, v[6:7]
	s_addc_u32 s23, s1, 0
	s_waitcnt lgkmcnt(0)
	s_lshl_b32 s3, s3, 6
	v_lshl_add_u64 v[50:51], s[12:13], 0, v[6:7]
	v_lshl_add_u64 v[52:53], s[14:15], 0, v[6:7]
	v_mov_b64_e32 v[6:7], s[10:11]
	s_mul_i32 s24, s11, s3
	s_mul_hi_u32 s25, s10, s3
	v_mad_u64_u32 v[4:5], s[26:27], s10, v4, v[6:7]
	s_add_i32 s25, s25, s24
	s_mul_i32 s24, s10, s3
	v_add3_u32 v5, v3, v5, v8
	v_mbcnt_lo_u32_b32 v3, -1, 0
	s_lshl_b64 s[24:25], s[24:25], 1
	v_mbcnt_hi_u32_b32 v3, -1, v3
	v_lshlrev_b64 v[4:5], 1, v[4:5]
	s_add_u32 s26, s20, 63
	s_movk_i32 s28, 0xffc1
	s_movk_i32 s30, 0xffc2
	;; [unrolled: 1-line block ×8, first 2 shown]
	v_lshlrev_b32_e32 v3, 2, v3
	v_lshl_add_u64 v[54:55], s[12:13], 0, v[4:5]
	v_lshl_add_u64 v[56:57], s[14:15], 0, v[4:5]
	s_addc_u32 s27, 0, 0
	s_mov_b32 s29, -1
	s_mov_b32 s31, -1
	;; [unrolled: 1-line block ×8, first 2 shown]
	v_and_b32_e32 v63, 0x100, v3
	s_mov_b64 s[46:47], s[20:21]
	v_mov_b32_e32 v28, 0
	v_mov_b32_e32 v29, v2
	s_branch .LBB88_5
.LBB88_3:                               ;   in Loop: Header=BB88_5 Depth=1
	s_or_b64 exec, exec, s[48:49]
	s_waitcnt vmcnt(1)
	ds_bpermute_b32 v3, v63, v61
	ds_bpermute_b32 v58, v63, v61 offset:4
	s_waitcnt vmcnt(0)
	ds_bpermute_b32 v59, v63, v60
	ds_bpermute_b32 v64, v63, v60 offset:4
	v_mov_b32_e32 v66, v8
	s_waitcnt lgkmcnt(3)
	v_sub_f32_e32 v3, v12, v3
	v_mul_f32_e32 v3, v4, v3
	s_waitcnt lgkmcnt(2)
	v_sub_f32_e32 v12, v13, v58
	s_waitcnt lgkmcnt(1)
	v_mul_f32_e32 v13, v3, v59
	ds_bpermute_b32 v3, v63, v61 offset:8
	v_mul_f32_e32 v12, v5, v12
	s_waitcnt lgkmcnt(1)
	v_mul_f32_e32 v59, v12, v64
	ds_bpermute_b32 v12, v63, v60 offset:8
	ds_bpermute_b32 v58, v63, v61 offset:12
	s_waitcnt lgkmcnt(2)
	v_sub_f32_e32 v3, v14, v3
	ds_bpermute_b32 v14, v63, v60 offset:12
	v_mul_f32_e32 v3, v6, v3
	s_waitcnt lgkmcnt(2)
	v_mul_f32_e32 v65, v3, v12
	s_waitcnt lgkmcnt(1)
	v_sub_f32_e32 v3, v15, v58
	ds_bpermute_b32 v12, v63, v61 offset:16
	v_mul_f32_e32 v3, v7, v3
	s_waitcnt lgkmcnt(1)
	v_mul_f32_e32 v15, v3, v14
	ds_bpermute_b32 v3, v63, v60 offset:16
	ds_bpermute_b32 v14, v63, v61 offset:20
	s_waitcnt lgkmcnt(2)
	v_sub_f32_e32 v12, v16, v12
	ds_bpermute_b32 v16, v63, v60 offset:20
	v_mul_f32_e32 v12, v8, v12
	s_waitcnt lgkmcnt(2)
	v_mul_f32_e32 v67, v12, v3
	v_mov_b32_e32 v12, v4
	s_waitcnt lgkmcnt(1)
	v_sub_f32_e32 v3, v17, v14
	v_pk_add_f32 v[12:13], v[28:29], v[12:13]
	v_mov_b32_e32 v58, v5
	v_mul_f32_e32 v3, v9, v3
	v_pk_add_f32 v[4:5], v[58:59], v[12:13]
	v_mov_b32_e32 v64, v6
	s_waitcnt lgkmcnt(0)
	v_mul_f32_e32 v17, v3, v16
	v_pk_add_f32 v[4:5], v[64:65], v[4:5]
	v_mov_b32_e32 v14, v7
	ds_bpermute_b32 v3, v63, v61 offset:24
	v_pk_add_f32 v[4:5], v[14:15], v[4:5]
	v_mov_b32_e32 v16, v9
	v_pk_add_f32 v[4:5], v[66:67], v[4:5]
	s_waitcnt lgkmcnt(0)
	v_sub_f32_e32 v8, v18, v3
	v_pk_add_f32 v[6:7], v[16:17], v[4:5]
	ds_bpermute_b32 v5, v63, v60 offset:24
	ds_bpermute_b32 v3, v63, v60 offset:28
	;; [unrolled: 1-line block ×3, first 2 shown]
	v_mul_f32_e32 v8, v10, v8
	s_waitcnt lgkmcnt(2)
	v_mul_f32_e32 v9, v8, v5
	v_mov_b32_e32 v8, v10
	v_pk_add_f32 v[60:61], v[8:9], v[6:7]
.LBB88_4:                               ;   in Loop: Header=BB88_5 Depth=1
	s_waitcnt lgkmcnt(0)
	v_sub_f32_e32 v4, v19, v4
	v_mul_f32_e32 v4, v11, v4
	v_mul_f32_e32 v5, v4, v3
	v_mov_b32_e32 v4, v11
	s_add_u32 s46, s46, s3
	v_pk_add_f32 v[28:29], v[60:61], v[4:5]
	s_addc_u32 s47, s47, 0
	v_mov_b64_e32 v[4:5], s[8:9]
	s_add_u32 s26, s26, s3
	v_cmp_lt_i64_e32 vcc, s[46:47], v[4:5]
	v_lshl_add_u64 v[24:25], v[24:25], 0, s[24:25]
	v_lshl_add_u64 v[26:27], v[26:27], 0, s[24:25]
	;; [unrolled: 1-line block ×16, first 2 shown]
	s_addc_u32 s27, s27, 0
	s_cbranch_vccz .LBB88_49
.LBB88_5:                               ; =>This Inner Loop Header: Depth=1
	v_mov_b64_e32 v[4:5], s[8:9]
	v_cmp_ge_i64_e32 vcc, s[26:27], v[4:5]
	v_lshl_add_u64 v[58:59], v[20:21], 0, s[26:27]
	s_mov_b64 s[48:49], -1
	s_and_b64 vcc, exec, vcc
                                        ; implicit-def: $vgpr4_vgpr5_vgpr6_vgpr7_vgpr8_vgpr9_vgpr10_vgpr11
                                        ; implicit-def: $vgpr60_vgpr61
                                        ; implicit-def: $vgpr3
                                        ; implicit-def: $vgpr12_vgpr13_vgpr14_vgpr15_vgpr16_vgpr17_vgpr18_vgpr19
                                        ; implicit-def: $vgpr4
	s_cbranch_vccz .LBB88_27
; %bb.6:                                ;   in Loop: Header=BB88_5 Depth=1
	s_load_dword s48, s[22:23], 0xc
	v_mov_b32_e32 v60, 0
	v_mov_b32_e32 v61, 0
	s_waitcnt lgkmcnt(0)
	s_and_b32 s48, s48, 0xffff
	v_mad_u32_u24 v3, v62, s48, v1
	v_and_b32_e32 v4, 63, v3
	v_cmp_gt_u32_e32 vcc, 8, v4
	s_and_saveexec_b64 s[48:49], vcc
	s_cbranch_execz .LBB88_10
; %bb.7:                                ;   in Loop: Header=BB88_5 Depth=1
	v_mov_b32_e32 v5, v2
	v_lshl_add_u64 v[4:5], v[58:59], 0, v[4:5]
	v_lshl_add_u64 v[4:5], v[4:5], 0, s[28:29]
	v_cmp_gt_i64_e32 vcc, s[8:9], v[4:5]
	v_mov_b32_e32 v61, 0
	v_mov_b32_e32 v60, 0
	s_and_saveexec_b64 s[50:51], vcc
	s_cbranch_execz .LBB88_9
; %bb.8:                                ;   in Loop: Header=BB88_5 Depth=1
	v_lshlrev_b64 v[4:5], 2, v[4:5]
	v_lshl_add_u64 v[6:7], s[18:19], 0, v[4:5]
	v_lshl_add_u64 v[4:5], s[16:17], 0, v[4:5]
	global_load_dword v61, v[4:5], off
	global_load_dword v60, v[6:7], off
.LBB88_9:                               ;   in Loop: Header=BB88_5 Depth=1
	s_or_b64 exec, exec, s[50:51]
.LBB88_10:                              ;   in Loop: Header=BB88_5 Depth=1
	s_or_b64 exec, exec, s[48:49]
	v_lshl_add_u64 v[4:5], v[58:59], 0, s[28:29]
	v_mov_b32_e32 v8, v2
	v_mov_b32_e32 v9, v2
	v_cmp_gt_i64_e32 vcc, s[8:9], v[4:5]
	v_mov_b32_e32 v3, v2
	v_mov_b32_e32 v4, v2
	;; [unrolled: 1-line block ×5, first 2 shown]
	v_mov_b64_e32 v[18:19], v[8:9]
	v_mov_b64_e32 v[16:17], v[6:7]
	;; [unrolled: 1-line block ×5, first 2 shown]
	s_and_b64 s[50:51], s[6:7], vcc
	v_mov_b64_e32 v[8:9], v[6:7]
	v_mov_b64_e32 v[6:7], v[4:5]
	;; [unrolled: 1-line block ×3, first 2 shown]
	s_and_saveexec_b64 s[48:49], s[50:51]
	s_cbranch_execz .LBB88_12
; %bb.11:                               ;   in Loop: Header=BB88_5 Depth=1
	v_lshl_add_u64 v[4:5], v[24:25], 0, v[22:23]
	global_load_ushort v3, v[4:5], off
	v_lshl_add_u64 v[4:5], v[26:27], 0, v[22:23]
	global_load_ushort v12, v[4:5], off
	v_mov_b32_e32 v5, v2
	v_mov_b32_e32 v6, v2
	;; [unrolled: 1-line block ×14, first 2 shown]
	s_waitcnt vmcnt(1)
	v_cvt_f32_f16_e32 v4, v3
	s_waitcnt vmcnt(0)
	v_cvt_f32_f16_e32 v12, v12
.LBB88_12:                              ;   in Loop: Header=BB88_5 Depth=1
	s_or_b64 exec, exec, s[48:49]
	v_lshl_add_u64 v[64:65], v[58:59], 0, s[30:31]
	v_cmp_gt_i64_e32 vcc, s[8:9], v[64:65]
	s_and_b64 s[50:51], s[6:7], vcc
	s_and_saveexec_b64 s[48:49], s[50:51]
	s_cbranch_execz .LBB88_14
; %bb.13:                               ;   in Loop: Header=BB88_5 Depth=1
	v_lshl_add_u64 v[64:65], v[54:55], 0, v[22:23]
	global_load_ushort v3, v[64:65], off
	v_lshl_add_u64 v[64:65], v[56:57], 0, v[22:23]
	global_load_ushort v13, v[64:65], off
	s_waitcnt vmcnt(1)
	v_cvt_f32_f16_e32 v5, v3
	s_waitcnt vmcnt(0)
	v_cvt_f32_f16_e32 v13, v13
.LBB88_14:                              ;   in Loop: Header=BB88_5 Depth=1
	s_or_b64 exec, exec, s[48:49]
	v_lshl_add_u64 v[64:65], v[58:59], 0, s[34:35]
	v_cmp_gt_i64_e32 vcc, s[8:9], v[64:65]
	s_and_b64 s[50:51], s[6:7], vcc
	s_and_saveexec_b64 s[48:49], s[50:51]
	s_cbranch_execz .LBB88_16
; %bb.15:                               ;   in Loop: Header=BB88_5 Depth=1
	v_lshl_add_u64 v[64:65], v[50:51], 0, v[22:23]
	global_load_ushort v3, v[64:65], off
	v_lshl_add_u64 v[64:65], v[52:53], 0, v[22:23]
	global_load_ushort v14, v[64:65], off
	s_waitcnt vmcnt(1)
	v_cvt_f32_f16_e32 v6, v3
	s_waitcnt vmcnt(0)
	v_cvt_f32_f16_e32 v14, v14
.LBB88_16:                              ;   in Loop: Header=BB88_5 Depth=1
	;; [unrolled: 16-line block ×7, first 2 shown]
	s_or_b64 exec, exec, s[48:49]
	s_waitcnt vmcnt(1)
	ds_bpermute_b32 v3, v63, v61
	ds_bpermute_b32 v64, v63, v61 offset:4
	s_waitcnt vmcnt(0)
	ds_bpermute_b32 v65, v63, v60
	ds_bpermute_b32 v66, v63, v60 offset:4
	v_mov_b32_e32 v68, v8
	s_waitcnt lgkmcnt(3)
	v_sub_f32_e32 v3, v12, v3
	v_mul_f32_e32 v3, v4, v3
	s_waitcnt lgkmcnt(2)
	v_sub_f32_e32 v12, v13, v64
	s_waitcnt lgkmcnt(1)
	v_mul_f32_e32 v13, v3, v65
	ds_bpermute_b32 v3, v63, v61 offset:8
	v_mul_f32_e32 v12, v5, v12
	s_waitcnt lgkmcnt(1)
	v_mul_f32_e32 v65, v12, v66
	ds_bpermute_b32 v12, v63, v60 offset:8
	ds_bpermute_b32 v64, v63, v61 offset:12
	s_waitcnt lgkmcnt(2)
	v_sub_f32_e32 v3, v14, v3
	ds_bpermute_b32 v14, v63, v60 offset:12
	v_mul_f32_e32 v3, v6, v3
	s_waitcnt lgkmcnt(2)
	v_mul_f32_e32 v67, v3, v12
	ds_bpermute_b32 v12, v63, v61 offset:16
	s_waitcnt lgkmcnt(2)
	v_sub_f32_e32 v3, v15, v64
	v_mul_f32_e32 v3, v7, v3
	s_waitcnt lgkmcnt(1)
	v_mul_f32_e32 v15, v3, v14
	ds_bpermute_b32 v3, v63, v60 offset:16
	ds_bpermute_b32 v14, v63, v61 offset:20
	s_waitcnt lgkmcnt(2)
	v_sub_f32_e32 v12, v16, v12
	ds_bpermute_b32 v16, v63, v60 offset:20
	v_mul_f32_e32 v12, v8, v12
	s_waitcnt lgkmcnt(2)
	v_mul_f32_e32 v69, v12, v3
	s_waitcnt lgkmcnt(1)
	v_sub_f32_e32 v3, v17, v14
	v_mov_b32_e32 v12, v4
	v_mul_f32_e32 v3, v9, v3
	v_pk_add_f32 v[12:13], v[28:29], v[12:13]
	v_mov_b32_e32 v64, v5
	s_waitcnt lgkmcnt(0)
	v_mul_f32_e32 v17, v3, v16
	v_pk_add_f32 v[4:5], v[64:65], v[12:13]
	v_mov_b32_e32 v66, v6
	ds_bpermute_b32 v3, v63, v61 offset:24
	v_pk_add_f32 v[4:5], v[66:67], v[4:5]
	v_mov_b32_e32 v14, v7
	v_pk_add_f32 v[4:5], v[14:15], v[4:5]
	v_mov_b32_e32 v16, v9
	v_pk_add_f32 v[4:5], v[68:69], v[4:5]
	s_waitcnt lgkmcnt(0)
	v_sub_f32_e32 v3, v18, v3
	v_pk_add_f32 v[6:7], v[16:17], v[4:5]
	ds_bpermute_b32 v5, v63, v60 offset:24
	v_mul_f32_e32 v8, v10, v3
	ds_bpermute_b32 v3, v63, v60 offset:28
	ds_bpermute_b32 v4, v63, v61 offset:28
	s_mov_b64 s[48:49], 0
	s_waitcnt lgkmcnt(2)
	v_mul_f32_e32 v9, v8, v5
	v_mov_b32_e32 v8, v10
	v_pk_add_f32 v[60:61], v[8:9], v[6:7]
.LBB88_27:                              ;   in Loop: Header=BB88_5 Depth=1
	s_and_b64 vcc, exec, s[48:49]
	s_cbranch_vccz .LBB88_4
; %bb.28:                               ;   in Loop: Header=BB88_5 Depth=1
	s_load_dword s48, s[22:23], 0x0
	v_mov_b32_e32 v60, 0
	v_mov_b32_e32 v61, 0
	s_waitcnt lgkmcnt(0)
	s_cmp_lt_u32 s2, s48
	s_cselect_b32 s48, 12, 18
	s_add_u32 s48, s22, s48
	s_addc_u32 s49, s23, 0
	global_load_ushort v3, v2, s[48:49]
	s_waitcnt vmcnt(0)
	v_mad_u32_u24 v3, v62, v3, v1
	v_and_b32_e32 v4, 63, v3
	v_cmp_gt_u32_e32 vcc, 8, v4
	s_and_saveexec_b64 s[48:49], vcc
	s_cbranch_execz .LBB88_32
; %bb.29:                               ;   in Loop: Header=BB88_5 Depth=1
	v_mov_b32_e32 v5, v2
	v_lshl_add_u64 v[4:5], v[58:59], 0, v[4:5]
	v_lshl_add_u64 v[4:5], v[4:5], 0, s[28:29]
	v_cmp_gt_i64_e32 vcc, s[8:9], v[4:5]
	v_mov_b32_e32 v61, 0
	v_mov_b32_e32 v60, 0
	s_and_saveexec_b64 s[50:51], vcc
	s_cbranch_execz .LBB88_31
; %bb.30:                               ;   in Loop: Header=BB88_5 Depth=1
	v_lshlrev_b64 v[4:5], 2, v[4:5]
	v_lshl_add_u64 v[6:7], s[18:19], 0, v[4:5]
	v_lshl_add_u64 v[4:5], s[16:17], 0, v[4:5]
	global_load_dword v61, v[4:5], off
	global_load_dword v60, v[6:7], off
.LBB88_31:                              ;   in Loop: Header=BB88_5 Depth=1
	s_or_b64 exec, exec, s[50:51]
.LBB88_32:                              ;   in Loop: Header=BB88_5 Depth=1
	s_or_b64 exec, exec, s[48:49]
	v_mov_b32_e32 v8, v2
	v_mov_b32_e32 v9, v2
	;; [unrolled: 1-line block ×7, first 2 shown]
	v_mov_b64_e32 v[18:19], v[8:9]
	v_mov_b64_e32 v[16:17], v[6:7]
	;; [unrolled: 1-line block ×8, first 2 shown]
	s_and_saveexec_b64 s[48:49], s[6:7]
	s_cbranch_execnz .LBB88_40
; %bb.33:                               ;   in Loop: Header=BB88_5 Depth=1
	s_or_b64 exec, exec, s[48:49]
	s_and_saveexec_b64 s[48:49], s[6:7]
	s_cbranch_execnz .LBB88_41
.LBB88_34:                              ;   in Loop: Header=BB88_5 Depth=1
	s_or_b64 exec, exec, s[48:49]
	s_and_saveexec_b64 s[48:49], s[6:7]
	s_cbranch_execnz .LBB88_42
.LBB88_35:                              ;   in Loop: Header=BB88_5 Depth=1
	s_or_b64 exec, exec, s[48:49]
	s_and_saveexec_b64 s[48:49], s[6:7]
	s_cbranch_execnz .LBB88_43
.LBB88_36:                              ;   in Loop: Header=BB88_5 Depth=1
	s_or_b64 exec, exec, s[48:49]
	s_and_saveexec_b64 s[48:49], s[6:7]
	s_cbranch_execnz .LBB88_44
.LBB88_37:                              ;   in Loop: Header=BB88_5 Depth=1
	s_or_b64 exec, exec, s[48:49]
	s_and_saveexec_b64 s[48:49], s[6:7]
	s_cbranch_execnz .LBB88_45
.LBB88_38:                              ;   in Loop: Header=BB88_5 Depth=1
	s_or_b64 exec, exec, s[48:49]
	s_and_saveexec_b64 s[48:49], s[6:7]
	s_cbranch_execnz .LBB88_46
.LBB88_39:                              ;   in Loop: Header=BB88_5 Depth=1
	s_or_b64 exec, exec, s[48:49]
	s_and_saveexec_b64 s[48:49], s[6:7]
	s_cbranch_execz .LBB88_3
	s_branch .LBB88_47
.LBB88_40:                              ;   in Loop: Header=BB88_5 Depth=1
	v_lshl_add_u64 v[4:5], v[24:25], 0, v[22:23]
	global_load_ushort v3, v[4:5], off
	v_lshl_add_u64 v[4:5], v[26:27], 0, v[22:23]
	global_load_ushort v12, v[4:5], off
	v_mov_b32_e32 v5, v2
	v_mov_b32_e32 v6, v2
	;; [unrolled: 1-line block ×14, first 2 shown]
	s_waitcnt vmcnt(1)
	v_cvt_f32_f16_e32 v4, v3
	s_waitcnt vmcnt(0)
	v_cvt_f32_f16_e32 v12, v12
	s_or_b64 exec, exec, s[48:49]
	s_and_saveexec_b64 s[48:49], s[6:7]
	s_cbranch_execz .LBB88_34
.LBB88_41:                              ;   in Loop: Header=BB88_5 Depth=1
	v_lshl_add_u64 v[58:59], v[54:55], 0, v[22:23]
	global_load_ushort v3, v[58:59], off
	v_lshl_add_u64 v[58:59], v[56:57], 0, v[22:23]
	global_load_ushort v13, v[58:59], off
	s_waitcnt vmcnt(1)
	v_cvt_f32_f16_e32 v5, v3
	s_waitcnt vmcnt(0)
	v_cvt_f32_f16_e32 v13, v13
	s_or_b64 exec, exec, s[48:49]
	s_and_saveexec_b64 s[48:49], s[6:7]
	s_cbranch_execz .LBB88_35
.LBB88_42:                              ;   in Loop: Header=BB88_5 Depth=1
	v_lshl_add_u64 v[58:59], v[50:51], 0, v[22:23]
	global_load_ushort v3, v[58:59], off
	v_lshl_add_u64 v[58:59], v[52:53], 0, v[22:23]
	global_load_ushort v14, v[58:59], off
	s_waitcnt vmcnt(1)
	v_cvt_f32_f16_e32 v6, v3
	s_waitcnt vmcnt(0)
	v_cvt_f32_f16_e32 v14, v14
	s_or_b64 exec, exec, s[48:49]
	s_and_saveexec_b64 s[48:49], s[6:7]
	s_cbranch_execz .LBB88_36
.LBB88_43:                              ;   in Loop: Header=BB88_5 Depth=1
	v_lshl_add_u64 v[58:59], v[46:47], 0, v[22:23]
	global_load_ushort v3, v[58:59], off
	v_lshl_add_u64 v[58:59], v[48:49], 0, v[22:23]
	global_load_ushort v15, v[58:59], off
	s_waitcnt vmcnt(1)
	v_cvt_f32_f16_e32 v7, v3
	s_waitcnt vmcnt(0)
	v_cvt_f32_f16_e32 v15, v15
	s_or_b64 exec, exec, s[48:49]
	s_and_saveexec_b64 s[48:49], s[6:7]
	s_cbranch_execz .LBB88_37
.LBB88_44:                              ;   in Loop: Header=BB88_5 Depth=1
	v_lshl_add_u64 v[58:59], v[42:43], 0, v[22:23]
	global_load_ushort v3, v[58:59], off
	v_lshl_add_u64 v[58:59], v[44:45], 0, v[22:23]
	global_load_ushort v16, v[58:59], off
	s_waitcnt vmcnt(1)
	v_cvt_f32_f16_e32 v8, v3
	s_waitcnt vmcnt(0)
	v_cvt_f32_f16_e32 v16, v16
	s_or_b64 exec, exec, s[48:49]
	s_and_saveexec_b64 s[48:49], s[6:7]
	s_cbranch_execz .LBB88_38
.LBB88_45:                              ;   in Loop: Header=BB88_5 Depth=1
	v_lshl_add_u64 v[58:59], v[38:39], 0, v[22:23]
	global_load_ushort v3, v[58:59], off
	v_lshl_add_u64 v[58:59], v[40:41], 0, v[22:23]
	global_load_ushort v17, v[58:59], off
	s_waitcnt vmcnt(1)
	v_cvt_f32_f16_e32 v9, v3
	s_waitcnt vmcnt(0)
	v_cvt_f32_f16_e32 v17, v17
	s_or_b64 exec, exec, s[48:49]
	s_and_saveexec_b64 s[48:49], s[6:7]
	s_cbranch_execz .LBB88_39
.LBB88_46:                              ;   in Loop: Header=BB88_5 Depth=1
	v_lshl_add_u64 v[58:59], v[34:35], 0, v[22:23]
	global_load_ushort v3, v[58:59], off
	v_lshl_add_u64 v[58:59], v[36:37], 0, v[22:23]
	global_load_ushort v18, v[58:59], off
	s_waitcnt vmcnt(1)
	v_cvt_f32_f16_e32 v10, v3
	s_waitcnt vmcnt(0)
	v_cvt_f32_f16_e32 v18, v18
	s_or_b64 exec, exec, s[48:49]
	s_and_saveexec_b64 s[48:49], s[6:7]
	s_cbranch_execz .LBB88_3
.LBB88_47:                              ;   in Loop: Header=BB88_5 Depth=1
	v_lshl_add_u64 v[58:59], v[30:31], 0, v[22:23]
	global_load_ushort v3, v[58:59], off
	v_lshl_add_u64 v[58:59], v[32:33], 0, v[22:23]
	global_load_ushort v19, v[58:59], off
	s_waitcnt vmcnt(1)
	v_cvt_f32_f16_e32 v11, v3
	s_waitcnt vmcnt(0)
	v_cvt_f32_f16_e32 v19, v19
	s_branch .LBB88_3
.LBB88_48:
                                        ; implicit-def: $vgpr29
	s_branch .LBB88_50
.LBB88_49:
	s_cbranch_execnz .LBB88_81
.LBB88_50:
	v_mov_b32_e32 v29, 0
	s_and_b64 vcc, exec, s[4:5]
	v_mov_b32_e32 v28, v29
	s_cbranch_vccnz .LBB88_81
; %bb.51:
	v_mov_b32_e32 v2, 0
	v_bfe_u32 v90, v0, 10, 10
	v_lshlrev_b32_e32 v6, 4, v90
	v_mov_b32_e32 v7, v2
	v_lshl_add_u64 v[6:7], s[20:21], 1, v[6:7]
	v_lshl_add_u64 v[8:9], v[6:7], 0, 2
	v_mov_b64_e32 v[10:11], s[12:13]
	v_lshl_add_u64 v[12:13], v[6:7], 0, 4
	v_lshl_add_u64 v[14:15], v[6:7], 0, 6
	;; [unrolled: 1-line block ×6, first 2 shown]
	v_mad_u64_u32 v[22:23], s[4:5], s10, v8, v[10:11]
	v_mad_u64_u32 v[24:25], s[4:5], s10, v12, v[10:11]
	;; [unrolled: 1-line block ×7, first 2 shown]
	v_mov_b64_e32 v[10:11], s[14:15]
	v_mul_lo_u32 v9, s10, v9
	v_mul_lo_u32 v40, s11, v8
	v_mad_u64_u32 v[38:39], s[4:5], s10, v8, v[10:11]
	v_add3_u32 v23, v40, v23, v9
	v_mul_lo_u32 v13, s10, v13
	v_mul_lo_u32 v42, s11, v12
	v_add3_u32 v39, v40, v39, v9
	v_mad_u64_u32 v[40:41], s[4:5], s10, v12, v[10:11]
	v_add3_u32 v25, v42, v25, v13
	v_mul_lo_u32 v15, s10, v15
	v_mul_lo_u32 v44, s11, v14
	v_add3_u32 v41, v42, v41, v13
	;; [unrolled: 5-line block ×4, first 2 shown]
	v_mad_u64_u32 v[46:47], s[4:5], s10, v18, v[10:11]
	v_lshlrev_b32_e32 v20, 3, v90
	v_mov_b32_e32 v21, v2
	v_add3_u32 v33, v48, v33, v19
	v_mul_lo_u32 v29, s10, v29
	v_mul_lo_u32 v50, s11, v28
	v_add3_u32 v47, v48, v47, v19
	v_mad_u64_u32 v[48:49], s[4:5], s10, v28, v[10:11]
	v_lshl_add_u64 v[4:5], v[20:21], 0, s[20:21]
	v_add3_u32 v35, v50, v35, v29
	v_mul_lo_u32 v7, s10, v7
	v_mul_lo_u32 v8, s11, v6
	v_add3_u32 v49, v50, v49, v29
	v_mad_u64_u32 v[50:51], s[4:5], s10, v6, v[10:11]
	v_add3_u32 v37, v8, v37, v7
	v_add3_u32 v51, v8, v51, v7
	v_lshl_add_u64 v[6:7], v[4:5], 0, 7
	v_mul_lo_u32 v8, s11, v6
	v_mul_lo_u32 v9, s10, v7
	v_mad_u64_u32 v[6:7], s[4:5], s10, v6, 0
	v_add3_u32 v7, v7, v9, v8
	v_lshl_add_u64 v[8:9], v[4:5], 0, 6
	v_mul_lo_u32 v10, s11, v8
	v_mul_lo_u32 v11, s10, v9
	v_mad_u64_u32 v[8:9], s[4:5], s10, v8, 0
	v_add3_u32 v9, v9, v11, v10
	v_lshl_add_u64 v[10:11], v[4:5], 0, 5
	v_mul_lo_u32 v12, s11, v10
	v_mul_lo_u32 v13, s10, v11
	v_mad_u64_u32 v[10:11], s[4:5], s10, v10, 0
	v_add3_u32 v11, v11, v13, v12
	v_lshl_add_u64 v[12:13], v[4:5], 0, 4
	v_mul_lo_u32 v14, s11, v12
	v_mul_lo_u32 v15, s10, v13
	v_mad_u64_u32 v[12:13], s[4:5], s10, v12, 0
	v_add3_u32 v13, v13, v15, v14
	v_lshl_add_u64 v[14:15], v[4:5], 0, 3
	v_mul_lo_u32 v16, s11, v14
	v_mul_lo_u32 v17, s10, v15
	v_mad_u64_u32 v[14:15], s[4:5], s10, v14, 0
	v_add3_u32 v15, v15, v17, v16
	v_lshl_add_u64 v[16:17], v[4:5], 0, 2
	v_mul_lo_u32 v52, s10, v5
	v_mul_lo_u32 v5, s11, v16
	;; [unrolled: 1-line block ×3, first 2 shown]
	v_mad_u64_u32 v[16:17], s[4:5], s10, v16, 0
	v_add3_u32 v17, v17, v18, v5
	v_mov_b64_e32 v[18:19], s[10:11]
	v_mul_lo_u32 v3, s11, v4
	v_mad_u64_u32 v[18:19], s[4:5], s10, v4, v[18:19]
	v_mad_u64_u32 v[4:5], s[4:5], s10, v4, 0
	s_load_dword s3, s[0:1], 0x44
	v_add3_u32 v5, v5, v52, v3
	v_lshlrev_b64 v[4:5], 1, v[4:5]
	v_lshl_add_u64 v[54:55], s[12:13], 0, v[4:5]
	v_lshl_add_u64 v[56:57], s[14:15], 0, v[4:5]
	v_lshlrev_b64 v[4:5], 1, v[6:7]
	v_lshl_add_u64 v[58:59], s[12:13], 0, v[4:5]
	v_lshl_add_u64 v[60:61], s[14:15], 0, v[4:5]
	v_lshlrev_b64 v[4:5], 1, v[8:9]
	s_add_u32 s4, s0, 64
	v_lshl_add_u64 v[62:63], s[12:13], 0, v[4:5]
	v_lshl_add_u64 v[64:65], s[14:15], 0, v[4:5]
	v_lshlrev_b64 v[4:5], 1, v[10:11]
	s_addc_u32 s5, s1, 0
	s_waitcnt lgkmcnt(0)
	s_lshl_b32 s3, s3, 6
	v_lshl_add_u64 v[66:67], s[12:13], 0, v[4:5]
	v_lshl_add_u64 v[68:69], s[14:15], 0, v[4:5]
	v_lshlrev_b64 v[4:5], 1, v[12:13]
	s_mul_i32 s6, s11, s3
	s_mul_hi_u32 s7, s10, s3
	v_lshl_add_u64 v[70:71], s[12:13], 0, v[4:5]
	v_lshl_add_u64 v[72:73], s[14:15], 0, v[4:5]
	v_lshlrev_b64 v[4:5], 1, v[14:15]
	v_add3_u32 v19, v3, v19, v52
	s_add_i32 s7, s7, s6
	s_mul_i32 s6, s10, s3
	v_lshl_add_u64 v[74:75], s[12:13], 0, v[4:5]
	v_lshl_add_u64 v[76:77], s[14:15], 0, v[4:5]
	v_lshlrev_b64 v[4:5], 1, v[16:17]
	v_mbcnt_lo_u32_b32 v3, -1, 0
	v_and_b32_e32 v1, 0x3ff, v0
	s_lshl_b64 s[6:7], s[6:7], 1
	v_lshl_add_u64 v[78:79], s[12:13], 0, v[4:5]
	v_lshl_add_u64 v[80:81], s[14:15], 0, v[4:5]
	v_lshlrev_b64 v[4:5], 1, v[18:19]
	v_mbcnt_hi_u32_b32 v3, -1, v3
	v_add_u32_e32 v28, s33, v1
	v_mov_b32_e32 v29, v2
	s_add_u32 s22, s20, 63
	v_lshl_add_u64 v[82:83], s[12:13], 0, v[4:5]
	v_lshl_add_u64 v[84:85], s[14:15], 0, v[4:5]
	s_movk_i32 s12, 0xffc1
	s_movk_i32 s14, 0xffc2
	;; [unrolled: 1-line block ×8, first 2 shown]
	v_lshlrev_b32_e32 v3, 2, v3
	v_lshlrev_b64 v[52:53], 1, v[28:29]
	s_addc_u32 s23, 0, 0
	s_mov_b32 s13, -1
	s_mov_b32 s15, -1
	;; [unrolled: 1-line block ×8, first 2 shown]
	v_and_b32_e32 v91, 0x100, v3
	v_mov_b32_e32 v28, 0
	s_branch .LBB88_55
.LBB88_52:                              ;   in Loop: Header=BB88_55 Depth=1
	s_or_b64 exec, exec, s[40:41]
.LBB88_53:                              ;   in Loop: Header=BB88_55 Depth=1
	s_or_b64 exec, exec, s[38:39]
	v_lshl_add_u64 v[4:5], v[54:55], 0, v[52:53]
	global_load_ushort v7, v[4:5], off
	v_lshl_add_u64 v[4:5], v[56:57], 0, v[52:53]
	global_load_ushort v8, v[4:5], off
	;; [unrolled: 2-line block ×16, first 2 shown]
	s_waitcnt vmcnt(17)
	ds_bpermute_b32 v89, v91, v6
	ds_bpermute_b32 v93, v91, v6 offset:4
	ds_bpermute_b32 v104, v91, v6 offset:28
	s_waitcnt vmcnt(16)
	ds_bpermute_b32 v88, v91, v3
	ds_bpermute_b32 v95, v91, v6 offset:8
	ds_bpermute_b32 v97, v91, v6 offset:12
	;; [unrolled: 1-line block ×12, first 2 shown]
	s_waitcnt vmcnt(15)
	v_cvt_f32_f16_e32 v4, v7
	s_waitcnt vmcnt(14)
	v_cvt_f32_f16_e32 v7, v8
	s_waitcnt vmcnt(13)
	v_cvt_f32_f16_e32 v6, v9
	s_waitcnt vmcnt(12)
	v_cvt_f32_f16_e32 v9, v10
	s_waitcnt lgkmcnt(14)
	v_sub_f32_e32 v7, v7, v89
	s_waitcnt vmcnt(11)
	v_cvt_f32_f16_e32 v8, v11
	v_mul_f32_e32 v7, v7, v4
	s_waitcnt vmcnt(10)
	v_cvt_f32_f16_e32 v11, v12
	v_sub_f32_e32 v9, v9, v93
	s_waitcnt vmcnt(9)
	v_cvt_f32_f16_e32 v10, v13
	v_mul_f32_e32 v9, v9, v6
	s_waitcnt vmcnt(8)
	v_cvt_f32_f16_e32 v13, v14
	s_waitcnt lgkmcnt(11)
	v_sub_f32_e32 v11, v11, v95
	s_waitcnt vmcnt(7)
	v_cvt_f32_f16_e32 v12, v15
	v_mul_f32_e32 v11, v11, v8
	s_waitcnt vmcnt(6)
	v_cvt_f32_f16_e32 v15, v16
	s_waitcnt lgkmcnt(10)
	;; [unrolled: 7-line block ×5, first 2 shown]
	v_sub_f32_e32 v19, v19, v103
	v_mul_f32_e32 v19, v19, v16
	v_sub_f32_e32 v5, v5, v104
	v_mul_f32_e32 v28, v5, v18
	v_mul_f32_e32 v5, v7, v88
	s_waitcnt lgkmcnt(6)
	v_mul_f32_e32 v7, v9, v92
	v_pk_add_f32 v[4:5], v[86:87], v[4:5]
	s_waitcnt lgkmcnt(5)
	v_mul_f32_e32 v9, v11, v94
	v_pk_add_f32 v[4:5], v[4:5], v[6:7]
	;; [unrolled: 3-line block ×7, first 2 shown]
	s_nop 0
	v_pk_add_f32 v[28:29], v[4:5], v[18:19]
.LBB88_54:                              ;   in Loop: Header=BB88_55 Depth=1
	s_add_u32 s20, s20, s3
	s_addc_u32 s21, s21, 0
	v_mov_b64_e32 v[4:5], s[8:9]
	s_add_u32 s22, s22, s3
	v_cmp_ge_i64_e32 vcc, s[20:21], v[4:5]
	v_lshl_add_u64 v[54:55], v[54:55], 0, s[6:7]
	v_lshl_add_u64 v[56:57], v[56:57], 0, s[6:7]
	s_addc_u32 s23, s23, 0
	v_lshl_add_u64 v[22:23], v[22:23], 0, s[6:7]
	v_lshl_add_u64 v[24:25], v[24:25], 0, s[6:7]
	v_lshl_add_u64 v[26:27], v[26:27], 0, s[6:7]
	v_lshl_add_u64 v[30:31], v[30:31], 0, s[6:7]
	v_lshl_add_u64 v[32:33], v[32:33], 0, s[6:7]
	v_lshl_add_u64 v[34:35], v[34:35], 0, s[6:7]
	v_lshl_add_u64 v[36:37], v[36:37], 0, s[6:7]
	v_lshl_add_u64 v[38:39], v[38:39], 0, s[6:7]
	v_lshl_add_u64 v[40:41], v[40:41], 0, s[6:7]
	v_lshl_add_u64 v[42:43], v[42:43], 0, s[6:7]
	v_lshl_add_u64 v[44:45], v[44:45], 0, s[6:7]
	v_lshl_add_u64 v[46:47], v[46:47], 0, s[6:7]
	v_lshl_add_u64 v[48:49], v[48:49], 0, s[6:7]
	v_lshl_add_u64 v[50:51], v[50:51], 0, s[6:7]
	v_lshl_add_u64 v[58:59], v[58:59], 0, s[6:7]
	v_lshl_add_u64 v[60:61], v[60:61], 0, s[6:7]
	v_lshl_add_u64 v[62:63], v[62:63], 0, s[6:7]
	v_lshl_add_u64 v[64:65], v[64:65], 0, s[6:7]
	v_lshl_add_u64 v[66:67], v[66:67], 0, s[6:7]
	v_lshl_add_u64 v[68:69], v[68:69], 0, s[6:7]
	v_lshl_add_u64 v[70:71], v[70:71], 0, s[6:7]
	v_lshl_add_u64 v[72:73], v[72:73], 0, s[6:7]
	v_lshl_add_u64 v[74:75], v[74:75], 0, s[6:7]
	v_lshl_add_u64 v[76:77], v[76:77], 0, s[6:7]
	v_lshl_add_u64 v[78:79], v[78:79], 0, s[6:7]
	v_lshl_add_u64 v[80:81], v[80:81], 0, s[6:7]
	v_lshl_add_u64 v[82:83], v[82:83], 0, s[6:7]
	v_lshl_add_u64 v[84:85], v[84:85], 0, s[6:7]
	s_cbranch_vccnz .LBB88_81
.LBB88_55:                              ; =>This Inner Loop Header: Depth=1
	v_mov_b64_e32 v[4:5], s[8:9]
	v_cmp_ge_i64_e32 vcc, s[22:23], v[4:5]
	v_mov_b32_e32 v86, v28
	v_mov_b32_e32 v87, v29
	v_lshl_add_u64 v[88:89], v[20:21], 0, s[22:23]
	s_mov_b64 s[38:39], -1
                                        ; implicit-def: $vgpr29
	s_cbranch_vccz .LBB88_77
; %bb.56:                               ;   in Loop: Header=BB88_55 Depth=1
	s_load_dword s33, s[4:5], 0xc
	v_mov_b32_e32 v28, 0
	v_mov_b32_e32 v29, 0
	s_waitcnt lgkmcnt(0)
	s_and_b32 s33, s33, 0xffff
	v_mad_u32_u24 v3, v90, s33, v1
	v_and_b32_e32 v4, 63, v3
	v_cmp_gt_u32_e32 vcc, 8, v4
	s_and_saveexec_b64 s[38:39], vcc
	s_cbranch_execz .LBB88_60
; %bb.57:                               ;   in Loop: Header=BB88_55 Depth=1
	v_mov_b32_e32 v5, v2
	v_lshl_add_u64 v[4:5], v[88:89], 0, v[4:5]
	v_lshl_add_u64 v[4:5], v[4:5], 0, s[12:13]
	v_cmp_gt_i64_e32 vcc, s[8:9], v[4:5]
	v_mov_b32_e32 v29, 0
	v_mov_b32_e32 v28, 0
	s_and_saveexec_b64 s[40:41], vcc
	s_cbranch_execz .LBB88_59
; %bb.58:                               ;   in Loop: Header=BB88_55 Depth=1
	v_lshlrev_b64 v[4:5], 2, v[4:5]
	v_lshl_add_u64 v[6:7], s[18:19], 0, v[4:5]
	v_lshl_add_u64 v[4:5], s[16:17], 0, v[4:5]
	global_load_dword v29, v[4:5], off
	global_load_dword v28, v[6:7], off
.LBB88_59:                              ;   in Loop: Header=BB88_55 Depth=1
	s_or_b64 exec, exec, s[40:41]
.LBB88_60:                              ;   in Loop: Header=BB88_55 Depth=1
	s_or_b64 exec, exec, s[38:39]
	v_lshl_add_u64 v[4:5], v[88:89], 0, s[12:13]
	v_mov_b32_e32 v8, v2
	v_mov_b32_e32 v9, v2
	v_cmp_gt_i64_e32 vcc, s[8:9], v[4:5]
	v_mov_b32_e32 v3, v2
	v_mov_b32_e32 v4, v2
	;; [unrolled: 1-line block ×5, first 2 shown]
	v_mov_b64_e32 v[18:19], v[8:9]
	v_mov_b64_e32 v[16:17], v[6:7]
	;; [unrolled: 1-line block ×8, first 2 shown]
	s_and_saveexec_b64 s[38:39], vcc
	s_cbranch_execz .LBB88_62
; %bb.61:                               ;   in Loop: Header=BB88_55 Depth=1
	v_lshl_add_u64 v[4:5], v[54:55], 0, v[52:53]
	global_load_ushort v3, v[4:5], off
	v_lshl_add_u64 v[4:5], v[56:57], 0, v[52:53]
	global_load_ushort v12, v[4:5], off
	v_mov_b32_e32 v5, v2
	v_mov_b32_e32 v6, v2
	;; [unrolled: 1-line block ×14, first 2 shown]
	s_waitcnt vmcnt(1)
	v_cvt_f32_f16_e32 v4, v3
	s_waitcnt vmcnt(0)
	v_cvt_f32_f16_e32 v12, v12
.LBB88_62:                              ;   in Loop: Header=BB88_55 Depth=1
	s_or_b64 exec, exec, s[38:39]
	v_lshl_add_u64 v[92:93], v[88:89], 0, s[14:15]
	v_cmp_gt_i64_e32 vcc, s[8:9], v[92:93]
	s_and_saveexec_b64 s[38:39], vcc
	s_cbranch_execz .LBB88_64
; %bb.63:                               ;   in Loop: Header=BB88_55 Depth=1
	v_lshl_add_u64 v[92:93], v[82:83], 0, v[52:53]
	global_load_ushort v3, v[92:93], off
	v_lshl_add_u64 v[92:93], v[84:85], 0, v[52:53]
	global_load_ushort v13, v[92:93], off
	s_waitcnt vmcnt(1)
	v_cvt_f32_f16_e32 v5, v3
	s_waitcnt vmcnt(0)
	v_cvt_f32_f16_e32 v13, v13
.LBB88_64:                              ;   in Loop: Header=BB88_55 Depth=1
	s_or_b64 exec, exec, s[38:39]
	v_lshl_add_u64 v[92:93], v[88:89], 0, s[24:25]
	v_cmp_gt_i64_e32 vcc, s[8:9], v[92:93]
	s_and_saveexec_b64 s[38:39], vcc
	s_cbranch_execz .LBB88_66
; %bb.65:                               ;   in Loop: Header=BB88_55 Depth=1
	v_lshl_add_u64 v[92:93], v[78:79], 0, v[52:53]
	global_load_ushort v3, v[92:93], off
	v_lshl_add_u64 v[92:93], v[80:81], 0, v[52:53]
	global_load_ushort v14, v[92:93], off
	s_waitcnt vmcnt(1)
	v_cvt_f32_f16_e32 v6, v3
	s_waitcnt vmcnt(0)
	v_cvt_f32_f16_e32 v14, v14
.LBB88_66:                              ;   in Loop: Header=BB88_55 Depth=1
	;; [unrolled: 15-line block ×7, first 2 shown]
	s_or_b64 exec, exec, s[38:39]
	s_waitcnt vmcnt(1)
	ds_bpermute_b32 v3, v91, v29
	s_waitcnt vmcnt(0)
	ds_bpermute_b32 v92, v91, v28
	ds_bpermute_b32 v95, v91, v29 offset:4
	ds_bpermute_b32 v94, v91, v28 offset:4
	;; [unrolled: 1-line block ×3, first 2 shown]
	s_waitcnt lgkmcnt(4)
	v_sub_f32_e32 v3, v12, v3
	v_mul_f32_e32 v3, v4, v3
	ds_bpermute_b32 v12, v91, v28 offset:8
	s_waitcnt lgkmcnt(4)
	v_mul_f32_e32 v93, v3, v92
	s_waitcnt lgkmcnt(3)
	v_sub_f32_e32 v3, v13, v95
	v_mul_f32_e32 v3, v5, v3
	s_waitcnt lgkmcnt(2)
	v_mul_f32_e32 v13, v3, v94
	s_waitcnt lgkmcnt(1)
	v_sub_f32_e32 v3, v14, v96
	ds_bpermute_b32 v14, v91, v29 offset:12
	v_mul_f32_e32 v3, v6, v3
	s_waitcnt lgkmcnt(1)
	v_mul_f32_e32 v95, v3, v12
	ds_bpermute_b32 v3, v91, v28 offset:12
	ds_bpermute_b32 v12, v91, v29 offset:16
	;; [unrolled: 1-line block ×3, first 2 shown]
	s_waitcnt lgkmcnt(3)
	v_sub_f32_e32 v14, v15, v14
	v_mul_f32_e32 v14, v7, v14
	s_waitcnt lgkmcnt(2)
	v_mul_f32_e32 v15, v14, v3
	s_waitcnt lgkmcnt(1)
	v_sub_f32_e32 v3, v16, v12
	ds_bpermute_b32 v12, v91, v29 offset:20
	v_mul_f32_e32 v3, v8, v3
	s_waitcnt lgkmcnt(1)
	v_mul_f32_e32 v97, v3, v92
	ds_bpermute_b32 v3, v91, v28 offset:20
	ds_bpermute_b32 v14, v91, v29 offset:24
	;; [unrolled: 1-line block ×3, first 2 shown]
	s_waitcnt lgkmcnt(3)
	v_sub_f32_e32 v12, v17, v12
	v_mul_f32_e32 v12, v9, v12
	s_waitcnt lgkmcnt(2)
	v_mul_f32_e32 v17, v12, v3
	s_waitcnt lgkmcnt(1)
	v_sub_f32_e32 v3, v18, v14
	v_mul_f32_e32 v3, v10, v3
	s_waitcnt lgkmcnt(0)
	v_mul_f32_e32 v99, v3, v16
	v_mov_b32_e32 v92, v4
	ds_bpermute_b32 v3, v91, v29 offset:28
	v_pk_add_f32 v[92:93], v[86:87], v[92:93]
	v_mov_b32_e32 v12, v5
	v_pk_add_f32 v[4:5], v[12:13], v[92:93]
	v_mov_b32_e32 v94, v6
	ds_bpermute_b32 v6, v91, v28 offset:28
	v_pk_add_f32 v[4:5], v[94:95], v[4:5]
	v_mov_b32_e32 v14, v7
	v_pk_add_f32 v[4:5], v[14:15], v[4:5]
	v_mov_b32_e32 v96, v8
	;; [unrolled: 2-line block ×3, first 2 shown]
	s_waitcnt lgkmcnt(1)
	v_sub_f32_e32 v3, v19, v3
	v_pk_add_f32 v[4:5], v[16:17], v[4:5]
	v_mov_b32_e32 v98, v10
	v_mul_f32_e32 v3, v11, v3
	v_pk_add_f32 v[4:5], v[98:99], v[4:5]
	s_waitcnt lgkmcnt(0)
	v_mul_f32_e32 v7, v3, v6
	v_mov_b32_e32 v6, v11
	v_pk_add_f32 v[28:29], v[6:7], v[4:5]
	s_mov_b64 s[38:39], 0
.LBB88_77:                              ;   in Loop: Header=BB88_55 Depth=1
	s_and_b64 vcc, exec, s[38:39]
	s_cbranch_vccz .LBB88_54
; %bb.78:                               ;   in Loop: Header=BB88_55 Depth=1
	s_load_dword s33, s[4:5], 0x0
	v_mov_b32_e32 v3, 0
	v_mov_b32_e32 v6, 0
	s_waitcnt lgkmcnt(0)
	s_cmp_lt_u32 s2, s33
	s_cselect_b32 s33, 12, 18
	s_add_u32 s38, s4, s33
	s_addc_u32 s39, s5, 0
	global_load_ushort v4, v2, s[38:39]
	s_waitcnt vmcnt(0)
	v_mad_u32_u24 v4, v90, v4, v1
	v_and_b32_e32 v4, 63, v4
	v_cmp_gt_u32_e32 vcc, 8, v4
	s_and_saveexec_b64 s[38:39], vcc
	s_cbranch_execz .LBB88_53
; %bb.79:                               ;   in Loop: Header=BB88_55 Depth=1
	v_mov_b32_e32 v5, v2
	v_lshl_add_u64 v[4:5], v[88:89], 0, v[4:5]
	v_lshl_add_u64 v[4:5], v[4:5], 0, s[12:13]
	v_cmp_gt_i64_e32 vcc, s[8:9], v[4:5]
	v_mov_b32_e32 v6, 0
	v_mov_b32_e32 v3, 0
	s_and_saveexec_b64 s[40:41], vcc
	s_cbranch_execz .LBB88_52
; %bb.80:                               ;   in Loop: Header=BB88_55 Depth=1
	v_lshlrev_b64 v[4:5], 2, v[4:5]
	v_lshl_add_u64 v[8:9], s[18:19], 0, v[4:5]
	v_lshl_add_u64 v[4:5], s[16:17], 0, v[4:5]
	global_load_dword v6, v[4:5], off
	global_load_dword v3, v[8:9], off
	s_branch .LBB88_52
.LBB88_81:
	v_and_b32_e32 v1, 0x3ff, v0
	v_bfe_u32 v0, v0, 10, 10
	v_mad_u32_u24 v2, v0, 33, v1
	v_sub_u32_e32 v7, v2, v0
	s_movk_i32 s3, 0x800
	v_lshl_add_u32 v3, v2, 2, 0
	v_cmp_gt_u32_e32 vcc, s3, v7
	ds_write_b32 v3, v29
	ds_write_b32 v3, v28 offset:1056
	s_waitcnt lgkmcnt(0)
	s_barrier
	s_and_saveexec_b64 s[4:5], vcc
	s_cbranch_execz .LBB88_145
; %bb.82:
	s_load_dwordx4 s[12:15], s[0:1], 0x30
	v_and_b32_e32 v2, 63, v7
	v_lshrrev_b32_e32 v0, 6, v7
	v_cmp_lt_u32_e64 s[6:7], 7, v2
	v_cmp_gt_u32_e64 s[4:5], 8, v2
	v_mul_u32_u24_e32 v6, 33, v2
                                        ; implicit-def: $vgpr2
	s_and_saveexec_b64 s[0:1], s[4:5]
	s_cbranch_execz .LBB88_84
; %bb.83:
	v_add_u32_e32 v2, v0, v6
	v_lshl_add_u32 v2, v2, 2, 0
	ds_read_b32 v3, v2
	ds_read_b32 v2, v2 offset:1056
.LBB88_84:
	s_or_b64 exec, exec, s[0:1]
	v_mbcnt_lo_u32_b32 v4, -1, 0
	v_mbcnt_hi_u32_b32 v10, -1, v4
	v_and_b32_e32 v4, 64, v10
	v_add_u32_e32 v11, 64, v4
	v_cmp_eq_u32_e64 s[0:1], 0, v1
	v_xor_b32_e32 v1, 4, v10
	v_cmp_lt_i32_e32 vcc, v1, v11
	s_mov_b32 s3, 0
	s_lshl_b64 s[2:3], s[2:3], 5
	v_cndmask_b32_e32 v1, v10, v1, vcc
	v_lshlrev_b32_e32 v8, 2, v1
	s_waitcnt lgkmcnt(0)
	ds_bpermute_b32 v5, v8, v3
	ds_bpermute_b32 v4, v8, v2
	v_xor_b32_e32 v1, 2, v10
	v_cmp_lt_i32_e32 vcc, v1, v11
	s_cmp_lg_u64 s[12:13], 0
	s_cselect_b64 s[16:17], -1, 0
	v_cndmask_b32_e32 v1, v10, v1, vcc
	v_lshlrev_b32_e32 v9, 2, v1
	s_waitcnt lgkmcnt(0)
	v_pk_add_f32 v[2:3], v[2:3], v[4:5]
	ds_bpermute_b32 v5, v9, v3
	ds_bpermute_b32 v4, v9, v2
	v_xor_b32_e32 v1, 1, v10
	v_cmp_lt_i32_e32 vcc, v1, v11
	s_cmp_lg_u64 s[14:15], 0
	s_cselect_b64 s[8:9], -1, 0
	v_cndmask_b32_e32 v1, v10, v1, vcc
	v_lshlrev_b32_e32 v10, 2, v1
	s_waitcnt lgkmcnt(0)
	v_pk_add_f32 v[2:3], v[2:3], v[4:5]
	ds_bpermute_b32 v5, v10, v3
	ds_bpermute_b32 v4, v10, v2
	v_mov_b32_e32 v1, 0
	s_waitcnt lgkmcnt(0)
	v_pk_add_f32 v[2:3], v[2:3], v[4:5]
	v_or_b32_e32 v4, s2, v0
	v_mov_b32_e32 v5, s3
	v_cmp_gt_i64_e32 vcc, s[10:11], v[4:5]
	s_and_b64 s[20:21], s[0:1], vcc
	s_and_saveexec_b64 s[18:19], s[20:21]
	s_cbranch_execz .LBB88_89
; %bb.85:
	s_andn2_b64 vcc, exec, s[16:17]
	s_cbranch_vccnz .LBB88_87
; %bb.86:
	v_cvt_f16_f32_e32 v11, v3
	v_lshl_add_u64 v[12:13], v[4:5], 1, s[12:13]
	global_store_short v[12:13], v11, off
.LBB88_87:
	s_andn2_b64 vcc, exec, s[8:9]
	s_cbranch_vccnz .LBB88_89
; %bb.88:
	v_cvt_f16_f32_e32 v11, v2
	v_lshl_add_u64 v[4:5], v[4:5], 1, s[14:15]
	global_store_short v[4:5], v11, off
.LBB88_89:
	s_or_b64 exec, exec, s[18:19]
	s_movk_i32 s18, 0x700
	v_cmp_gt_u32_e32 vcc, s18, v7
	s_and_b64 exec, exec, vcc
	s_cbranch_execz .LBB88_145
; %bb.90:
	s_and_saveexec_b64 s[18:19], s[6:7]
	s_xor_b64 s[18:19], exec, s[18:19]
	s_andn2_saveexec_b64 s[18:19], s[18:19]
	s_cbranch_execz .LBB88_92
; %bb.91:
	v_add_u32_e32 v2, v0, v6
	v_lshl_add_u32 v2, v2, 2, 0
	ds_read_b32 v3, v2 offset:16
	ds_read_b32 v2, v2 offset:1072
.LBB88_92:
	s_or_b64 exec, exec, s[18:19]
	s_waitcnt lgkmcnt(1)
	ds_bpermute_b32 v5, v8, v3
	s_waitcnt lgkmcnt(1)
	ds_bpermute_b32 v4, v8, v2
	v_add_u32_e32 v12, 4, v0
	v_mov_b32_e32 v13, 0
	v_lshl_add_u64 v[12:13], s[2:3], 0, v[12:13]
	v_cmp_gt_i64_e32 vcc, s[10:11], v[12:13]
	s_waitcnt lgkmcnt(0)
	v_pk_add_f32 v[2:3], v[2:3], v[4:5]
	ds_bpermute_b32 v5, v9, v3
	ds_bpermute_b32 v4, v9, v2
	s_and_b64 s[20:21], s[0:1], vcc
	s_waitcnt lgkmcnt(0)
	v_pk_add_f32 v[2:3], v[2:3], v[4:5]
	ds_bpermute_b32 v5, v10, v3
	ds_bpermute_b32 v4, v10, v2
	s_waitcnt lgkmcnt(0)
	v_pk_add_f32 v[2:3], v[2:3], v[4:5]
	s_and_saveexec_b64 s[18:19], s[20:21]
	s_cbranch_execz .LBB88_97
; %bb.93:
	s_andn2_b64 vcc, exec, s[16:17]
	s_cbranch_vccnz .LBB88_95
; %bb.94:
	v_cvt_f16_f32_e32 v11, v3
	v_lshl_add_u64 v[4:5], s[2:3], 0, v[0:1]
	v_lshl_add_u64 v[4:5], v[4:5], 1, s[12:13]
	global_store_short v[4:5], v11, off offset:8
.LBB88_95:
	s_andn2_b64 vcc, exec, s[8:9]
	s_cbranch_vccnz .LBB88_97
; %bb.96:
	v_cvt_f16_f32_e32 v11, v2
	v_lshl_add_u64 v[4:5], s[2:3], 0, v[0:1]
	v_lshl_add_u64 v[4:5], v[4:5], 1, s[14:15]
	global_store_short v[4:5], v11, off offset:8
.LBB88_97:
	s_or_b64 exec, exec, s[18:19]
	s_movk_i32 s18, 0x600
	v_cmp_gt_u32_e32 vcc, s18, v7
	s_and_b64 exec, exec, vcc
	s_cbranch_execz .LBB88_145
; %bb.98:
	s_and_saveexec_b64 s[18:19], s[6:7]
	s_xor_b64 s[18:19], exec, s[18:19]
	s_andn2_saveexec_b64 s[18:19], s[18:19]
	s_cbranch_execz .LBB88_100
; %bb.99:
	v_add_u32_e32 v2, v0, v6
	v_lshl_add_u32 v2, v2, 2, 0
	ds_read_b32 v3, v2 offset:32
	ds_read_b32 v2, v2 offset:1088
.LBB88_100:
	s_or_b64 exec, exec, s[18:19]
	s_waitcnt lgkmcnt(1)
	ds_bpermute_b32 v5, v8, v3
	s_waitcnt lgkmcnt(1)
	ds_bpermute_b32 v4, v8, v2
	v_add_u32_e32 v12, 8, v0
	v_mov_b32_e32 v13, 0
	v_lshl_add_u64 v[12:13], s[2:3], 0, v[12:13]
	v_cmp_gt_i64_e32 vcc, s[10:11], v[12:13]
	s_waitcnt lgkmcnt(0)
	v_pk_add_f32 v[2:3], v[2:3], v[4:5]
	ds_bpermute_b32 v5, v9, v3
	ds_bpermute_b32 v4, v9, v2
	s_and_b64 s[20:21], s[0:1], vcc
	s_waitcnt lgkmcnt(0)
	v_pk_add_f32 v[2:3], v[2:3], v[4:5]
	ds_bpermute_b32 v5, v10, v3
	ds_bpermute_b32 v4, v10, v2
	s_waitcnt lgkmcnt(0)
	v_pk_add_f32 v[2:3], v[2:3], v[4:5]
	s_and_saveexec_b64 s[18:19], s[20:21]
	s_cbranch_execz .LBB88_105
; %bb.101:
	s_andn2_b64 vcc, exec, s[16:17]
	s_cbranch_vccnz .LBB88_103
; %bb.102:
	v_cvt_f16_f32_e32 v11, v3
	v_lshl_add_u64 v[4:5], s[2:3], 0, v[0:1]
	v_lshl_add_u64 v[4:5], v[4:5], 1, s[12:13]
	global_store_short v[4:5], v11, off offset:16
.LBB88_103:
	s_andn2_b64 vcc, exec, s[8:9]
	s_cbranch_vccnz .LBB88_105
; %bb.104:
	v_cvt_f16_f32_e32 v11, v2
	v_lshl_add_u64 v[4:5], s[2:3], 0, v[0:1]
	v_lshl_add_u64 v[4:5], v[4:5], 1, s[14:15]
	global_store_short v[4:5], v11, off offset:16
.LBB88_105:
	;; [unrolled: 55-line block ×3, first 2 shown]
	s_or_b64 exec, exec, s[18:19]
	s_movk_i32 s18, 0x400
	v_cmp_gt_u32_e32 vcc, s18, v7
	s_and_b64 exec, exec, vcc
	s_cbranch_execz .LBB88_145
; %bb.114:
	s_and_saveexec_b64 s[18:19], s[6:7]
	s_xor_b64 s[18:19], exec, s[18:19]
	s_andn2_saveexec_b64 s[18:19], s[18:19]
	s_cbranch_execz .LBB88_116
; %bb.115:
	v_add_u32_e32 v2, v0, v6
	v_lshl_add_u32 v2, v2, 2, 0
	ds_read_b32 v3, v2 offset:64
	ds_read_b32 v2, v2 offset:1120
.LBB88_116:
	s_or_b64 exec, exec, s[18:19]
	s_waitcnt lgkmcnt(1)
	ds_bpermute_b32 v5, v8, v3
	s_waitcnt lgkmcnt(1)
	ds_bpermute_b32 v4, v8, v2
	v_add_u32_e32 v11, 16, v0
	v_mov_b32_e32 v13, s3
	v_or_b32_e32 v12, s2, v11
	v_cmp_gt_i64_e32 vcc, s[10:11], v[12:13]
	s_waitcnt lgkmcnt(0)
	v_pk_add_f32 v[2:3], v[2:3], v[4:5]
	ds_bpermute_b32 v5, v9, v3
	ds_bpermute_b32 v4, v9, v2
	s_and_b64 s[20:21], s[0:1], vcc
	s_waitcnt lgkmcnt(0)
	v_pk_add_f32 v[2:3], v[2:3], v[4:5]
	ds_bpermute_b32 v5, v10, v3
	ds_bpermute_b32 v4, v10, v2
	s_waitcnt lgkmcnt(0)
	v_pk_add_f32 v[2:3], v[2:3], v[4:5]
	s_and_saveexec_b64 s[18:19], s[20:21]
	s_cbranch_execz .LBB88_121
; %bb.117:
	s_andn2_b64 vcc, exec, s[16:17]
	s_cbranch_vccnz .LBB88_119
; %bb.118:
	v_cvt_f16_f32_e32 v11, v3
	v_lshl_add_u64 v[4:5], s[2:3], 0, v[0:1]
	v_lshl_add_u64 v[4:5], v[4:5], 1, s[12:13]
	global_store_short v[4:5], v11, off offset:32
.LBB88_119:
	s_andn2_b64 vcc, exec, s[8:9]
	s_cbranch_vccnz .LBB88_121
; %bb.120:
	v_cvt_f16_f32_e32 v11, v2
	v_lshl_add_u64 v[4:5], s[2:3], 0, v[0:1]
	v_lshl_add_u64 v[4:5], v[4:5], 1, s[14:15]
	global_store_short v[4:5], v11, off offset:32
.LBB88_121:
	s_or_b64 exec, exec, s[18:19]
	s_movk_i32 s18, 0x300
	v_cmp_gt_u32_e32 vcc, s18, v7
	s_and_b64 exec, exec, vcc
	s_cbranch_execz .LBB88_145
; %bb.122:
	s_and_saveexec_b64 s[18:19], s[6:7]
	s_xor_b64 s[18:19], exec, s[18:19]
	s_andn2_saveexec_b64 s[18:19], s[18:19]
	s_cbranch_execz .LBB88_124
; %bb.123:
	v_add_u32_e32 v2, v0, v6
	v_lshl_add_u32 v2, v2, 2, 0
	ds_read_b32 v3, v2 offset:80
	ds_read_b32 v2, v2 offset:1136
.LBB88_124:
	s_or_b64 exec, exec, s[18:19]
	s_waitcnt lgkmcnt(1)
	ds_bpermute_b32 v5, v8, v3
	s_waitcnt lgkmcnt(1)
	ds_bpermute_b32 v4, v8, v2
	v_add_u32_e32 v12, 20, v0
	v_mov_b32_e32 v13, 0
	v_lshl_add_u64 v[12:13], s[2:3], 0, v[12:13]
	v_cmp_gt_i64_e32 vcc, s[10:11], v[12:13]
	s_waitcnt lgkmcnt(0)
	v_pk_add_f32 v[2:3], v[2:3], v[4:5]
	ds_bpermute_b32 v5, v9, v3
	ds_bpermute_b32 v4, v9, v2
	s_and_b64 s[20:21], s[0:1], vcc
	s_waitcnt lgkmcnt(0)
	v_pk_add_f32 v[2:3], v[2:3], v[4:5]
	ds_bpermute_b32 v5, v10, v3
	ds_bpermute_b32 v4, v10, v2
	s_waitcnt lgkmcnt(0)
	v_pk_add_f32 v[2:3], v[2:3], v[4:5]
	s_and_saveexec_b64 s[18:19], s[20:21]
	s_cbranch_execz .LBB88_129
; %bb.125:
	s_andn2_b64 vcc, exec, s[16:17]
	s_cbranch_vccnz .LBB88_127
; %bb.126:
	v_cvt_f16_f32_e32 v11, v3
	v_lshl_add_u64 v[4:5], s[2:3], 0, v[0:1]
	v_lshl_add_u64 v[4:5], v[4:5], 1, s[12:13]
	global_store_short v[4:5], v11, off offset:40
.LBB88_127:
	s_andn2_b64 vcc, exec, s[8:9]
	s_cbranch_vccnz .LBB88_129
; %bb.128:
	v_cvt_f16_f32_e32 v11, v2
	v_lshl_add_u64 v[4:5], s[2:3], 0, v[0:1]
	v_lshl_add_u64 v[4:5], v[4:5], 1, s[14:15]
	global_store_short v[4:5], v11, off offset:40
.LBB88_129:
	s_or_b64 exec, exec, s[18:19]
	s_movk_i32 s18, 0x200
	v_cmp_gt_u32_e32 vcc, s18, v7
	s_and_b64 exec, exec, vcc
	s_cbranch_execz .LBB88_145
; %bb.130:
	s_and_saveexec_b64 s[18:19], s[6:7]
	s_xor_b64 s[6:7], exec, s[18:19]
	s_andn2_saveexec_b64 s[6:7], s[6:7]
	s_cbranch_execz .LBB88_132
; %bb.131:
	v_add_u32_e32 v2, v0, v6
	v_lshl_add_u32 v2, v2, 2, 0
	ds_read_b32 v3, v2 offset:96
	ds_read_b32 v2, v2 offset:1152
.LBB88_132:
	s_or_b64 exec, exec, s[6:7]
	s_waitcnt lgkmcnt(1)
	ds_bpermute_b32 v5, v8, v3
	s_waitcnt lgkmcnt(1)
	ds_bpermute_b32 v4, v8, v2
	v_add_u32_e32 v11, 24, v0
	v_mov_b32_e32 v13, s3
	v_or_b32_e32 v12, s2, v11
	v_cmp_gt_i64_e32 vcc, s[10:11], v[12:13]
	s_waitcnt lgkmcnt(0)
	v_pk_add_f32 v[2:3], v[2:3], v[4:5]
	ds_bpermute_b32 v5, v9, v3
	ds_bpermute_b32 v4, v9, v2
	s_and_b64 s[18:19], s[0:1], vcc
	s_waitcnt lgkmcnt(0)
	v_pk_add_f32 v[2:3], v[2:3], v[4:5]
	ds_bpermute_b32 v5, v10, v3
	ds_bpermute_b32 v4, v10, v2
	s_waitcnt lgkmcnt(0)
	v_pk_add_f32 v[2:3], v[2:3], v[4:5]
	s_and_saveexec_b64 s[6:7], s[18:19]
	s_cbranch_execz .LBB88_137
; %bb.133:
	s_andn2_b64 vcc, exec, s[16:17]
	s_cbranch_vccnz .LBB88_135
; %bb.134:
	v_cvt_f16_f32_e32 v11, v3
	v_lshl_add_u64 v[4:5], s[2:3], 0, v[0:1]
	v_lshl_add_u64 v[4:5], v[4:5], 1, s[12:13]
	global_store_short v[4:5], v11, off offset:48
.LBB88_135:
	s_andn2_b64 vcc, exec, s[8:9]
	s_cbranch_vccnz .LBB88_137
; %bb.136:
	v_cvt_f16_f32_e32 v11, v2
	v_lshl_add_u64 v[4:5], s[2:3], 0, v[0:1]
	v_lshl_add_u64 v[4:5], v[4:5], 1, s[14:15]
	global_store_short v[4:5], v11, off offset:48
.LBB88_137:
	s_or_b64 exec, exec, s[6:7]
	s_movk_i32 s6, 0x100
	v_cmp_gt_u32_e32 vcc, s6, v7
	s_and_b64 exec, exec, vcc
	s_cbranch_execz .LBB88_145
; %bb.138:
	s_and_saveexec_b64 s[6:7], s[4:5]
	s_cbranch_execz .LBB88_140
; %bb.139:
	v_add_u32_e32 v2, v0, v6
	v_lshl_add_u32 v2, v2, 2, 0
	ds_read_b32 v3, v2 offset:112
	ds_read_b32 v2, v2 offset:1168
.LBB88_140:
	s_or_b64 exec, exec, s[6:7]
	s_waitcnt lgkmcnt(1)
	ds_bpermute_b32 v4, v8, v3
	s_waitcnt lgkmcnt(1)
	ds_bpermute_b32 v5, v8, v2
	v_add_u32_e32 v6, 28, v0
	v_or_b32_e32 v6, s2, v6
	v_mov_b32_e32 v7, s3
	s_waitcnt lgkmcnt(1)
	v_add_f32_e32 v3, v3, v4
	s_waitcnt lgkmcnt(0)
	v_add_f32_e32 v2, v2, v5
	ds_bpermute_b32 v4, v9, v3
	ds_bpermute_b32 v5, v9, v2
	v_cmp_gt_i64_e32 vcc, s[10:11], v[6:7]
	s_and_b64 s[0:1], s[0:1], vcc
	s_waitcnt lgkmcnt(1)
	v_add_f32_e32 v4, v3, v4
	s_waitcnt lgkmcnt(0)
	v_add_f32_e32 v2, v2, v5
	ds_bpermute_b32 v5, v10, v4
	ds_bpermute_b32 v3, v10, v2
	s_and_b64 exec, exec, s[0:1]
	s_cbranch_execz .LBB88_145
; %bb.141:
	s_andn2_b64 vcc, exec, s[16:17]
	v_lshl_add_u64 v[0:1], s[2:3], 0, v[0:1]
	s_cbranch_vccnz .LBB88_143
; %bb.142:
	s_waitcnt lgkmcnt(1)
	v_add_f32_e32 v4, v4, v5
	v_cvt_f16_f32_e32 v6, v4
	v_lshl_add_u64 v[4:5], v[0:1], 1, s[12:13]
	global_store_short v[4:5], v6, off offset:56
.LBB88_143:
	s_andn2_b64 vcc, exec, s[8:9]
	s_cbranch_vccnz .LBB88_145
; %bb.144:
	s_waitcnt lgkmcnt(0)
	v_add_f32_e32 v2, v2, v3
	v_cvt_f16_f32_e32 v2, v2
	v_lshl_add_u64 v[0:1], v[0:1], 1, s[14:15]
	global_store_short v[0:1], v2, off offset:56
.LBB88_145:
	s_endpgm
	.section	.rodata,"a",@progbits
	.p2align	6, 0x0
	.amdhsa_kernel _ZN2at6native12_GLOBAL__N_135GammaBetaBackwardCUDAKernelTemplateIN3c104HalfEfLj32ELj8ELj64ELb0ELb0ELb0EEEvllPKT_S7_PKT0_SA_PS5_SB_
		.amdhsa_group_segment_fixed_size 0
		.amdhsa_private_segment_fixed_size 0
		.amdhsa_kernarg_size 320
		.amdhsa_user_sgpr_count 2
		.amdhsa_user_sgpr_dispatch_ptr 0
		.amdhsa_user_sgpr_queue_ptr 0
		.amdhsa_user_sgpr_kernarg_segment_ptr 1
		.amdhsa_user_sgpr_dispatch_id 0
		.amdhsa_user_sgpr_kernarg_preload_length 0
		.amdhsa_user_sgpr_kernarg_preload_offset 0
		.amdhsa_user_sgpr_private_segment_size 0
		.amdhsa_uses_dynamic_stack 0
		.amdhsa_enable_private_segment 0
		.amdhsa_system_sgpr_workgroup_id_x 1
		.amdhsa_system_sgpr_workgroup_id_y 1
		.amdhsa_system_sgpr_workgroup_id_z 0
		.amdhsa_system_sgpr_workgroup_info 0
		.amdhsa_system_vgpr_workitem_id 1
		.amdhsa_next_free_vgpr 105
		.amdhsa_next_free_sgpr 52
		.amdhsa_accum_offset 108
		.amdhsa_reserve_vcc 1
		.amdhsa_float_round_mode_32 0
		.amdhsa_float_round_mode_16_64 0
		.amdhsa_float_denorm_mode_32 3
		.amdhsa_float_denorm_mode_16_64 3
		.amdhsa_dx10_clamp 1
		.amdhsa_ieee_mode 1
		.amdhsa_fp16_overflow 0
		.amdhsa_tg_split 0
		.amdhsa_exception_fp_ieee_invalid_op 0
		.amdhsa_exception_fp_denorm_src 0
		.amdhsa_exception_fp_ieee_div_zero 0
		.amdhsa_exception_fp_ieee_overflow 0
		.amdhsa_exception_fp_ieee_underflow 0
		.amdhsa_exception_fp_ieee_inexact 0
		.amdhsa_exception_int_div_zero 0
	.end_amdhsa_kernel
	.section	.text._ZN2at6native12_GLOBAL__N_135GammaBetaBackwardCUDAKernelTemplateIN3c104HalfEfLj32ELj8ELj64ELb0ELb0ELb0EEEvllPKT_S7_PKT0_SA_PS5_SB_,"axG",@progbits,_ZN2at6native12_GLOBAL__N_135GammaBetaBackwardCUDAKernelTemplateIN3c104HalfEfLj32ELj8ELj64ELb0ELb0ELb0EEEvllPKT_S7_PKT0_SA_PS5_SB_,comdat
.Lfunc_end88:
	.size	_ZN2at6native12_GLOBAL__N_135GammaBetaBackwardCUDAKernelTemplateIN3c104HalfEfLj32ELj8ELj64ELb0ELb0ELb0EEEvllPKT_S7_PKT0_SA_PS5_SB_, .Lfunc_end88-_ZN2at6native12_GLOBAL__N_135GammaBetaBackwardCUDAKernelTemplateIN3c104HalfEfLj32ELj8ELj64ELb0ELb0ELb0EEEvllPKT_S7_PKT0_SA_PS5_SB_
                                        ; -- End function
	.set _ZN2at6native12_GLOBAL__N_135GammaBetaBackwardCUDAKernelTemplateIN3c104HalfEfLj32ELj8ELj64ELb0ELb0ELb0EEEvllPKT_S7_PKT0_SA_PS5_SB_.num_vgpr, 105
	.set _ZN2at6native12_GLOBAL__N_135GammaBetaBackwardCUDAKernelTemplateIN3c104HalfEfLj32ELj8ELj64ELb0ELb0ELb0EEEvllPKT_S7_PKT0_SA_PS5_SB_.num_agpr, 0
	.set _ZN2at6native12_GLOBAL__N_135GammaBetaBackwardCUDAKernelTemplateIN3c104HalfEfLj32ELj8ELj64ELb0ELb0ELb0EEEvllPKT_S7_PKT0_SA_PS5_SB_.numbered_sgpr, 52
	.set _ZN2at6native12_GLOBAL__N_135GammaBetaBackwardCUDAKernelTemplateIN3c104HalfEfLj32ELj8ELj64ELb0ELb0ELb0EEEvllPKT_S7_PKT0_SA_PS5_SB_.num_named_barrier, 0
	.set _ZN2at6native12_GLOBAL__N_135GammaBetaBackwardCUDAKernelTemplateIN3c104HalfEfLj32ELj8ELj64ELb0ELb0ELb0EEEvllPKT_S7_PKT0_SA_PS5_SB_.private_seg_size, 0
	.set _ZN2at6native12_GLOBAL__N_135GammaBetaBackwardCUDAKernelTemplateIN3c104HalfEfLj32ELj8ELj64ELb0ELb0ELb0EEEvllPKT_S7_PKT0_SA_PS5_SB_.uses_vcc, 1
	.set _ZN2at6native12_GLOBAL__N_135GammaBetaBackwardCUDAKernelTemplateIN3c104HalfEfLj32ELj8ELj64ELb0ELb0ELb0EEEvllPKT_S7_PKT0_SA_PS5_SB_.uses_flat_scratch, 0
	.set _ZN2at6native12_GLOBAL__N_135GammaBetaBackwardCUDAKernelTemplateIN3c104HalfEfLj32ELj8ELj64ELb0ELb0ELb0EEEvllPKT_S7_PKT0_SA_PS5_SB_.has_dyn_sized_stack, 0
	.set _ZN2at6native12_GLOBAL__N_135GammaBetaBackwardCUDAKernelTemplateIN3c104HalfEfLj32ELj8ELj64ELb0ELb0ELb0EEEvllPKT_S7_PKT0_SA_PS5_SB_.has_recursion, 0
	.set _ZN2at6native12_GLOBAL__N_135GammaBetaBackwardCUDAKernelTemplateIN3c104HalfEfLj32ELj8ELj64ELb0ELb0ELb0EEEvllPKT_S7_PKT0_SA_PS5_SB_.has_indirect_call, 0
	.section	.AMDGPU.csdata,"",@progbits
; Kernel info:
; codeLenInByte = 9284
; TotalNumSgprs: 58
; NumVgprs: 105
; NumAgprs: 0
; TotalNumVgprs: 105
; ScratchSize: 0
; MemoryBound: 0
; FloatMode: 240
; IeeeMode: 1
; LDSByteSize: 0 bytes/workgroup (compile time only)
; SGPRBlocks: 7
; VGPRBlocks: 13
; NumSGPRsForWavesPerEU: 58
; NumVGPRsForWavesPerEU: 105
; AccumOffset: 108
; Occupancy: 4
; WaveLimiterHint : 0
; COMPUTE_PGM_RSRC2:SCRATCH_EN: 0
; COMPUTE_PGM_RSRC2:USER_SGPR: 2
; COMPUTE_PGM_RSRC2:TRAP_HANDLER: 0
; COMPUTE_PGM_RSRC2:TGID_X_EN: 1
; COMPUTE_PGM_RSRC2:TGID_Y_EN: 1
; COMPUTE_PGM_RSRC2:TGID_Z_EN: 0
; COMPUTE_PGM_RSRC2:TIDIG_COMP_CNT: 1
; COMPUTE_PGM_RSRC3_GFX90A:ACCUM_OFFSET: 26
; COMPUTE_PGM_RSRC3_GFX90A:TG_SPLIT: 0
	.section	.text._ZN2at6native12_GLOBAL__N_135GammaBetaBackwardCUDAKernelTemplateIN3c104HalfEfLj32ELj16ELj128ELb0ELb1ELb0EEEvllPKT_S7_PKT0_SA_PS5_SB_,"axG",@progbits,_ZN2at6native12_GLOBAL__N_135GammaBetaBackwardCUDAKernelTemplateIN3c104HalfEfLj32ELj16ELj128ELb0ELb1ELb0EEEvllPKT_S7_PKT0_SA_PS5_SB_,comdat
	.globl	_ZN2at6native12_GLOBAL__N_135GammaBetaBackwardCUDAKernelTemplateIN3c104HalfEfLj32ELj16ELj128ELb0ELb1ELb0EEEvllPKT_S7_PKT0_SA_PS5_SB_ ; -- Begin function _ZN2at6native12_GLOBAL__N_135GammaBetaBackwardCUDAKernelTemplateIN3c104HalfEfLj32ELj16ELj128ELb0ELb1ELb0EEEvllPKT_S7_PKT0_SA_PS5_SB_
	.p2align	8
	.type	_ZN2at6native12_GLOBAL__N_135GammaBetaBackwardCUDAKernelTemplateIN3c104HalfEfLj32ELj16ELj128ELb0ELb1ELb0EEEvllPKT_S7_PKT0_SA_PS5_SB_,@function
_ZN2at6native12_GLOBAL__N_135GammaBetaBackwardCUDAKernelTemplateIN3c104HalfEfLj32ELj16ELj128ELb0ELb1ELb0EEEvllPKT_S7_PKT0_SA_PS5_SB_: ; @_ZN2at6native12_GLOBAL__N_135GammaBetaBackwardCUDAKernelTemplateIN3c104HalfEfLj32ELj16ELj128ELb0ELb1ELb0EEEvllPKT_S7_PKT0_SA_PS5_SB_
; %bb.0:
	s_load_dwordx4 s[16:19], s[0:1], 0x0
	s_lshl_b32 s20, s3, 7
	s_mov_b32 s21, 0
	v_mov_b64_e32 v[2:3], s[20:21]
	v_bfe_u32 v12, v0, 10, 10
	s_waitcnt lgkmcnt(0)
	v_cmp_gt_i64_e32 vcc, s[16:17], v[2:3]
	s_cbranch_vccnz .LBB89_2
; %bb.1:
	s_mov_b64 s[4:5], 0
	v_bfe_u32 v2, v0, 10, 10
	s_branch .LBB89_3
.LBB89_2:
	s_mov_b64 s[4:5], -1
                                        ; implicit-def: $vgpr2
.LBB89_3:
	s_load_dwordx4 s[12:15], s[0:1], 0x30
	v_mov_b32_e32 v1, 0
	v_and_b32_e32 v10, 0x3ff, v0
	s_andn2_b64 vcc, exec, s[4:5]
	v_mbcnt_lo_u32_b32 v11, -1, 0
	v_mov_b32_e32 v0, v1
	s_cbranch_vccnz .LBB89_11
; %bb.4:
	s_load_dword s3, s[0:1], 0x4c
	s_load_dword s22, s[0:1], 0x44
	s_load_dwordx8 s[4:11], s[0:1], 0x10
	v_lshlrev_b32_e32 v0, 3, v12
	v_mbcnt_hi_u32_b32 v4, -1, v11
	s_waitcnt lgkmcnt(0)
	s_and_b32 s0, s3, 0xffff
	v_mad_u32_u24 v1, v12, s0, v10
	v_and_b32_e32 v2, 63, v1
	v_mov_b32_e32 v1, 0
	v_mov_b32_e32 v3, v1
	v_lshl_add_u64 v[8:9], v[0:1], 0, s[20:21]
	v_cmp_gt_u32_e64 s[0:1], 8, v2
	s_lshl_b32 s22, s22, 7
	v_lshl_add_u64 v[2:3], v[8:9], 0, v[2:3]
	v_mul_lo_u32 v0, s19, v8
	v_mul_lo_u32 v21, s18, v9
	v_mad_u64_u32 v[8:9], s[26:27], s18, v8, 0
	v_lshl_add_u32 v6, s2, 5, v10
	v_mov_b32_e32 v7, v1
	v_lshlrev_b32_e32 v4, 2, v4
	s_mul_i32 s3, s19, s22
	s_mul_hi_u32 s26, s18, s22
	s_mov_b32 s23, 0
	v_and_b32_e32 v13, 0x100, v4
	v_add3_u32 v9, v9, v21, v0
	v_lshlrev_b64 v[6:7], 1, v[6:7]
	s_add_i32 s27, s26, s3
	s_mul_i32 s26, s18, s22
	v_or_b32_e32 v14, 4, v13
	v_or_b32_e32 v15, 8, v13
	;; [unrolled: 1-line block ×7, first 2 shown]
	v_lshlrev_b64 v[4:5], 2, v[2:3]
	s_lshl_b64 s[24:25], s[22:23], 2
	v_lshl_add_u64 v[6:7], v[8:9], 1, v[6:7]
	s_lshl_b64 s[26:27], s[26:27], 1
	s_lshl_b64 s[18:19], s[18:19], 1
	v_mov_b64_e32 v[8:9], s[16:17]
	v_mov_b32_e32 v0, v1
	s_branch .LBB89_7
.LBB89_5:                               ;   in Loop: Header=BB89_7 Depth=1
	s_or_b64 exec, exec, s[30:31]
.LBB89_6:                               ;   in Loop: Header=BB89_7 Depth=1
	s_or_b64 exec, exec, s[28:29]
	v_lshl_add_u64 v[24:25], s[4:5], 0, v[6:7]
	global_load_ushort v23, v[24:25], off
	v_lshl_add_u64 v[26:27], s[6:7], 0, v[6:7]
	v_lshl_add_u64 v[24:25], v[24:25], 0, s[18:19]
	global_load_ushort v28, v[26:27], off
	global_load_ushort v29, v[24:25], off
	v_lshl_add_u64 v[26:27], v[26:27], 0, s[18:19]
	v_lshl_add_u64 v[24:25], v[24:25], 0, s[18:19]
	global_load_ushort v30, v[26:27], off
	;; [unrolled: 4-line block ×7, first 2 shown]
	global_load_ushort v41, v[24:25], off
	v_lshl_add_u64 v[24:25], v[26:27], 0, s[18:19]
	global_load_ushort v25, v[24:25], off
	s_waitcnt vmcnt(17)
	ds_bpermute_b32 v42, v13, v21
	s_waitcnt vmcnt(16)
	ds_bpermute_b32 v27, v13, v22
	ds_bpermute_b32 v43, v14, v22
	;; [unrolled: 1-line block ×15, first 2 shown]
	s_add_u32 s20, s20, s22
	s_addc_u32 s21, s21, 0
	v_cmp_lt_i64_e32 vcc, s[20:21], v[8:9]
	v_lshl_add_u64 v[4:5], v[4:5], 0, s[24:25]
	v_lshl_add_u64 v[2:3], v[2:3], 0, s[22:23]
	;; [unrolled: 1-line block ×3, first 2 shown]
	s_and_b64 vcc, exec, vcc
	s_waitcnt vmcnt(15)
	v_cvt_f32_f16_e32 v22, v23
	s_waitcnt vmcnt(14)
	v_cvt_f32_f16_e32 v23, v28
	;; [unrolled: 2-line block ×5, first 2 shown]
	s_waitcnt lgkmcnt(14)
	v_sub_f32_e32 v23, v23, v42
	v_mul_f32_e32 v23, v23, v22
	s_waitcnt vmcnt(10)
	v_cvt_f32_f16_e32 v31, v32
	s_waitcnt vmcnt(9)
	v_cvt_f32_f16_e32 v28, v33
	s_waitcnt lgkmcnt(12)
	v_sub_f32_e32 v29, v29, v44
	v_mul_f32_e32 v23, v23, v27
	s_waitcnt vmcnt(8)
	v_cvt_f32_f16_e32 v33, v34
	s_waitcnt vmcnt(7)
	v_cvt_f32_f16_e32 v30, v35
	v_mul_f32_e32 v27, v29, v24
	s_waitcnt lgkmcnt(5)
	v_sub_f32_e32 v29, v31, v46
	s_waitcnt vmcnt(6)
	v_cvt_f32_f16_e32 v35, v36
	s_waitcnt vmcnt(5)
	v_cvt_f32_f16_e32 v32, v37
	v_pk_add_f32 v[0:1], v[0:1], v[22:23]
	s_waitcnt vmcnt(4)
	v_cvt_f32_f16_e32 v37, v38
	s_waitcnt vmcnt(3)
	v_cvt_f32_f16_e32 v34, v39
	s_waitcnt lgkmcnt(3)
	v_sub_f32_e32 v23, v35, v50
	s_waitcnt vmcnt(2)
	v_cvt_f32_f16_e32 v38, v40
	s_waitcnt vmcnt(1)
	v_cvt_f32_f16_e32 v36, v41
	;; [unrolled: 2-line block ×3, first 2 shown]
	v_mul_f32_e32 v25, v27, v43
	v_mul_f32_e32 v27, v29, v26
	v_sub_f32_e32 v29, v33, v48
	v_mul_f32_e32 v27, v27, v45
	v_mul_f32_e32 v22, v29, v28
	v_pk_add_f32 v[0:1], v[0:1], v[24:25]
	v_mul_f32_e32 v29, v22, v47
	v_mul_f32_e32 v22, v23, v30
	s_waitcnt lgkmcnt(2)
	v_sub_f32_e32 v23, v37, v52
	v_pk_add_f32 v[0:1], v[0:1], v[26:27]
	v_mul_f32_e32 v31, v22, v49
	v_mul_f32_e32 v22, v23, v32
	s_waitcnt lgkmcnt(1)
	v_sub_f32_e32 v23, v38, v54
	v_pk_add_f32 v[0:1], v[0:1], v[28:29]
	v_mul_f32_e32 v33, v22, v51
	v_mul_f32_e32 v22, v23, v34
	v_pk_add_f32 v[0:1], v[0:1], v[30:31]
	s_waitcnt lgkmcnt(0)
	v_sub_f32_e32 v21, v39, v21
	v_mul_f32_e32 v35, v22, v53
	v_pk_add_f32 v[0:1], v[0:1], v[32:33]
	v_mul_f32_e32 v21, v21, v36
	v_pk_add_f32 v[0:1], v[0:1], v[34:35]
	;; [unrolled: 2-line block ×3, first 2 shown]
	s_cbranch_vccz .LBB89_10
.LBB89_7:                               ; =>This Inner Loop Header: Depth=1
	v_mov_b32_e32 v22, 0
	v_mov_b32_e32 v21, 0
	s_and_saveexec_b64 s[28:29], s[0:1]
	s_cbranch_execz .LBB89_6
; %bb.8:                                ;   in Loop: Header=BB89_7 Depth=1
	v_cmp_gt_i64_e32 vcc, s[16:17], v[2:3]
	v_mov_b32_e32 v21, 0
	v_mov_b32_e32 v22, 0
	s_and_saveexec_b64 s[30:31], vcc
	s_cbranch_execz .LBB89_5
; %bb.9:                                ;   in Loop: Header=BB89_7 Depth=1
	v_lshl_add_u64 v[26:27], s[8:9], 0, v[4:5]
	v_lshl_add_u64 v[24:25], s[10:11], 0, v[4:5]
	global_load_dword v21, v[26:27], off
	global_load_dword v22, v[24:25], off
	s_branch .LBB89_5
.LBB89_10:
	v_mov_b32_e32 v2, v12
.LBB89_11:
	v_mad_u32_u24 v3, v2, 33, v10
	v_sub_u32_e32 v7, v3, v2
	s_movk_i32 s0, 0x800
	v_lshl_add_u32 v4, v3, 2, 0
	v_cmp_gt_u32_e32 vcc, s0, v7
	ds_write_b32 v4, v1
	ds_write_b32 v4, v0 offset:2112
	s_waitcnt lgkmcnt(0)
	s_barrier
	s_and_saveexec_b64 s[0:1], vcc
	s_cbranch_execz .LBB89_43
; %bb.12:
	v_and_b32_e32 v1, 63, v7
	v_lshrrev_b32_e32 v0, 6, v7
	v_cmp_lt_u32_e64 s[4:5], 15, v1
	v_cmp_gt_u32_e64 s[0:1], 16, v1
	v_mul_u32_u24_e32 v6, 33, v1
                                        ; implicit-def: $vgpr2
	s_and_saveexec_b64 s[6:7], s[0:1]
	s_cbranch_execz .LBB89_14
; %bb.13:
	v_add_u32_e32 v1, v0, v6
	v_lshl_add_u32 v1, v1, 2, 0
	ds_read_b32 v3, v1
	ds_read_b32 v2, v1 offset:2112
.LBB89_14:
	s_or_b64 exec, exec, s[6:7]
	v_mbcnt_hi_u32_b32 v1, -1, v11
	v_and_b32_e32 v4, 64, v1
	v_add_u32_e32 v12, 64, v4
	v_xor_b32_e32 v4, 8, v1
	v_cmp_lt_i32_e32 vcc, v4, v12
	v_xor_b32_e32 v9, 4, v1
	v_xor_b32_e32 v11, 2, v1
	v_cndmask_b32_e32 v4, v1, v4, vcc
	v_lshlrev_b32_e32 v8, 2, v4
	s_waitcnt lgkmcnt(1)
	ds_bpermute_b32 v5, v8, v3
	s_waitcnt lgkmcnt(1)
	ds_bpermute_b32 v4, v8, v2
	v_cmp_lt_i32_e32 vcc, v9, v12
	s_mov_b32 s3, 0
	s_lshl_b64 s[6:7], s[2:3], 5
	v_cndmask_b32_e32 v9, v1, v9, vcc
	v_lshlrev_b32_e32 v9, 2, v9
	s_waitcnt lgkmcnt(0)
	v_pk_add_f32 v[2:3], v[2:3], v[4:5]
	ds_bpermute_b32 v5, v9, v3
	ds_bpermute_b32 v4, v9, v2
	v_cmp_lt_i32_e32 vcc, v11, v12
	v_cmp_eq_u32_e64 s[2:3], 0, v10
	s_cmp_lg_u64 s[12:13], 0
	v_cndmask_b32_e32 v11, v1, v11, vcc
	v_lshlrev_b32_e32 v11, 2, v11
	s_waitcnt lgkmcnt(0)
	v_pk_add_f32 v[2:3], v[2:3], v[4:5]
	ds_bpermute_b32 v5, v11, v3
	ds_bpermute_b32 v4, v11, v2
	s_cselect_b64 s[10:11], -1, 0
	s_cmp_lg_u64 s[14:15], 0
	s_cselect_b64 s[8:9], -1, 0
	s_waitcnt lgkmcnt(0)
	v_pk_add_f32 v[2:3], v[2:3], v[4:5]
	v_xor_b32_e32 v4, 1, v1
	v_cmp_lt_i32_e32 vcc, v4, v12
	s_nop 1
	v_cndmask_b32_e32 v1, v1, v4, vcc
	v_lshlrev_b32_e32 v10, 2, v1
	ds_bpermute_b32 v5, v10, v3
	ds_bpermute_b32 v4, v10, v2
	v_mov_b32_e32 v1, 0
	s_waitcnt lgkmcnt(0)
	v_pk_add_f32 v[2:3], v[2:3], v[4:5]
	s_and_saveexec_b64 s[16:17], s[2:3]
	s_cbranch_execz .LBB89_19
; %bb.15:
	v_mov_b32_e32 v5, s7
	s_andn2_b64 vcc, exec, s[10:11]
	v_or_b32_e32 v4, s6, v0
	s_cbranch_vccnz .LBB89_17
; %bb.16:
	v_cvt_f16_f32_e32 v14, v3
	v_lshl_add_u64 v[12:13], v[4:5], 1, s[12:13]
	global_store_short v[12:13], v14, off
.LBB89_17:
	s_andn2_b64 vcc, exec, s[8:9]
	s_cbranch_vccnz .LBB89_19
; %bb.18:
	v_cvt_f16_f32_e32 v12, v2
	v_lshl_add_u64 v[4:5], v[4:5], 1, s[14:15]
	global_store_short v[4:5], v12, off
.LBB89_19:
	s_or_b64 exec, exec, s[16:17]
	s_movk_i32 s16, 0x600
	v_cmp_gt_u32_e32 vcc, s16, v7
	s_and_b64 exec, exec, vcc
	s_cbranch_execz .LBB89_43
; %bb.20:
	s_and_saveexec_b64 s[16:17], s[4:5]
	s_xor_b64 s[16:17], exec, s[16:17]
	s_andn2_saveexec_b64 s[16:17], s[16:17]
	s_cbranch_execz .LBB89_22
; %bb.21:
	v_add_u32_e32 v2, v0, v6
	v_lshl_add_u32 v2, v2, 2, 0
	ds_read_b32 v3, v2 offset:32
	ds_read_b32 v2, v2 offset:2144
.LBB89_22:
	s_or_b64 exec, exec, s[16:17]
	s_waitcnt lgkmcnt(1)
	ds_bpermute_b32 v5, v8, v3
	s_waitcnt lgkmcnt(1)
	ds_bpermute_b32 v4, v8, v2
	s_waitcnt lgkmcnt(0)
	v_pk_add_f32 v[2:3], v[2:3], v[4:5]
	ds_bpermute_b32 v5, v9, v3
	ds_bpermute_b32 v4, v9, v2
	s_waitcnt lgkmcnt(0)
	v_pk_add_f32 v[2:3], v[2:3], v[4:5]
	ds_bpermute_b32 v5, v11, v3
	;; [unrolled: 4-line block ×3, first 2 shown]
	ds_bpermute_b32 v4, v10, v2
	s_waitcnt lgkmcnt(0)
	v_pk_add_f32 v[2:3], v[2:3], v[4:5]
	s_and_saveexec_b64 s[16:17], s[2:3]
	s_cbranch_execz .LBB89_27
; %bb.23:
	s_andn2_b64 vcc, exec, s[10:11]
	s_cbranch_vccnz .LBB89_25
; %bb.24:
	v_cvt_f16_f32_e32 v12, v3
	v_lshl_add_u64 v[4:5], s[6:7], 0, v[0:1]
	v_lshl_add_u64 v[4:5], v[4:5], 1, s[12:13]
	global_store_short v[4:5], v12, off offset:16
.LBB89_25:
	s_andn2_b64 vcc, exec, s[8:9]
	s_cbranch_vccnz .LBB89_27
; %bb.26:
	v_cvt_f16_f32_e32 v12, v2
	v_lshl_add_u64 v[4:5], s[6:7], 0, v[0:1]
	v_lshl_add_u64 v[4:5], v[4:5], 1, s[14:15]
	global_store_short v[4:5], v12, off offset:16
.LBB89_27:
	s_or_b64 exec, exec, s[16:17]
	s_movk_i32 s16, 0x400
	v_cmp_gt_u32_e32 vcc, s16, v7
	s_and_b64 exec, exec, vcc
	s_cbranch_execz .LBB89_43
; %bb.28:
	s_and_saveexec_b64 s[16:17], s[4:5]
	s_xor_b64 s[4:5], exec, s[16:17]
	s_andn2_saveexec_b64 s[4:5], s[4:5]
	s_cbranch_execz .LBB89_30
; %bb.29:
	v_add_u32_e32 v2, v0, v6
	v_lshl_add_u32 v2, v2, 2, 0
	ds_read_b32 v3, v2 offset:64
	ds_read_b32 v2, v2 offset:2176
.LBB89_30:
	s_or_b64 exec, exec, s[4:5]
	s_waitcnt lgkmcnt(1)
	ds_bpermute_b32 v5, v8, v3
	s_waitcnt lgkmcnt(1)
	ds_bpermute_b32 v4, v8, v2
	s_waitcnt lgkmcnt(0)
	v_pk_add_f32 v[2:3], v[2:3], v[4:5]
	ds_bpermute_b32 v5, v9, v3
	ds_bpermute_b32 v4, v9, v2
	s_waitcnt lgkmcnt(0)
	v_pk_add_f32 v[2:3], v[2:3], v[4:5]
	ds_bpermute_b32 v5, v11, v3
	;; [unrolled: 4-line block ×3, first 2 shown]
	ds_bpermute_b32 v4, v10, v2
	s_waitcnt lgkmcnt(0)
	v_pk_add_f32 v[2:3], v[2:3], v[4:5]
	s_and_saveexec_b64 s[4:5], s[2:3]
	s_cbranch_execz .LBB89_35
; %bb.31:
	s_andn2_b64 vcc, exec, s[10:11]
	s_cbranch_vccnz .LBB89_33
; %bb.32:
	v_cvt_f16_f32_e32 v12, v3
	v_lshl_add_u64 v[4:5], s[6:7], 0, v[0:1]
	v_lshl_add_u64 v[4:5], v[4:5], 1, s[12:13]
	global_store_short v[4:5], v12, off offset:32
.LBB89_33:
	s_andn2_b64 vcc, exec, s[8:9]
	s_cbranch_vccnz .LBB89_35
; %bb.34:
	v_cvt_f16_f32_e32 v12, v2
	v_lshl_add_u64 v[4:5], s[6:7], 0, v[0:1]
	v_lshl_add_u64 v[4:5], v[4:5], 1, s[14:15]
	global_store_short v[4:5], v12, off offset:32
.LBB89_35:
	s_or_b64 exec, exec, s[4:5]
	s_movk_i32 s4, 0x200
	v_cmp_gt_u32_e32 vcc, s4, v7
	s_and_b64 exec, exec, vcc
	s_cbranch_execz .LBB89_43
; %bb.36:
	s_and_saveexec_b64 s[4:5], s[0:1]
	s_cbranch_execz .LBB89_38
; %bb.37:
	v_add_u32_e32 v2, v0, v6
	v_lshl_add_u32 v2, v2, 2, 0
	ds_read_b32 v3, v2 offset:96
	ds_read_b32 v2, v2 offset:2208
.LBB89_38:
	s_or_b64 exec, exec, s[4:5]
	s_waitcnt lgkmcnt(1)
	ds_bpermute_b32 v4, v8, v3
	s_waitcnt lgkmcnt(1)
	ds_bpermute_b32 v5, v8, v2
	s_waitcnt lgkmcnt(1)
	v_add_f32_e32 v3, v3, v4
	s_waitcnt lgkmcnt(0)
	v_add_f32_e32 v2, v2, v5
	ds_bpermute_b32 v4, v9, v3
	ds_bpermute_b32 v5, v9, v2
	s_waitcnt lgkmcnt(1)
	v_add_f32_e32 v3, v3, v4
	s_waitcnt lgkmcnt(0)
	v_add_f32_e32 v2, v2, v5
	ds_bpermute_b32 v4, v11, v3
	;; [unrolled: 6-line block ×3, first 2 shown]
	ds_bpermute_b32 v3, v10, v2
	s_and_b64 exec, exec, s[2:3]
	s_cbranch_execz .LBB89_43
; %bb.39:
	s_andn2_b64 vcc, exec, s[10:11]
	v_lshl_add_u64 v[0:1], s[6:7], 0, v[0:1]
	s_cbranch_vccnz .LBB89_41
; %bb.40:
	s_waitcnt lgkmcnt(1)
	v_add_f32_e32 v4, v4, v5
	v_cvt_f16_f32_e32 v6, v4
	v_lshl_add_u64 v[4:5], v[0:1], 1, s[12:13]
	global_store_short v[4:5], v6, off offset:48
.LBB89_41:
	s_andn2_b64 vcc, exec, s[8:9]
	s_cbranch_vccnz .LBB89_43
; %bb.42:
	s_waitcnt lgkmcnt(0)
	v_add_f32_e32 v2, v2, v3
	v_cvt_f16_f32_e32 v2, v2
	v_lshl_add_u64 v[0:1], v[0:1], 1, s[14:15]
	global_store_short v[0:1], v2, off offset:48
.LBB89_43:
	s_endpgm
	.section	.rodata,"a",@progbits
	.p2align	6, 0x0
	.amdhsa_kernel _ZN2at6native12_GLOBAL__N_135GammaBetaBackwardCUDAKernelTemplateIN3c104HalfEfLj32ELj16ELj128ELb0ELb1ELb0EEEvllPKT_S7_PKT0_SA_PS5_SB_
		.amdhsa_group_segment_fixed_size 0
		.amdhsa_private_segment_fixed_size 0
		.amdhsa_kernarg_size 320
		.amdhsa_user_sgpr_count 2
		.amdhsa_user_sgpr_dispatch_ptr 0
		.amdhsa_user_sgpr_queue_ptr 0
		.amdhsa_user_sgpr_kernarg_segment_ptr 1
		.amdhsa_user_sgpr_dispatch_id 0
		.amdhsa_user_sgpr_kernarg_preload_length 0
		.amdhsa_user_sgpr_kernarg_preload_offset 0
		.amdhsa_user_sgpr_private_segment_size 0
		.amdhsa_uses_dynamic_stack 0
		.amdhsa_enable_private_segment 0
		.amdhsa_system_sgpr_workgroup_id_x 1
		.amdhsa_system_sgpr_workgroup_id_y 1
		.amdhsa_system_sgpr_workgroup_id_z 0
		.amdhsa_system_sgpr_workgroup_info 0
		.amdhsa_system_vgpr_workitem_id 1
		.amdhsa_next_free_vgpr 56
		.amdhsa_next_free_sgpr 32
		.amdhsa_accum_offset 56
		.amdhsa_reserve_vcc 1
		.amdhsa_float_round_mode_32 0
		.amdhsa_float_round_mode_16_64 0
		.amdhsa_float_denorm_mode_32 3
		.amdhsa_float_denorm_mode_16_64 3
		.amdhsa_dx10_clamp 1
		.amdhsa_ieee_mode 1
		.amdhsa_fp16_overflow 0
		.amdhsa_tg_split 0
		.amdhsa_exception_fp_ieee_invalid_op 0
		.amdhsa_exception_fp_denorm_src 0
		.amdhsa_exception_fp_ieee_div_zero 0
		.amdhsa_exception_fp_ieee_overflow 0
		.amdhsa_exception_fp_ieee_underflow 0
		.amdhsa_exception_fp_ieee_inexact 0
		.amdhsa_exception_int_div_zero 0
	.end_amdhsa_kernel
	.section	.text._ZN2at6native12_GLOBAL__N_135GammaBetaBackwardCUDAKernelTemplateIN3c104HalfEfLj32ELj16ELj128ELb0ELb1ELb0EEEvllPKT_S7_PKT0_SA_PS5_SB_,"axG",@progbits,_ZN2at6native12_GLOBAL__N_135GammaBetaBackwardCUDAKernelTemplateIN3c104HalfEfLj32ELj16ELj128ELb0ELb1ELb0EEEvllPKT_S7_PKT0_SA_PS5_SB_,comdat
.Lfunc_end89:
	.size	_ZN2at6native12_GLOBAL__N_135GammaBetaBackwardCUDAKernelTemplateIN3c104HalfEfLj32ELj16ELj128ELb0ELb1ELb0EEEvllPKT_S7_PKT0_SA_PS5_SB_, .Lfunc_end89-_ZN2at6native12_GLOBAL__N_135GammaBetaBackwardCUDAKernelTemplateIN3c104HalfEfLj32ELj16ELj128ELb0ELb1ELb0EEEvllPKT_S7_PKT0_SA_PS5_SB_
                                        ; -- End function
	.set _ZN2at6native12_GLOBAL__N_135GammaBetaBackwardCUDAKernelTemplateIN3c104HalfEfLj32ELj16ELj128ELb0ELb1ELb0EEEvllPKT_S7_PKT0_SA_PS5_SB_.num_vgpr, 56
	.set _ZN2at6native12_GLOBAL__N_135GammaBetaBackwardCUDAKernelTemplateIN3c104HalfEfLj32ELj16ELj128ELb0ELb1ELb0EEEvllPKT_S7_PKT0_SA_PS5_SB_.num_agpr, 0
	.set _ZN2at6native12_GLOBAL__N_135GammaBetaBackwardCUDAKernelTemplateIN3c104HalfEfLj32ELj16ELj128ELb0ELb1ELb0EEEvllPKT_S7_PKT0_SA_PS5_SB_.numbered_sgpr, 32
	.set _ZN2at6native12_GLOBAL__N_135GammaBetaBackwardCUDAKernelTemplateIN3c104HalfEfLj32ELj16ELj128ELb0ELb1ELb0EEEvllPKT_S7_PKT0_SA_PS5_SB_.num_named_barrier, 0
	.set _ZN2at6native12_GLOBAL__N_135GammaBetaBackwardCUDAKernelTemplateIN3c104HalfEfLj32ELj16ELj128ELb0ELb1ELb0EEEvllPKT_S7_PKT0_SA_PS5_SB_.private_seg_size, 0
	.set _ZN2at6native12_GLOBAL__N_135GammaBetaBackwardCUDAKernelTemplateIN3c104HalfEfLj32ELj16ELj128ELb0ELb1ELb0EEEvllPKT_S7_PKT0_SA_PS5_SB_.uses_vcc, 1
	.set _ZN2at6native12_GLOBAL__N_135GammaBetaBackwardCUDAKernelTemplateIN3c104HalfEfLj32ELj16ELj128ELb0ELb1ELb0EEEvllPKT_S7_PKT0_SA_PS5_SB_.uses_flat_scratch, 0
	.set _ZN2at6native12_GLOBAL__N_135GammaBetaBackwardCUDAKernelTemplateIN3c104HalfEfLj32ELj16ELj128ELb0ELb1ELb0EEEvllPKT_S7_PKT0_SA_PS5_SB_.has_dyn_sized_stack, 0
	.set _ZN2at6native12_GLOBAL__N_135GammaBetaBackwardCUDAKernelTemplateIN3c104HalfEfLj32ELj16ELj128ELb0ELb1ELb0EEEvllPKT_S7_PKT0_SA_PS5_SB_.has_recursion, 0
	.set _ZN2at6native12_GLOBAL__N_135GammaBetaBackwardCUDAKernelTemplateIN3c104HalfEfLj32ELj16ELj128ELb0ELb1ELb0EEEvllPKT_S7_PKT0_SA_PS5_SB_.has_indirect_call, 0
	.section	.AMDGPU.csdata,"",@progbits
; Kernel info:
; codeLenInByte = 2432
; TotalNumSgprs: 38
; NumVgprs: 56
; NumAgprs: 0
; TotalNumVgprs: 56
; ScratchSize: 0
; MemoryBound: 0
; FloatMode: 240
; IeeeMode: 1
; LDSByteSize: 0 bytes/workgroup (compile time only)
; SGPRBlocks: 4
; VGPRBlocks: 6
; NumSGPRsForWavesPerEU: 38
; NumVGPRsForWavesPerEU: 56
; AccumOffset: 56
; Occupancy: 8
; WaveLimiterHint : 0
; COMPUTE_PGM_RSRC2:SCRATCH_EN: 0
; COMPUTE_PGM_RSRC2:USER_SGPR: 2
; COMPUTE_PGM_RSRC2:TRAP_HANDLER: 0
; COMPUTE_PGM_RSRC2:TGID_X_EN: 1
; COMPUTE_PGM_RSRC2:TGID_Y_EN: 1
; COMPUTE_PGM_RSRC2:TGID_Z_EN: 0
; COMPUTE_PGM_RSRC2:TIDIG_COMP_CNT: 1
; COMPUTE_PGM_RSRC3_GFX90A:ACCUM_OFFSET: 13
; COMPUTE_PGM_RSRC3_GFX90A:TG_SPLIT: 0
	.section	.text._ZN2at6native12_GLOBAL__N_135GammaBetaBackwardCUDAKernelTemplateIN3c104HalfEfLj32ELj16ELj128ELb0ELb0ELb0EEEvllPKT_S7_PKT0_SA_PS5_SB_,"axG",@progbits,_ZN2at6native12_GLOBAL__N_135GammaBetaBackwardCUDAKernelTemplateIN3c104HalfEfLj32ELj16ELj128ELb0ELb0ELb0EEEvllPKT_S7_PKT0_SA_PS5_SB_,comdat
	.globl	_ZN2at6native12_GLOBAL__N_135GammaBetaBackwardCUDAKernelTemplateIN3c104HalfEfLj32ELj16ELj128ELb0ELb0ELb0EEEvllPKT_S7_PKT0_SA_PS5_SB_ ; -- Begin function _ZN2at6native12_GLOBAL__N_135GammaBetaBackwardCUDAKernelTemplateIN3c104HalfEfLj32ELj16ELj128ELb0ELb0ELb0EEEvllPKT_S7_PKT0_SA_PS5_SB_
	.p2align	8
	.type	_ZN2at6native12_GLOBAL__N_135GammaBetaBackwardCUDAKernelTemplateIN3c104HalfEfLj32ELj16ELj128ELb0ELb0ELb0EEEvllPKT_S7_PKT0_SA_PS5_SB_,@function
_ZN2at6native12_GLOBAL__N_135GammaBetaBackwardCUDAKernelTemplateIN3c104HalfEfLj32ELj16ELj128ELb0ELb0ELb0EEEvllPKT_S7_PKT0_SA_PS5_SB_: ; @_ZN2at6native12_GLOBAL__N_135GammaBetaBackwardCUDAKernelTemplateIN3c104HalfEfLj32ELj16ELj128ELb0ELb0ELb0EEEvllPKT_S7_PKT0_SA_PS5_SB_
; %bb.0:
	s_load_dwordx8 s[8:15], s[0:1], 0x0
	s_load_dwordx4 s[16:19], s[0:1], 0x20
	s_lshl_b32 s33, s2, 5
	s_mov_b32 s21, 0
	s_lshl_b32 s20, s3, 7
	s_or_b32 s4, s33, 31
	v_mov_b64_e32 v[2:3], s[20:21]
	v_mov_b32_e32 v28, s4
	v_mov_b32_e32 v29, 0
	s_waitcnt lgkmcnt(0)
	v_cmp_gt_i64_e64 s[4:5], s[8:9], v[2:3]
	v_cmp_le_i64_e32 vcc, s[10:11], v[28:29]
	s_nop 0
	v_cndmask_b32_e64 v1, 0, 1, s[4:5]
	v_cmp_ne_u32_e64 s[4:5], 1, v1
	s_cbranch_vccz .LBB90_48
; %bb.1:
	s_and_b64 vcc, exec, s[4:5]
	v_mov_b32_e32 v28, 0
	s_cbranch_vccnz .LBB90_49
; %bb.2:
	v_and_b32_e32 v1, 0x3ff, v0
	v_mov_b32_e32 v2, 0
	v_bfe_u32 v62, v0, 10, 10
	v_add_u32_e32 v4, s33, v1
	v_mov_b32_e32 v5, v2
	v_lshlrev_b32_e32 v20, 3, v62
	v_mov_b32_e32 v21, v2
	v_cmp_gt_i64_e64 s[6:7], s[10:11], v[4:5]
	v_lshlrev_b64 v[22:23], 1, v[4:5]
	v_lshl_add_u64 v[4:5], v[20:21], 0, s[20:21]
	v_mul_lo_u32 v3, s11, v4
	v_mul_lo_u32 v8, s10, v5
	v_mad_u64_u32 v[6:7], s[24:25], s10, v4, 0
	v_add3_u32 v7, v7, v8, v3
	v_lshlrev_b64 v[6:7], 1, v[6:7]
	v_lshl_add_u64 v[24:25], s[12:13], 0, v[6:7]
	v_lshl_add_u64 v[26:27], s[14:15], 0, v[6:7]
	v_lshl_add_u64 v[6:7], v[4:5], 0, 7
	v_mul_lo_u32 v9, s11, v6
	v_mul_lo_u32 v10, s10, v7
	v_mad_u64_u32 v[6:7], s[26:27], s10, v6, 0
	v_add3_u32 v7, v7, v10, v9
	v_lshlrev_b64 v[6:7], 1, v[6:7]
	v_lshl_add_u64 v[30:31], s[12:13], 0, v[6:7]
	v_lshl_add_u64 v[32:33], s[14:15], 0, v[6:7]
	;; [unrolled: 8-line block ×5, first 2 shown]
	v_lshl_add_u64 v[6:7], v[4:5], 0, 3
	v_mul_lo_u32 v9, s11, v6
	v_mul_lo_u32 v10, s10, v7
	v_mad_u64_u32 v[6:7], s[26:27], s10, v6, 0
	v_add3_u32 v7, v7, v10, v9
	s_load_dword s3, s[0:1], 0x44
	v_lshlrev_b64 v[6:7], 1, v[6:7]
	v_lshl_add_u64 v[46:47], s[12:13], 0, v[6:7]
	v_lshl_add_u64 v[48:49], s[14:15], 0, v[6:7]
	;; [unrolled: 1-line block ×3, first 2 shown]
	v_mul_lo_u32 v5, s11, v6
	v_mul_lo_u32 v9, s10, v7
	v_mad_u64_u32 v[6:7], s[26:27], s10, v6, 0
	v_add3_u32 v7, v7, v9, v5
	s_add_u32 s22, s0, 64
	v_lshlrev_b64 v[6:7], 1, v[6:7]
	s_addc_u32 s23, s1, 0
	s_waitcnt lgkmcnt(0)
	s_lshl_b32 s3, s3, 7
	v_lshl_add_u64 v[50:51], s[12:13], 0, v[6:7]
	v_lshl_add_u64 v[52:53], s[14:15], 0, v[6:7]
	v_mov_b64_e32 v[6:7], s[10:11]
	s_mul_i32 s24, s11, s3
	s_mul_hi_u32 s25, s10, s3
	v_mad_u64_u32 v[4:5], s[26:27], s10, v4, v[6:7]
	s_add_i32 s25, s25, s24
	s_mul_i32 s24, s10, s3
	v_add3_u32 v5, v3, v5, v8
	v_mbcnt_lo_u32_b32 v3, -1, 0
	s_lshl_b64 s[24:25], s[24:25], 1
	v_mbcnt_hi_u32_b32 v3, -1, v3
	v_lshlrev_b64 v[4:5], 1, v[4:5]
	s_add_u32 s26, s20, 0x7f
	s_movk_i32 s28, 0xff81
	s_movk_i32 s30, 0xff82
	;; [unrolled: 1-line block ×8, first 2 shown]
	v_lshlrev_b32_e32 v3, 2, v3
	v_lshl_add_u64 v[54:55], s[12:13], 0, v[4:5]
	v_lshl_add_u64 v[56:57], s[14:15], 0, v[4:5]
	s_addc_u32 s27, 0, 0
	s_mov_b32 s29, -1
	s_mov_b32 s31, -1
	;; [unrolled: 1-line block ×8, first 2 shown]
	v_and_b32_e32 v63, 0x100, v3
	s_mov_b64 s[46:47], s[20:21]
	v_mov_b32_e32 v28, 0
	v_mov_b32_e32 v29, v2
	s_branch .LBB90_5
.LBB90_3:                               ;   in Loop: Header=BB90_5 Depth=1
	s_or_b64 exec, exec, s[48:49]
	s_waitcnt vmcnt(1)
	ds_bpermute_b32 v3, v63, v61
	ds_bpermute_b32 v58, v63, v61 offset:4
	s_waitcnt vmcnt(0)
	ds_bpermute_b32 v59, v63, v60
	ds_bpermute_b32 v64, v63, v60 offset:4
	v_mov_b32_e32 v66, v8
	s_waitcnt lgkmcnt(3)
	v_sub_f32_e32 v3, v12, v3
	v_mul_f32_e32 v3, v4, v3
	s_waitcnt lgkmcnt(2)
	v_sub_f32_e32 v12, v13, v58
	s_waitcnt lgkmcnt(1)
	v_mul_f32_e32 v13, v3, v59
	ds_bpermute_b32 v3, v63, v61 offset:8
	v_mul_f32_e32 v12, v5, v12
	s_waitcnt lgkmcnt(1)
	v_mul_f32_e32 v59, v12, v64
	ds_bpermute_b32 v12, v63, v60 offset:8
	ds_bpermute_b32 v58, v63, v61 offset:12
	s_waitcnt lgkmcnt(2)
	v_sub_f32_e32 v3, v14, v3
	ds_bpermute_b32 v14, v63, v60 offset:12
	v_mul_f32_e32 v3, v6, v3
	s_waitcnt lgkmcnt(2)
	v_mul_f32_e32 v65, v3, v12
	s_waitcnt lgkmcnt(1)
	v_sub_f32_e32 v3, v15, v58
	ds_bpermute_b32 v12, v63, v61 offset:16
	v_mul_f32_e32 v3, v7, v3
	s_waitcnt lgkmcnt(1)
	v_mul_f32_e32 v15, v3, v14
	ds_bpermute_b32 v3, v63, v60 offset:16
	ds_bpermute_b32 v14, v63, v61 offset:20
	s_waitcnt lgkmcnt(2)
	v_sub_f32_e32 v12, v16, v12
	ds_bpermute_b32 v16, v63, v60 offset:20
	v_mul_f32_e32 v12, v8, v12
	s_waitcnt lgkmcnt(2)
	v_mul_f32_e32 v67, v12, v3
	v_mov_b32_e32 v12, v4
	s_waitcnt lgkmcnt(1)
	v_sub_f32_e32 v3, v17, v14
	v_pk_add_f32 v[12:13], v[28:29], v[12:13]
	v_mov_b32_e32 v58, v5
	v_mul_f32_e32 v3, v9, v3
	v_pk_add_f32 v[4:5], v[58:59], v[12:13]
	v_mov_b32_e32 v64, v6
	s_waitcnt lgkmcnt(0)
	v_mul_f32_e32 v17, v3, v16
	v_pk_add_f32 v[4:5], v[64:65], v[4:5]
	v_mov_b32_e32 v14, v7
	ds_bpermute_b32 v3, v63, v61 offset:24
	v_pk_add_f32 v[4:5], v[14:15], v[4:5]
	v_mov_b32_e32 v16, v9
	v_pk_add_f32 v[4:5], v[66:67], v[4:5]
	s_waitcnt lgkmcnt(0)
	v_sub_f32_e32 v8, v18, v3
	v_pk_add_f32 v[6:7], v[16:17], v[4:5]
	ds_bpermute_b32 v5, v63, v60 offset:24
	ds_bpermute_b32 v3, v63, v60 offset:28
	;; [unrolled: 1-line block ×3, first 2 shown]
	v_mul_f32_e32 v8, v10, v8
	s_waitcnt lgkmcnt(2)
	v_mul_f32_e32 v9, v8, v5
	v_mov_b32_e32 v8, v10
	v_pk_add_f32 v[60:61], v[8:9], v[6:7]
.LBB90_4:                               ;   in Loop: Header=BB90_5 Depth=1
	s_waitcnt lgkmcnt(0)
	v_sub_f32_e32 v4, v19, v4
	v_mul_f32_e32 v4, v11, v4
	v_mul_f32_e32 v5, v4, v3
	v_mov_b32_e32 v4, v11
	s_add_u32 s46, s46, s3
	v_pk_add_f32 v[28:29], v[60:61], v[4:5]
	s_addc_u32 s47, s47, 0
	v_mov_b64_e32 v[4:5], s[8:9]
	s_add_u32 s26, s26, s3
	v_cmp_lt_i64_e32 vcc, s[46:47], v[4:5]
	v_lshl_add_u64 v[24:25], v[24:25], 0, s[24:25]
	v_lshl_add_u64 v[26:27], v[26:27], 0, s[24:25]
	;; [unrolled: 1-line block ×16, first 2 shown]
	s_addc_u32 s27, s27, 0
	s_cbranch_vccz .LBB90_49
.LBB90_5:                               ; =>This Inner Loop Header: Depth=1
	v_mov_b64_e32 v[4:5], s[8:9]
	v_cmp_ge_i64_e32 vcc, s[26:27], v[4:5]
	v_lshl_add_u64 v[58:59], v[20:21], 0, s[26:27]
	s_mov_b64 s[48:49], -1
	s_and_b64 vcc, exec, vcc
                                        ; implicit-def: $vgpr4_vgpr5_vgpr6_vgpr7_vgpr8_vgpr9_vgpr10_vgpr11
                                        ; implicit-def: $vgpr60_vgpr61
                                        ; implicit-def: $vgpr3
                                        ; implicit-def: $vgpr12_vgpr13_vgpr14_vgpr15_vgpr16_vgpr17_vgpr18_vgpr19
                                        ; implicit-def: $vgpr4
	s_cbranch_vccz .LBB90_27
; %bb.6:                                ;   in Loop: Header=BB90_5 Depth=1
	s_load_dword s48, s[22:23], 0xc
	v_mov_b32_e32 v60, 0
	v_mov_b32_e32 v61, 0
	s_waitcnt lgkmcnt(0)
	s_and_b32 s48, s48, 0xffff
	v_mad_u32_u24 v3, v62, s48, v1
	v_and_b32_e32 v4, 63, v3
	v_cmp_gt_u32_e32 vcc, 8, v4
	s_and_saveexec_b64 s[48:49], vcc
	s_cbranch_execz .LBB90_10
; %bb.7:                                ;   in Loop: Header=BB90_5 Depth=1
	v_mov_b32_e32 v5, v2
	v_lshl_add_u64 v[4:5], v[58:59], 0, v[4:5]
	v_lshl_add_u64 v[4:5], v[4:5], 0, s[28:29]
	v_cmp_gt_i64_e32 vcc, s[8:9], v[4:5]
	v_mov_b32_e32 v61, 0
	v_mov_b32_e32 v60, 0
	s_and_saveexec_b64 s[50:51], vcc
	s_cbranch_execz .LBB90_9
; %bb.8:                                ;   in Loop: Header=BB90_5 Depth=1
	v_lshlrev_b64 v[4:5], 2, v[4:5]
	v_lshl_add_u64 v[6:7], s[18:19], 0, v[4:5]
	v_lshl_add_u64 v[4:5], s[16:17], 0, v[4:5]
	global_load_dword v61, v[4:5], off
	global_load_dword v60, v[6:7], off
.LBB90_9:                               ;   in Loop: Header=BB90_5 Depth=1
	s_or_b64 exec, exec, s[50:51]
.LBB90_10:                              ;   in Loop: Header=BB90_5 Depth=1
	s_or_b64 exec, exec, s[48:49]
	v_lshl_add_u64 v[4:5], v[58:59], 0, s[28:29]
	v_mov_b32_e32 v8, v2
	v_mov_b32_e32 v9, v2
	v_cmp_gt_i64_e32 vcc, s[8:9], v[4:5]
	v_mov_b32_e32 v3, v2
	v_mov_b32_e32 v4, v2
	;; [unrolled: 1-line block ×5, first 2 shown]
	v_mov_b64_e32 v[18:19], v[8:9]
	v_mov_b64_e32 v[16:17], v[6:7]
	;; [unrolled: 1-line block ×5, first 2 shown]
	s_and_b64 s[50:51], s[6:7], vcc
	v_mov_b64_e32 v[8:9], v[6:7]
	v_mov_b64_e32 v[6:7], v[4:5]
	;; [unrolled: 1-line block ×3, first 2 shown]
	s_and_saveexec_b64 s[48:49], s[50:51]
	s_cbranch_execz .LBB90_12
; %bb.11:                               ;   in Loop: Header=BB90_5 Depth=1
	v_lshl_add_u64 v[4:5], v[24:25], 0, v[22:23]
	global_load_ushort v3, v[4:5], off
	v_lshl_add_u64 v[4:5], v[26:27], 0, v[22:23]
	global_load_ushort v12, v[4:5], off
	v_mov_b32_e32 v5, v2
	v_mov_b32_e32 v6, v2
	;; [unrolled: 1-line block ×14, first 2 shown]
	s_waitcnt vmcnt(1)
	v_cvt_f32_f16_e32 v4, v3
	s_waitcnt vmcnt(0)
	v_cvt_f32_f16_e32 v12, v12
.LBB90_12:                              ;   in Loop: Header=BB90_5 Depth=1
	s_or_b64 exec, exec, s[48:49]
	v_lshl_add_u64 v[64:65], v[58:59], 0, s[30:31]
	v_cmp_gt_i64_e32 vcc, s[8:9], v[64:65]
	s_and_b64 s[50:51], s[6:7], vcc
	s_and_saveexec_b64 s[48:49], s[50:51]
	s_cbranch_execz .LBB90_14
; %bb.13:                               ;   in Loop: Header=BB90_5 Depth=1
	v_lshl_add_u64 v[64:65], v[54:55], 0, v[22:23]
	global_load_ushort v3, v[64:65], off
	v_lshl_add_u64 v[64:65], v[56:57], 0, v[22:23]
	global_load_ushort v13, v[64:65], off
	s_waitcnt vmcnt(1)
	v_cvt_f32_f16_e32 v5, v3
	s_waitcnt vmcnt(0)
	v_cvt_f32_f16_e32 v13, v13
.LBB90_14:                              ;   in Loop: Header=BB90_5 Depth=1
	s_or_b64 exec, exec, s[48:49]
	v_lshl_add_u64 v[64:65], v[58:59], 0, s[34:35]
	v_cmp_gt_i64_e32 vcc, s[8:9], v[64:65]
	s_and_b64 s[50:51], s[6:7], vcc
	s_and_saveexec_b64 s[48:49], s[50:51]
	s_cbranch_execz .LBB90_16
; %bb.15:                               ;   in Loop: Header=BB90_5 Depth=1
	v_lshl_add_u64 v[64:65], v[50:51], 0, v[22:23]
	global_load_ushort v3, v[64:65], off
	v_lshl_add_u64 v[64:65], v[52:53], 0, v[22:23]
	global_load_ushort v14, v[64:65], off
	s_waitcnt vmcnt(1)
	v_cvt_f32_f16_e32 v6, v3
	s_waitcnt vmcnt(0)
	v_cvt_f32_f16_e32 v14, v14
.LBB90_16:                              ;   in Loop: Header=BB90_5 Depth=1
	;; [unrolled: 16-line block ×7, first 2 shown]
	s_or_b64 exec, exec, s[48:49]
	s_waitcnt vmcnt(1)
	ds_bpermute_b32 v3, v63, v61
	ds_bpermute_b32 v64, v63, v61 offset:4
	s_waitcnt vmcnt(0)
	ds_bpermute_b32 v65, v63, v60
	ds_bpermute_b32 v66, v63, v60 offset:4
	v_mov_b32_e32 v68, v8
	s_waitcnt lgkmcnt(3)
	v_sub_f32_e32 v3, v12, v3
	v_mul_f32_e32 v3, v4, v3
	s_waitcnt lgkmcnt(2)
	v_sub_f32_e32 v12, v13, v64
	s_waitcnt lgkmcnt(1)
	v_mul_f32_e32 v13, v3, v65
	ds_bpermute_b32 v3, v63, v61 offset:8
	v_mul_f32_e32 v12, v5, v12
	s_waitcnt lgkmcnt(1)
	v_mul_f32_e32 v65, v12, v66
	ds_bpermute_b32 v12, v63, v60 offset:8
	ds_bpermute_b32 v64, v63, v61 offset:12
	s_waitcnt lgkmcnt(2)
	v_sub_f32_e32 v3, v14, v3
	ds_bpermute_b32 v14, v63, v60 offset:12
	v_mul_f32_e32 v3, v6, v3
	s_waitcnt lgkmcnt(2)
	v_mul_f32_e32 v67, v3, v12
	ds_bpermute_b32 v12, v63, v61 offset:16
	s_waitcnt lgkmcnt(2)
	v_sub_f32_e32 v3, v15, v64
	v_mul_f32_e32 v3, v7, v3
	s_waitcnt lgkmcnt(1)
	v_mul_f32_e32 v15, v3, v14
	ds_bpermute_b32 v3, v63, v60 offset:16
	ds_bpermute_b32 v14, v63, v61 offset:20
	s_waitcnt lgkmcnt(2)
	v_sub_f32_e32 v12, v16, v12
	ds_bpermute_b32 v16, v63, v60 offset:20
	v_mul_f32_e32 v12, v8, v12
	s_waitcnt lgkmcnt(2)
	v_mul_f32_e32 v69, v12, v3
	s_waitcnt lgkmcnt(1)
	v_sub_f32_e32 v3, v17, v14
	v_mov_b32_e32 v12, v4
	v_mul_f32_e32 v3, v9, v3
	v_pk_add_f32 v[12:13], v[28:29], v[12:13]
	v_mov_b32_e32 v64, v5
	s_waitcnt lgkmcnt(0)
	v_mul_f32_e32 v17, v3, v16
	v_pk_add_f32 v[4:5], v[64:65], v[12:13]
	v_mov_b32_e32 v66, v6
	ds_bpermute_b32 v3, v63, v61 offset:24
	v_pk_add_f32 v[4:5], v[66:67], v[4:5]
	v_mov_b32_e32 v14, v7
	v_pk_add_f32 v[4:5], v[14:15], v[4:5]
	v_mov_b32_e32 v16, v9
	v_pk_add_f32 v[4:5], v[68:69], v[4:5]
	s_waitcnt lgkmcnt(0)
	v_sub_f32_e32 v3, v18, v3
	v_pk_add_f32 v[6:7], v[16:17], v[4:5]
	ds_bpermute_b32 v5, v63, v60 offset:24
	v_mul_f32_e32 v8, v10, v3
	ds_bpermute_b32 v3, v63, v60 offset:28
	ds_bpermute_b32 v4, v63, v61 offset:28
	s_mov_b64 s[48:49], 0
	s_waitcnt lgkmcnt(2)
	v_mul_f32_e32 v9, v8, v5
	v_mov_b32_e32 v8, v10
	v_pk_add_f32 v[60:61], v[8:9], v[6:7]
.LBB90_27:                              ;   in Loop: Header=BB90_5 Depth=1
	s_and_b64 vcc, exec, s[48:49]
	s_cbranch_vccz .LBB90_4
; %bb.28:                               ;   in Loop: Header=BB90_5 Depth=1
	s_load_dword s48, s[22:23], 0x0
	v_mov_b32_e32 v60, 0
	v_mov_b32_e32 v61, 0
	s_waitcnt lgkmcnt(0)
	s_cmp_lt_u32 s2, s48
	s_cselect_b32 s48, 12, 18
	s_add_u32 s48, s22, s48
	s_addc_u32 s49, s23, 0
	global_load_ushort v3, v2, s[48:49]
	s_waitcnt vmcnt(0)
	v_mad_u32_u24 v3, v62, v3, v1
	v_and_b32_e32 v4, 63, v3
	v_cmp_gt_u32_e32 vcc, 8, v4
	s_and_saveexec_b64 s[48:49], vcc
	s_cbranch_execz .LBB90_32
; %bb.29:                               ;   in Loop: Header=BB90_5 Depth=1
	v_mov_b32_e32 v5, v2
	v_lshl_add_u64 v[4:5], v[58:59], 0, v[4:5]
	v_lshl_add_u64 v[4:5], v[4:5], 0, s[28:29]
	v_cmp_gt_i64_e32 vcc, s[8:9], v[4:5]
	v_mov_b32_e32 v61, 0
	v_mov_b32_e32 v60, 0
	s_and_saveexec_b64 s[50:51], vcc
	s_cbranch_execz .LBB90_31
; %bb.30:                               ;   in Loop: Header=BB90_5 Depth=1
	v_lshlrev_b64 v[4:5], 2, v[4:5]
	v_lshl_add_u64 v[6:7], s[18:19], 0, v[4:5]
	v_lshl_add_u64 v[4:5], s[16:17], 0, v[4:5]
	global_load_dword v61, v[4:5], off
	global_load_dword v60, v[6:7], off
.LBB90_31:                              ;   in Loop: Header=BB90_5 Depth=1
	s_or_b64 exec, exec, s[50:51]
.LBB90_32:                              ;   in Loop: Header=BB90_5 Depth=1
	s_or_b64 exec, exec, s[48:49]
	v_mov_b32_e32 v8, v2
	v_mov_b32_e32 v9, v2
	;; [unrolled: 1-line block ×7, first 2 shown]
	v_mov_b64_e32 v[18:19], v[8:9]
	v_mov_b64_e32 v[16:17], v[6:7]
	;; [unrolled: 1-line block ×8, first 2 shown]
	s_and_saveexec_b64 s[48:49], s[6:7]
	s_cbranch_execnz .LBB90_40
; %bb.33:                               ;   in Loop: Header=BB90_5 Depth=1
	s_or_b64 exec, exec, s[48:49]
	s_and_saveexec_b64 s[48:49], s[6:7]
	s_cbranch_execnz .LBB90_41
.LBB90_34:                              ;   in Loop: Header=BB90_5 Depth=1
	s_or_b64 exec, exec, s[48:49]
	s_and_saveexec_b64 s[48:49], s[6:7]
	s_cbranch_execnz .LBB90_42
.LBB90_35:                              ;   in Loop: Header=BB90_5 Depth=1
	s_or_b64 exec, exec, s[48:49]
	s_and_saveexec_b64 s[48:49], s[6:7]
	s_cbranch_execnz .LBB90_43
.LBB90_36:                              ;   in Loop: Header=BB90_5 Depth=1
	s_or_b64 exec, exec, s[48:49]
	s_and_saveexec_b64 s[48:49], s[6:7]
	s_cbranch_execnz .LBB90_44
.LBB90_37:                              ;   in Loop: Header=BB90_5 Depth=1
	s_or_b64 exec, exec, s[48:49]
	s_and_saveexec_b64 s[48:49], s[6:7]
	s_cbranch_execnz .LBB90_45
.LBB90_38:                              ;   in Loop: Header=BB90_5 Depth=1
	s_or_b64 exec, exec, s[48:49]
	s_and_saveexec_b64 s[48:49], s[6:7]
	s_cbranch_execnz .LBB90_46
.LBB90_39:                              ;   in Loop: Header=BB90_5 Depth=1
	s_or_b64 exec, exec, s[48:49]
	s_and_saveexec_b64 s[48:49], s[6:7]
	s_cbranch_execz .LBB90_3
	s_branch .LBB90_47
.LBB90_40:                              ;   in Loop: Header=BB90_5 Depth=1
	v_lshl_add_u64 v[4:5], v[24:25], 0, v[22:23]
	global_load_ushort v3, v[4:5], off
	v_lshl_add_u64 v[4:5], v[26:27], 0, v[22:23]
	global_load_ushort v12, v[4:5], off
	v_mov_b32_e32 v5, v2
	v_mov_b32_e32 v6, v2
	;; [unrolled: 1-line block ×14, first 2 shown]
	s_waitcnt vmcnt(1)
	v_cvt_f32_f16_e32 v4, v3
	s_waitcnt vmcnt(0)
	v_cvt_f32_f16_e32 v12, v12
	s_or_b64 exec, exec, s[48:49]
	s_and_saveexec_b64 s[48:49], s[6:7]
	s_cbranch_execz .LBB90_34
.LBB90_41:                              ;   in Loop: Header=BB90_5 Depth=1
	v_lshl_add_u64 v[58:59], v[54:55], 0, v[22:23]
	global_load_ushort v3, v[58:59], off
	v_lshl_add_u64 v[58:59], v[56:57], 0, v[22:23]
	global_load_ushort v13, v[58:59], off
	s_waitcnt vmcnt(1)
	v_cvt_f32_f16_e32 v5, v3
	s_waitcnt vmcnt(0)
	v_cvt_f32_f16_e32 v13, v13
	s_or_b64 exec, exec, s[48:49]
	s_and_saveexec_b64 s[48:49], s[6:7]
	s_cbranch_execz .LBB90_35
.LBB90_42:                              ;   in Loop: Header=BB90_5 Depth=1
	v_lshl_add_u64 v[58:59], v[50:51], 0, v[22:23]
	global_load_ushort v3, v[58:59], off
	v_lshl_add_u64 v[58:59], v[52:53], 0, v[22:23]
	global_load_ushort v14, v[58:59], off
	s_waitcnt vmcnt(1)
	v_cvt_f32_f16_e32 v6, v3
	s_waitcnt vmcnt(0)
	v_cvt_f32_f16_e32 v14, v14
	s_or_b64 exec, exec, s[48:49]
	s_and_saveexec_b64 s[48:49], s[6:7]
	s_cbranch_execz .LBB90_36
.LBB90_43:                              ;   in Loop: Header=BB90_5 Depth=1
	v_lshl_add_u64 v[58:59], v[46:47], 0, v[22:23]
	global_load_ushort v3, v[58:59], off
	v_lshl_add_u64 v[58:59], v[48:49], 0, v[22:23]
	global_load_ushort v15, v[58:59], off
	s_waitcnt vmcnt(1)
	v_cvt_f32_f16_e32 v7, v3
	s_waitcnt vmcnt(0)
	v_cvt_f32_f16_e32 v15, v15
	s_or_b64 exec, exec, s[48:49]
	s_and_saveexec_b64 s[48:49], s[6:7]
	s_cbranch_execz .LBB90_37
.LBB90_44:                              ;   in Loop: Header=BB90_5 Depth=1
	v_lshl_add_u64 v[58:59], v[42:43], 0, v[22:23]
	global_load_ushort v3, v[58:59], off
	v_lshl_add_u64 v[58:59], v[44:45], 0, v[22:23]
	global_load_ushort v16, v[58:59], off
	s_waitcnt vmcnt(1)
	v_cvt_f32_f16_e32 v8, v3
	s_waitcnt vmcnt(0)
	v_cvt_f32_f16_e32 v16, v16
	s_or_b64 exec, exec, s[48:49]
	s_and_saveexec_b64 s[48:49], s[6:7]
	s_cbranch_execz .LBB90_38
.LBB90_45:                              ;   in Loop: Header=BB90_5 Depth=1
	v_lshl_add_u64 v[58:59], v[38:39], 0, v[22:23]
	global_load_ushort v3, v[58:59], off
	v_lshl_add_u64 v[58:59], v[40:41], 0, v[22:23]
	global_load_ushort v17, v[58:59], off
	s_waitcnt vmcnt(1)
	v_cvt_f32_f16_e32 v9, v3
	s_waitcnt vmcnt(0)
	v_cvt_f32_f16_e32 v17, v17
	s_or_b64 exec, exec, s[48:49]
	s_and_saveexec_b64 s[48:49], s[6:7]
	s_cbranch_execz .LBB90_39
.LBB90_46:                              ;   in Loop: Header=BB90_5 Depth=1
	v_lshl_add_u64 v[58:59], v[34:35], 0, v[22:23]
	global_load_ushort v3, v[58:59], off
	v_lshl_add_u64 v[58:59], v[36:37], 0, v[22:23]
	global_load_ushort v18, v[58:59], off
	s_waitcnt vmcnt(1)
	v_cvt_f32_f16_e32 v10, v3
	s_waitcnt vmcnt(0)
	v_cvt_f32_f16_e32 v18, v18
	s_or_b64 exec, exec, s[48:49]
	s_and_saveexec_b64 s[48:49], s[6:7]
	s_cbranch_execz .LBB90_3
.LBB90_47:                              ;   in Loop: Header=BB90_5 Depth=1
	v_lshl_add_u64 v[58:59], v[30:31], 0, v[22:23]
	global_load_ushort v3, v[58:59], off
	v_lshl_add_u64 v[58:59], v[32:33], 0, v[22:23]
	global_load_ushort v19, v[58:59], off
	s_waitcnt vmcnt(1)
	v_cvt_f32_f16_e32 v11, v3
	s_waitcnt vmcnt(0)
	v_cvt_f32_f16_e32 v19, v19
	s_branch .LBB90_3
.LBB90_48:
                                        ; implicit-def: $vgpr29
	s_branch .LBB90_50
.LBB90_49:
	s_cbranch_execnz .LBB90_81
.LBB90_50:
	v_mov_b32_e32 v29, 0
	s_and_b64 vcc, exec, s[4:5]
	v_mov_b32_e32 v28, v29
	s_cbranch_vccnz .LBB90_81
; %bb.51:
	v_mov_b32_e32 v2, 0
	v_bfe_u32 v90, v0, 10, 10
	v_lshlrev_b32_e32 v6, 4, v90
	v_mov_b32_e32 v7, v2
	v_lshl_add_u64 v[6:7], s[20:21], 1, v[6:7]
	v_lshl_add_u64 v[8:9], v[6:7], 0, 2
	v_mov_b64_e32 v[10:11], s[12:13]
	v_lshl_add_u64 v[12:13], v[6:7], 0, 4
	v_lshl_add_u64 v[14:15], v[6:7], 0, 6
	;; [unrolled: 1-line block ×6, first 2 shown]
	v_mad_u64_u32 v[22:23], s[4:5], s10, v8, v[10:11]
	v_mad_u64_u32 v[24:25], s[4:5], s10, v12, v[10:11]
	v_mad_u64_u32 v[26:27], s[4:5], s10, v14, v[10:11]
	v_mad_u64_u32 v[30:31], s[4:5], s10, v16, v[10:11]
	v_mad_u64_u32 v[32:33], s[4:5], s10, v18, v[10:11]
	v_mad_u64_u32 v[34:35], s[4:5], s10, v28, v[10:11]
	v_mad_u64_u32 v[36:37], s[4:5], s10, v6, v[10:11]
	v_mov_b64_e32 v[10:11], s[14:15]
	v_mul_lo_u32 v9, s10, v9
	v_mul_lo_u32 v40, s11, v8
	v_mad_u64_u32 v[38:39], s[4:5], s10, v8, v[10:11]
	v_add3_u32 v23, v40, v23, v9
	v_mul_lo_u32 v13, s10, v13
	v_mul_lo_u32 v42, s11, v12
	v_add3_u32 v39, v40, v39, v9
	v_mad_u64_u32 v[40:41], s[4:5], s10, v12, v[10:11]
	v_add3_u32 v25, v42, v25, v13
	v_mul_lo_u32 v15, s10, v15
	v_mul_lo_u32 v44, s11, v14
	v_add3_u32 v41, v42, v41, v13
	;; [unrolled: 5-line block ×4, first 2 shown]
	v_mad_u64_u32 v[46:47], s[4:5], s10, v18, v[10:11]
	v_lshlrev_b32_e32 v20, 3, v90
	v_mov_b32_e32 v21, v2
	v_add3_u32 v33, v48, v33, v19
	v_mul_lo_u32 v29, s10, v29
	v_mul_lo_u32 v50, s11, v28
	v_add3_u32 v47, v48, v47, v19
	v_mad_u64_u32 v[48:49], s[4:5], s10, v28, v[10:11]
	v_lshl_add_u64 v[4:5], v[20:21], 0, s[20:21]
	v_add3_u32 v35, v50, v35, v29
	v_mul_lo_u32 v7, s10, v7
	v_mul_lo_u32 v8, s11, v6
	v_add3_u32 v49, v50, v49, v29
	v_mad_u64_u32 v[50:51], s[4:5], s10, v6, v[10:11]
	v_add3_u32 v37, v8, v37, v7
	v_add3_u32 v51, v8, v51, v7
	v_lshl_add_u64 v[6:7], v[4:5], 0, 7
	v_mul_lo_u32 v8, s11, v6
	v_mul_lo_u32 v9, s10, v7
	v_mad_u64_u32 v[6:7], s[4:5], s10, v6, 0
	v_add3_u32 v7, v7, v9, v8
	v_lshl_add_u64 v[8:9], v[4:5], 0, 6
	v_mul_lo_u32 v10, s11, v8
	v_mul_lo_u32 v11, s10, v9
	v_mad_u64_u32 v[8:9], s[4:5], s10, v8, 0
	;; [unrolled: 5-line block ×5, first 2 shown]
	v_add3_u32 v15, v15, v17, v16
	v_lshl_add_u64 v[16:17], v[4:5], 0, 2
	v_mul_lo_u32 v52, s10, v5
	v_mul_lo_u32 v5, s11, v16
	;; [unrolled: 1-line block ×3, first 2 shown]
	v_mad_u64_u32 v[16:17], s[4:5], s10, v16, 0
	v_add3_u32 v17, v17, v18, v5
	v_mov_b64_e32 v[18:19], s[10:11]
	v_mul_lo_u32 v3, s11, v4
	v_mad_u64_u32 v[18:19], s[4:5], s10, v4, v[18:19]
	v_mad_u64_u32 v[4:5], s[4:5], s10, v4, 0
	s_load_dword s3, s[0:1], 0x44
	v_add3_u32 v5, v5, v52, v3
	v_lshlrev_b64 v[4:5], 1, v[4:5]
	v_lshl_add_u64 v[54:55], s[12:13], 0, v[4:5]
	v_lshl_add_u64 v[56:57], s[14:15], 0, v[4:5]
	v_lshlrev_b64 v[4:5], 1, v[6:7]
	v_lshl_add_u64 v[58:59], s[12:13], 0, v[4:5]
	v_lshl_add_u64 v[60:61], s[14:15], 0, v[4:5]
	v_lshlrev_b64 v[4:5], 1, v[8:9]
	s_add_u32 s4, s0, 64
	v_lshl_add_u64 v[62:63], s[12:13], 0, v[4:5]
	v_lshl_add_u64 v[64:65], s[14:15], 0, v[4:5]
	v_lshlrev_b64 v[4:5], 1, v[10:11]
	s_addc_u32 s5, s1, 0
	s_waitcnt lgkmcnt(0)
	s_lshl_b32 s3, s3, 7
	v_lshl_add_u64 v[66:67], s[12:13], 0, v[4:5]
	v_lshl_add_u64 v[68:69], s[14:15], 0, v[4:5]
	v_lshlrev_b64 v[4:5], 1, v[12:13]
	s_mul_i32 s6, s11, s3
	s_mul_hi_u32 s7, s10, s3
	v_lshl_add_u64 v[70:71], s[12:13], 0, v[4:5]
	v_lshl_add_u64 v[72:73], s[14:15], 0, v[4:5]
	v_lshlrev_b64 v[4:5], 1, v[14:15]
	v_add3_u32 v19, v3, v19, v52
	s_add_i32 s7, s7, s6
	s_mul_i32 s6, s10, s3
	v_lshl_add_u64 v[74:75], s[12:13], 0, v[4:5]
	v_lshl_add_u64 v[76:77], s[14:15], 0, v[4:5]
	v_lshlrev_b64 v[4:5], 1, v[16:17]
	v_mbcnt_lo_u32_b32 v3, -1, 0
	v_and_b32_e32 v1, 0x3ff, v0
	s_lshl_b64 s[6:7], s[6:7], 1
	v_lshl_add_u64 v[78:79], s[12:13], 0, v[4:5]
	v_lshl_add_u64 v[80:81], s[14:15], 0, v[4:5]
	v_lshlrev_b64 v[4:5], 1, v[18:19]
	v_mbcnt_hi_u32_b32 v3, -1, v3
	v_add_u32_e32 v28, s33, v1
	v_mov_b32_e32 v29, v2
	s_add_u32 s22, s20, 0x7f
	v_lshl_add_u64 v[82:83], s[12:13], 0, v[4:5]
	v_lshl_add_u64 v[84:85], s[14:15], 0, v[4:5]
	s_movk_i32 s12, 0xff81
	s_movk_i32 s14, 0xff82
	;; [unrolled: 1-line block ×8, first 2 shown]
	v_lshlrev_b32_e32 v3, 2, v3
	v_lshlrev_b64 v[52:53], 1, v[28:29]
	s_addc_u32 s23, 0, 0
	s_mov_b32 s13, -1
	s_mov_b32 s15, -1
	;; [unrolled: 1-line block ×8, first 2 shown]
	v_and_b32_e32 v91, 0x100, v3
	v_mov_b32_e32 v28, 0
	s_branch .LBB90_55
.LBB90_52:                              ;   in Loop: Header=BB90_55 Depth=1
	s_or_b64 exec, exec, s[40:41]
.LBB90_53:                              ;   in Loop: Header=BB90_55 Depth=1
	s_or_b64 exec, exec, s[38:39]
	v_lshl_add_u64 v[4:5], v[54:55], 0, v[52:53]
	global_load_ushort v7, v[4:5], off
	v_lshl_add_u64 v[4:5], v[56:57], 0, v[52:53]
	global_load_ushort v8, v[4:5], off
	v_lshl_add_u64 v[4:5], v[22:23], 0, v[52:53]
	global_load_ushort v9, v[4:5], off
	v_lshl_add_u64 v[4:5], v[38:39], 0, v[52:53]
	global_load_ushort v10, v[4:5], off
	v_lshl_add_u64 v[4:5], v[24:25], 0, v[52:53]
	global_load_ushort v11, v[4:5], off
	v_lshl_add_u64 v[4:5], v[40:41], 0, v[52:53]
	global_load_ushort v12, v[4:5], off
	v_lshl_add_u64 v[4:5], v[26:27], 0, v[52:53]
	global_load_ushort v13, v[4:5], off
	v_lshl_add_u64 v[4:5], v[42:43], 0, v[52:53]
	global_load_ushort v14, v[4:5], off
	v_lshl_add_u64 v[4:5], v[30:31], 0, v[52:53]
	global_load_ushort v15, v[4:5], off
	v_lshl_add_u64 v[4:5], v[44:45], 0, v[52:53]
	global_load_ushort v16, v[4:5], off
	v_lshl_add_u64 v[4:5], v[32:33], 0, v[52:53]
	global_load_ushort v17, v[4:5], off
	v_lshl_add_u64 v[4:5], v[46:47], 0, v[52:53]
	global_load_ushort v18, v[4:5], off
	v_lshl_add_u64 v[4:5], v[34:35], 0, v[52:53]
	global_load_ushort v19, v[4:5], off
	v_lshl_add_u64 v[4:5], v[48:49], 0, v[52:53]
	global_load_ushort v28, v[4:5], off
	v_lshl_add_u64 v[4:5], v[36:37], 0, v[52:53]
	global_load_ushort v29, v[4:5], off
	v_lshl_add_u64 v[4:5], v[50:51], 0, v[52:53]
	global_load_ushort v5, v[4:5], off
	s_waitcnt vmcnt(17)
	ds_bpermute_b32 v89, v91, v6
	ds_bpermute_b32 v93, v91, v6 offset:4
	ds_bpermute_b32 v104, v91, v6 offset:28
	s_waitcnt vmcnt(16)
	ds_bpermute_b32 v88, v91, v3
	ds_bpermute_b32 v95, v91, v6 offset:8
	ds_bpermute_b32 v97, v91, v6 offset:12
	;; [unrolled: 1-line block ×12, first 2 shown]
	s_waitcnt vmcnt(15)
	v_cvt_f32_f16_e32 v4, v7
	s_waitcnt vmcnt(14)
	v_cvt_f32_f16_e32 v7, v8
	;; [unrolled: 2-line block ×4, first 2 shown]
	s_waitcnt lgkmcnt(14)
	v_sub_f32_e32 v7, v7, v89
	s_waitcnt vmcnt(11)
	v_cvt_f32_f16_e32 v8, v11
	v_mul_f32_e32 v7, v7, v4
	s_waitcnt vmcnt(10)
	v_cvt_f32_f16_e32 v11, v12
	v_sub_f32_e32 v9, v9, v93
	s_waitcnt vmcnt(9)
	v_cvt_f32_f16_e32 v10, v13
	v_mul_f32_e32 v9, v9, v6
	s_waitcnt vmcnt(8)
	v_cvt_f32_f16_e32 v13, v14
	s_waitcnt lgkmcnt(11)
	v_sub_f32_e32 v11, v11, v95
	s_waitcnt vmcnt(7)
	v_cvt_f32_f16_e32 v12, v15
	v_mul_f32_e32 v11, v11, v8
	s_waitcnt vmcnt(6)
	v_cvt_f32_f16_e32 v15, v16
	s_waitcnt lgkmcnt(10)
	;; [unrolled: 7-line block ×5, first 2 shown]
	v_sub_f32_e32 v19, v19, v103
	v_mul_f32_e32 v19, v19, v16
	v_sub_f32_e32 v5, v5, v104
	v_mul_f32_e32 v28, v5, v18
	v_mul_f32_e32 v5, v7, v88
	s_waitcnt lgkmcnt(6)
	v_mul_f32_e32 v7, v9, v92
	v_pk_add_f32 v[4:5], v[86:87], v[4:5]
	s_waitcnt lgkmcnt(5)
	v_mul_f32_e32 v9, v11, v94
	v_pk_add_f32 v[4:5], v[4:5], v[6:7]
	;; [unrolled: 3-line block ×7, first 2 shown]
	s_nop 0
	v_pk_add_f32 v[28:29], v[4:5], v[18:19]
.LBB90_54:                              ;   in Loop: Header=BB90_55 Depth=1
	s_add_u32 s20, s20, s3
	s_addc_u32 s21, s21, 0
	v_mov_b64_e32 v[4:5], s[8:9]
	s_add_u32 s22, s22, s3
	v_cmp_ge_i64_e32 vcc, s[20:21], v[4:5]
	v_lshl_add_u64 v[54:55], v[54:55], 0, s[6:7]
	v_lshl_add_u64 v[56:57], v[56:57], 0, s[6:7]
	s_addc_u32 s23, s23, 0
	v_lshl_add_u64 v[22:23], v[22:23], 0, s[6:7]
	v_lshl_add_u64 v[24:25], v[24:25], 0, s[6:7]
	;; [unrolled: 1-line block ×28, first 2 shown]
	s_cbranch_vccnz .LBB90_81
.LBB90_55:                              ; =>This Inner Loop Header: Depth=1
	v_mov_b64_e32 v[4:5], s[8:9]
	v_cmp_ge_i64_e32 vcc, s[22:23], v[4:5]
	v_mov_b32_e32 v86, v28
	v_mov_b32_e32 v87, v29
	v_lshl_add_u64 v[88:89], v[20:21], 0, s[22:23]
	s_mov_b64 s[38:39], -1
                                        ; implicit-def: $vgpr29
	s_cbranch_vccz .LBB90_77
; %bb.56:                               ;   in Loop: Header=BB90_55 Depth=1
	s_load_dword s33, s[4:5], 0xc
	v_mov_b32_e32 v28, 0
	v_mov_b32_e32 v29, 0
	s_waitcnt lgkmcnt(0)
	s_and_b32 s33, s33, 0xffff
	v_mad_u32_u24 v3, v90, s33, v1
	v_and_b32_e32 v4, 63, v3
	v_cmp_gt_u32_e32 vcc, 8, v4
	s_and_saveexec_b64 s[38:39], vcc
	s_cbranch_execz .LBB90_60
; %bb.57:                               ;   in Loop: Header=BB90_55 Depth=1
	v_mov_b32_e32 v5, v2
	v_lshl_add_u64 v[4:5], v[88:89], 0, v[4:5]
	v_lshl_add_u64 v[4:5], v[4:5], 0, s[12:13]
	v_cmp_gt_i64_e32 vcc, s[8:9], v[4:5]
	v_mov_b32_e32 v29, 0
	v_mov_b32_e32 v28, 0
	s_and_saveexec_b64 s[40:41], vcc
	s_cbranch_execz .LBB90_59
; %bb.58:                               ;   in Loop: Header=BB90_55 Depth=1
	v_lshlrev_b64 v[4:5], 2, v[4:5]
	v_lshl_add_u64 v[6:7], s[18:19], 0, v[4:5]
	v_lshl_add_u64 v[4:5], s[16:17], 0, v[4:5]
	global_load_dword v29, v[4:5], off
	global_load_dword v28, v[6:7], off
.LBB90_59:                              ;   in Loop: Header=BB90_55 Depth=1
	s_or_b64 exec, exec, s[40:41]
.LBB90_60:                              ;   in Loop: Header=BB90_55 Depth=1
	s_or_b64 exec, exec, s[38:39]
	v_lshl_add_u64 v[4:5], v[88:89], 0, s[12:13]
	v_mov_b32_e32 v8, v2
	v_mov_b32_e32 v9, v2
	v_cmp_gt_i64_e32 vcc, s[8:9], v[4:5]
	v_mov_b32_e32 v3, v2
	v_mov_b32_e32 v4, v2
	;; [unrolled: 1-line block ×5, first 2 shown]
	v_mov_b64_e32 v[18:19], v[8:9]
	v_mov_b64_e32 v[16:17], v[6:7]
	;; [unrolled: 1-line block ×8, first 2 shown]
	s_and_saveexec_b64 s[38:39], vcc
	s_cbranch_execz .LBB90_62
; %bb.61:                               ;   in Loop: Header=BB90_55 Depth=1
	v_lshl_add_u64 v[4:5], v[54:55], 0, v[52:53]
	global_load_ushort v3, v[4:5], off
	v_lshl_add_u64 v[4:5], v[56:57], 0, v[52:53]
	global_load_ushort v12, v[4:5], off
	v_mov_b32_e32 v5, v2
	v_mov_b32_e32 v6, v2
	;; [unrolled: 1-line block ×14, first 2 shown]
	s_waitcnt vmcnt(1)
	v_cvt_f32_f16_e32 v4, v3
	s_waitcnt vmcnt(0)
	v_cvt_f32_f16_e32 v12, v12
.LBB90_62:                              ;   in Loop: Header=BB90_55 Depth=1
	s_or_b64 exec, exec, s[38:39]
	v_lshl_add_u64 v[92:93], v[88:89], 0, s[14:15]
	v_cmp_gt_i64_e32 vcc, s[8:9], v[92:93]
	s_and_saveexec_b64 s[38:39], vcc
	s_cbranch_execz .LBB90_64
; %bb.63:                               ;   in Loop: Header=BB90_55 Depth=1
	v_lshl_add_u64 v[92:93], v[82:83], 0, v[52:53]
	global_load_ushort v3, v[92:93], off
	v_lshl_add_u64 v[92:93], v[84:85], 0, v[52:53]
	global_load_ushort v13, v[92:93], off
	s_waitcnt vmcnt(1)
	v_cvt_f32_f16_e32 v5, v3
	s_waitcnt vmcnt(0)
	v_cvt_f32_f16_e32 v13, v13
.LBB90_64:                              ;   in Loop: Header=BB90_55 Depth=1
	s_or_b64 exec, exec, s[38:39]
	v_lshl_add_u64 v[92:93], v[88:89], 0, s[24:25]
	v_cmp_gt_i64_e32 vcc, s[8:9], v[92:93]
	s_and_saveexec_b64 s[38:39], vcc
	s_cbranch_execz .LBB90_66
; %bb.65:                               ;   in Loop: Header=BB90_55 Depth=1
	v_lshl_add_u64 v[92:93], v[78:79], 0, v[52:53]
	global_load_ushort v3, v[92:93], off
	v_lshl_add_u64 v[92:93], v[80:81], 0, v[52:53]
	global_load_ushort v14, v[92:93], off
	s_waitcnt vmcnt(1)
	v_cvt_f32_f16_e32 v6, v3
	s_waitcnt vmcnt(0)
	v_cvt_f32_f16_e32 v14, v14
.LBB90_66:                              ;   in Loop: Header=BB90_55 Depth=1
	;; [unrolled: 15-line block ×7, first 2 shown]
	s_or_b64 exec, exec, s[38:39]
	s_waitcnt vmcnt(1)
	ds_bpermute_b32 v3, v91, v29
	s_waitcnt vmcnt(0)
	ds_bpermute_b32 v92, v91, v28
	ds_bpermute_b32 v95, v91, v29 offset:4
	ds_bpermute_b32 v94, v91, v28 offset:4
	;; [unrolled: 1-line block ×3, first 2 shown]
	s_waitcnt lgkmcnt(4)
	v_sub_f32_e32 v3, v12, v3
	v_mul_f32_e32 v3, v4, v3
	ds_bpermute_b32 v12, v91, v28 offset:8
	s_waitcnt lgkmcnt(4)
	v_mul_f32_e32 v93, v3, v92
	s_waitcnt lgkmcnt(3)
	v_sub_f32_e32 v3, v13, v95
	v_mul_f32_e32 v3, v5, v3
	s_waitcnt lgkmcnt(2)
	v_mul_f32_e32 v13, v3, v94
	s_waitcnt lgkmcnt(1)
	v_sub_f32_e32 v3, v14, v96
	ds_bpermute_b32 v14, v91, v29 offset:12
	v_mul_f32_e32 v3, v6, v3
	s_waitcnt lgkmcnt(1)
	v_mul_f32_e32 v95, v3, v12
	ds_bpermute_b32 v3, v91, v28 offset:12
	ds_bpermute_b32 v12, v91, v29 offset:16
	;; [unrolled: 1-line block ×3, first 2 shown]
	s_waitcnt lgkmcnt(3)
	v_sub_f32_e32 v14, v15, v14
	v_mul_f32_e32 v14, v7, v14
	s_waitcnt lgkmcnt(2)
	v_mul_f32_e32 v15, v14, v3
	s_waitcnt lgkmcnt(1)
	v_sub_f32_e32 v3, v16, v12
	ds_bpermute_b32 v12, v91, v29 offset:20
	v_mul_f32_e32 v3, v8, v3
	s_waitcnt lgkmcnt(1)
	v_mul_f32_e32 v97, v3, v92
	ds_bpermute_b32 v3, v91, v28 offset:20
	ds_bpermute_b32 v14, v91, v29 offset:24
	;; [unrolled: 1-line block ×3, first 2 shown]
	s_waitcnt lgkmcnt(3)
	v_sub_f32_e32 v12, v17, v12
	v_mul_f32_e32 v12, v9, v12
	s_waitcnt lgkmcnt(2)
	v_mul_f32_e32 v17, v12, v3
	s_waitcnt lgkmcnt(1)
	v_sub_f32_e32 v3, v18, v14
	v_mul_f32_e32 v3, v10, v3
	s_waitcnt lgkmcnt(0)
	v_mul_f32_e32 v99, v3, v16
	v_mov_b32_e32 v92, v4
	ds_bpermute_b32 v3, v91, v29 offset:28
	v_pk_add_f32 v[92:93], v[86:87], v[92:93]
	v_mov_b32_e32 v12, v5
	v_pk_add_f32 v[4:5], v[12:13], v[92:93]
	v_mov_b32_e32 v94, v6
	ds_bpermute_b32 v6, v91, v28 offset:28
	v_pk_add_f32 v[4:5], v[94:95], v[4:5]
	v_mov_b32_e32 v14, v7
	v_pk_add_f32 v[4:5], v[14:15], v[4:5]
	v_mov_b32_e32 v96, v8
	;; [unrolled: 2-line block ×3, first 2 shown]
	s_waitcnt lgkmcnt(1)
	v_sub_f32_e32 v3, v19, v3
	v_pk_add_f32 v[4:5], v[16:17], v[4:5]
	v_mov_b32_e32 v98, v10
	v_mul_f32_e32 v3, v11, v3
	v_pk_add_f32 v[4:5], v[98:99], v[4:5]
	s_waitcnt lgkmcnt(0)
	v_mul_f32_e32 v7, v3, v6
	v_mov_b32_e32 v6, v11
	v_pk_add_f32 v[28:29], v[6:7], v[4:5]
	s_mov_b64 s[38:39], 0
.LBB90_77:                              ;   in Loop: Header=BB90_55 Depth=1
	s_and_b64 vcc, exec, s[38:39]
	s_cbranch_vccz .LBB90_54
; %bb.78:                               ;   in Loop: Header=BB90_55 Depth=1
	s_load_dword s33, s[4:5], 0x0
	v_mov_b32_e32 v3, 0
	v_mov_b32_e32 v6, 0
	s_waitcnt lgkmcnt(0)
	s_cmp_lt_u32 s2, s33
	s_cselect_b32 s33, 12, 18
	s_add_u32 s38, s4, s33
	s_addc_u32 s39, s5, 0
	global_load_ushort v4, v2, s[38:39]
	s_waitcnt vmcnt(0)
	v_mad_u32_u24 v4, v90, v4, v1
	v_and_b32_e32 v4, 63, v4
	v_cmp_gt_u32_e32 vcc, 8, v4
	s_and_saveexec_b64 s[38:39], vcc
	s_cbranch_execz .LBB90_53
; %bb.79:                               ;   in Loop: Header=BB90_55 Depth=1
	v_mov_b32_e32 v5, v2
	v_lshl_add_u64 v[4:5], v[88:89], 0, v[4:5]
	v_lshl_add_u64 v[4:5], v[4:5], 0, s[12:13]
	v_cmp_gt_i64_e32 vcc, s[8:9], v[4:5]
	v_mov_b32_e32 v6, 0
	v_mov_b32_e32 v3, 0
	s_and_saveexec_b64 s[40:41], vcc
	s_cbranch_execz .LBB90_52
; %bb.80:                               ;   in Loop: Header=BB90_55 Depth=1
	v_lshlrev_b64 v[4:5], 2, v[4:5]
	v_lshl_add_u64 v[8:9], s[18:19], 0, v[4:5]
	v_lshl_add_u64 v[4:5], s[16:17], 0, v[4:5]
	global_load_dword v6, v[4:5], off
	global_load_dword v3, v[8:9], off
	s_branch .LBB90_52
.LBB90_81:
	v_and_b32_e32 v1, 0x3ff, v0
	v_bfe_u32 v0, v0, 10, 10
	v_mad_u32_u24 v2, v0, 33, v1
	v_sub_u32_e32 v7, v2, v0
	s_movk_i32 s3, 0x800
	v_lshl_add_u32 v3, v2, 2, 0
	v_cmp_gt_u32_e32 vcc, s3, v7
	ds_write_b32 v3, v29
	ds_write_b32 v3, v28 offset:2112
	s_waitcnt lgkmcnt(0)
	s_barrier
	s_and_saveexec_b64 s[4:5], vcc
	s_cbranch_execz .LBB90_113
; %bb.82:
	s_load_dwordx4 s[12:15], s[0:1], 0x30
	v_and_b32_e32 v2, 63, v7
	v_lshrrev_b32_e32 v0, 6, v7
	v_cmp_lt_u32_e64 s[4:5], 15, v2
	v_cmp_gt_u32_e64 s[0:1], 16, v2
	v_mul_u32_u24_e32 v6, 33, v2
                                        ; implicit-def: $vgpr2
	s_and_saveexec_b64 s[6:7], s[0:1]
	s_cbranch_execz .LBB90_84
; %bb.83:
	v_add_u32_e32 v2, v0, v6
	v_lshl_add_u32 v2, v2, 2, 0
	ds_read_b32 v3, v2
	ds_read_b32 v2, v2 offset:2112
.LBB90_84:
	s_or_b64 exec, exec, s[6:7]
	v_mbcnt_lo_u32_b32 v4, -1, 0
	v_mbcnt_hi_u32_b32 v11, -1, v4
	v_and_b32_e32 v4, 64, v11
	v_add_u32_e32 v12, 64, v4
	v_xor_b32_e32 v4, 8, v11
	v_cmp_lt_i32_e32 vcc, v4, v12
	v_xor_b32_e32 v9, 4, v11
	v_xor_b32_e32 v10, 2, v11
	v_cndmask_b32_e32 v4, v11, v4, vcc
	v_lshlrev_b32_e32 v8, 2, v4
	s_waitcnt lgkmcnt(0)
	ds_bpermute_b32 v5, v8, v3
	ds_bpermute_b32 v4, v8, v2
	v_cmp_lt_i32_e32 vcc, v9, v12
	s_mov_b32 s3, 0
	s_lshl_b64 s[6:7], s[2:3], 5
	v_cndmask_b32_e32 v9, v11, v9, vcc
	v_lshlrev_b32_e32 v9, 2, v9
	s_waitcnt lgkmcnt(0)
	v_pk_add_f32 v[2:3], v[2:3], v[4:5]
	ds_bpermute_b32 v5, v9, v3
	ds_bpermute_b32 v4, v9, v2
	v_cmp_lt_i32_e32 vcc, v10, v12
	v_cmp_eq_u32_e64 s[2:3], 0, v1
	v_xor_b32_e32 v1, 1, v11
	v_cndmask_b32_e32 v10, v11, v10, vcc
	v_lshlrev_b32_e32 v10, 2, v10
	s_waitcnt lgkmcnt(0)
	v_pk_add_f32 v[2:3], v[2:3], v[4:5]
	ds_bpermute_b32 v5, v10, v3
	ds_bpermute_b32 v4, v10, v2
	v_cmp_lt_i32_e32 vcc, v1, v12
	s_cmp_lg_u64 s[12:13], 0
	s_cselect_b64 s[16:17], -1, 0
	v_cndmask_b32_e32 v1, v11, v1, vcc
	s_waitcnt lgkmcnt(0)
	v_pk_add_f32 v[2:3], v[2:3], v[4:5]
	v_lshlrev_b32_e32 v11, 2, v1
	ds_bpermute_b32 v5, v11, v3
	ds_bpermute_b32 v4, v11, v2
	s_cmp_lg_u64 s[14:15], 0
	s_cselect_b64 s[8:9], -1, 0
	v_mov_b32_e32 v1, 0
	s_waitcnt lgkmcnt(0)
	v_pk_add_f32 v[2:3], v[2:3], v[4:5]
	v_or_b32_e32 v4, s6, v0
	v_mov_b32_e32 v5, s7
	v_cmp_gt_i64_e32 vcc, s[10:11], v[4:5]
	s_and_b64 s[20:21], s[2:3], vcc
	s_and_saveexec_b64 s[18:19], s[20:21]
	s_cbranch_execz .LBB90_89
; %bb.85:
	s_andn2_b64 vcc, exec, s[16:17]
	s_cbranch_vccnz .LBB90_87
; %bb.86:
	v_cvt_f16_f32_e32 v14, v3
	v_lshl_add_u64 v[12:13], v[4:5], 1, s[12:13]
	global_store_short v[12:13], v14, off
.LBB90_87:
	s_andn2_b64 vcc, exec, s[8:9]
	s_cbranch_vccnz .LBB90_89
; %bb.88:
	v_cvt_f16_f32_e32 v12, v2
	v_lshl_add_u64 v[4:5], v[4:5], 1, s[14:15]
	global_store_short v[4:5], v12, off
.LBB90_89:
	s_or_b64 exec, exec, s[18:19]
	s_movk_i32 s18, 0x600
	v_cmp_gt_u32_e32 vcc, s18, v7
	s_and_b64 exec, exec, vcc
	s_cbranch_execz .LBB90_113
; %bb.90:
	s_and_saveexec_b64 s[18:19], s[4:5]
	s_xor_b64 s[18:19], exec, s[18:19]
	s_andn2_saveexec_b64 s[18:19], s[18:19]
	s_cbranch_execz .LBB90_92
; %bb.91:
	v_add_u32_e32 v2, v0, v6
	v_lshl_add_u32 v2, v2, 2, 0
	ds_read_b32 v3, v2 offset:32
	ds_read_b32 v2, v2 offset:2144
.LBB90_92:
	s_or_b64 exec, exec, s[18:19]
	s_waitcnt lgkmcnt(1)
	ds_bpermute_b32 v5, v8, v3
	s_waitcnt lgkmcnt(1)
	ds_bpermute_b32 v4, v8, v2
	v_add_u32_e32 v12, 8, v0
	v_mov_b32_e32 v13, 0
	v_lshl_add_u64 v[12:13], s[6:7], 0, v[12:13]
	v_cmp_gt_i64_e32 vcc, s[10:11], v[12:13]
	s_waitcnt lgkmcnt(0)
	v_pk_add_f32 v[2:3], v[2:3], v[4:5]
	ds_bpermute_b32 v5, v9, v3
	ds_bpermute_b32 v4, v9, v2
	s_and_b64 s[20:21], s[2:3], vcc
	s_waitcnt lgkmcnt(0)
	v_pk_add_f32 v[2:3], v[2:3], v[4:5]
	ds_bpermute_b32 v5, v10, v3
	ds_bpermute_b32 v4, v10, v2
	s_waitcnt lgkmcnt(0)
	v_pk_add_f32 v[2:3], v[2:3], v[4:5]
	ds_bpermute_b32 v5, v11, v3
	ds_bpermute_b32 v4, v11, v2
	s_waitcnt lgkmcnt(0)
	v_pk_add_f32 v[2:3], v[2:3], v[4:5]
	s_and_saveexec_b64 s[18:19], s[20:21]
	s_cbranch_execz .LBB90_97
; %bb.93:
	s_andn2_b64 vcc, exec, s[16:17]
	s_cbranch_vccnz .LBB90_95
; %bb.94:
	v_cvt_f16_f32_e32 v12, v3
	v_lshl_add_u64 v[4:5], s[6:7], 0, v[0:1]
	v_lshl_add_u64 v[4:5], v[4:5], 1, s[12:13]
	global_store_short v[4:5], v12, off offset:16
.LBB90_95:
	s_andn2_b64 vcc, exec, s[8:9]
	s_cbranch_vccnz .LBB90_97
; %bb.96:
	v_cvt_f16_f32_e32 v12, v2
	v_lshl_add_u64 v[4:5], s[6:7], 0, v[0:1]
	v_lshl_add_u64 v[4:5], v[4:5], 1, s[14:15]
	global_store_short v[4:5], v12, off offset:16
.LBB90_97:
	s_or_b64 exec, exec, s[18:19]
	s_movk_i32 s18, 0x400
	v_cmp_gt_u32_e32 vcc, s18, v7
	s_and_b64 exec, exec, vcc
	s_cbranch_execz .LBB90_113
; %bb.98:
	s_and_saveexec_b64 s[18:19], s[4:5]
	s_xor_b64 s[4:5], exec, s[18:19]
	s_andn2_saveexec_b64 s[4:5], s[4:5]
	s_cbranch_execz .LBB90_100
; %bb.99:
	v_add_u32_e32 v2, v0, v6
	v_lshl_add_u32 v2, v2, 2, 0
	ds_read_b32 v3, v2 offset:64
	ds_read_b32 v2, v2 offset:2176
.LBB90_100:
	s_or_b64 exec, exec, s[4:5]
	s_waitcnt lgkmcnt(1)
	ds_bpermute_b32 v5, v8, v3
	s_waitcnt lgkmcnt(1)
	ds_bpermute_b32 v4, v8, v2
	v_add_u32_e32 v12, 16, v0
	v_mov_b32_e32 v13, s7
	v_or_b32_e32 v12, s6, v12
	v_cmp_gt_i64_e32 vcc, s[10:11], v[12:13]
	s_waitcnt lgkmcnt(0)
	v_pk_add_f32 v[2:3], v[2:3], v[4:5]
	ds_bpermute_b32 v5, v9, v3
	ds_bpermute_b32 v4, v9, v2
	s_and_b64 s[18:19], s[2:3], vcc
	s_waitcnt lgkmcnt(0)
	v_pk_add_f32 v[2:3], v[2:3], v[4:5]
	ds_bpermute_b32 v5, v10, v3
	ds_bpermute_b32 v4, v10, v2
	s_waitcnt lgkmcnt(0)
	v_pk_add_f32 v[2:3], v[2:3], v[4:5]
	ds_bpermute_b32 v5, v11, v3
	ds_bpermute_b32 v4, v11, v2
	s_waitcnt lgkmcnt(0)
	v_pk_add_f32 v[2:3], v[2:3], v[4:5]
	s_and_saveexec_b64 s[4:5], s[18:19]
	s_cbranch_execz .LBB90_105
; %bb.101:
	s_andn2_b64 vcc, exec, s[16:17]
	s_cbranch_vccnz .LBB90_103
; %bb.102:
	v_cvt_f16_f32_e32 v12, v3
	v_lshl_add_u64 v[4:5], s[6:7], 0, v[0:1]
	v_lshl_add_u64 v[4:5], v[4:5], 1, s[12:13]
	global_store_short v[4:5], v12, off offset:32
.LBB90_103:
	s_andn2_b64 vcc, exec, s[8:9]
	s_cbranch_vccnz .LBB90_105
; %bb.104:
	v_cvt_f16_f32_e32 v12, v2
	v_lshl_add_u64 v[4:5], s[6:7], 0, v[0:1]
	v_lshl_add_u64 v[4:5], v[4:5], 1, s[14:15]
	global_store_short v[4:5], v12, off offset:32
.LBB90_105:
	s_or_b64 exec, exec, s[4:5]
	s_movk_i32 s4, 0x200
	v_cmp_gt_u32_e32 vcc, s4, v7
	s_and_b64 exec, exec, vcc
	s_cbranch_execz .LBB90_113
; %bb.106:
	s_and_saveexec_b64 s[4:5], s[0:1]
	s_cbranch_execz .LBB90_108
; %bb.107:
	v_add_u32_e32 v2, v0, v6
	v_lshl_add_u32 v2, v2, 2, 0
	ds_read_b32 v3, v2 offset:96
	ds_read_b32 v2, v2 offset:2208
.LBB90_108:
	s_or_b64 exec, exec, s[4:5]
	s_waitcnt lgkmcnt(1)
	ds_bpermute_b32 v4, v8, v3
	s_waitcnt lgkmcnt(1)
	ds_bpermute_b32 v5, v8, v2
	v_add_u32_e32 v6, 24, v0
	v_or_b32_e32 v6, s6, v6
	v_mov_b32_e32 v7, s7
	s_waitcnt lgkmcnt(1)
	v_add_f32_e32 v3, v3, v4
	s_waitcnt lgkmcnt(0)
	v_add_f32_e32 v2, v2, v5
	ds_bpermute_b32 v4, v9, v3
	ds_bpermute_b32 v5, v9, v2
	v_cmp_gt_i64_e32 vcc, s[10:11], v[6:7]
	s_and_b64 s[0:1], s[2:3], vcc
	s_waitcnt lgkmcnt(1)
	v_add_f32_e32 v3, v3, v4
	s_waitcnt lgkmcnt(0)
	v_add_f32_e32 v2, v2, v5
	ds_bpermute_b32 v4, v10, v3
	ds_bpermute_b32 v5, v10, v2
	s_waitcnt lgkmcnt(1)
	v_add_f32_e32 v4, v3, v4
	s_waitcnt lgkmcnt(0)
	v_add_f32_e32 v2, v2, v5
	ds_bpermute_b32 v5, v11, v4
	ds_bpermute_b32 v3, v11, v2
	s_and_b64 exec, exec, s[0:1]
	s_cbranch_execz .LBB90_113
; %bb.109:
	s_andn2_b64 vcc, exec, s[16:17]
	v_lshl_add_u64 v[0:1], s[6:7], 0, v[0:1]
	s_cbranch_vccnz .LBB90_111
; %bb.110:
	s_waitcnt lgkmcnt(1)
	v_add_f32_e32 v4, v4, v5
	v_cvt_f16_f32_e32 v6, v4
	v_lshl_add_u64 v[4:5], v[0:1], 1, s[12:13]
	global_store_short v[4:5], v6, off offset:48
.LBB90_111:
	s_andn2_b64 vcc, exec, s[8:9]
	s_cbranch_vccnz .LBB90_113
; %bb.112:
	s_waitcnt lgkmcnt(0)
	v_add_f32_e32 v2, v2, v3
	v_cvt_f16_f32_e32 v2, v2
	v_lshl_add_u64 v[0:1], v[0:1], 1, s[14:15]
	global_store_short v[0:1], v2, off offset:48
.LBB90_113:
	s_endpgm
	.section	.rodata,"a",@progbits
	.p2align	6, 0x0
	.amdhsa_kernel _ZN2at6native12_GLOBAL__N_135GammaBetaBackwardCUDAKernelTemplateIN3c104HalfEfLj32ELj16ELj128ELb0ELb0ELb0EEEvllPKT_S7_PKT0_SA_PS5_SB_
		.amdhsa_group_segment_fixed_size 0
		.amdhsa_private_segment_fixed_size 0
		.amdhsa_kernarg_size 320
		.amdhsa_user_sgpr_count 2
		.amdhsa_user_sgpr_dispatch_ptr 0
		.amdhsa_user_sgpr_queue_ptr 0
		.amdhsa_user_sgpr_kernarg_segment_ptr 1
		.amdhsa_user_sgpr_dispatch_id 0
		.amdhsa_user_sgpr_kernarg_preload_length 0
		.amdhsa_user_sgpr_kernarg_preload_offset 0
		.amdhsa_user_sgpr_private_segment_size 0
		.amdhsa_uses_dynamic_stack 0
		.amdhsa_enable_private_segment 0
		.amdhsa_system_sgpr_workgroup_id_x 1
		.amdhsa_system_sgpr_workgroup_id_y 1
		.amdhsa_system_sgpr_workgroup_id_z 0
		.amdhsa_system_sgpr_workgroup_info 0
		.amdhsa_system_vgpr_workitem_id 1
		.amdhsa_next_free_vgpr 105
		.amdhsa_next_free_sgpr 52
		.amdhsa_accum_offset 108
		.amdhsa_reserve_vcc 1
		.amdhsa_float_round_mode_32 0
		.amdhsa_float_round_mode_16_64 0
		.amdhsa_float_denorm_mode_32 3
		.amdhsa_float_denorm_mode_16_64 3
		.amdhsa_dx10_clamp 1
		.amdhsa_ieee_mode 1
		.amdhsa_fp16_overflow 0
		.amdhsa_tg_split 0
		.amdhsa_exception_fp_ieee_invalid_op 0
		.amdhsa_exception_fp_denorm_src 0
		.amdhsa_exception_fp_ieee_div_zero 0
		.amdhsa_exception_fp_ieee_overflow 0
		.amdhsa_exception_fp_ieee_underflow 0
		.amdhsa_exception_fp_ieee_inexact 0
		.amdhsa_exception_int_div_zero 0
	.end_amdhsa_kernel
	.section	.text._ZN2at6native12_GLOBAL__N_135GammaBetaBackwardCUDAKernelTemplateIN3c104HalfEfLj32ELj16ELj128ELb0ELb0ELb0EEEvllPKT_S7_PKT0_SA_PS5_SB_,"axG",@progbits,_ZN2at6native12_GLOBAL__N_135GammaBetaBackwardCUDAKernelTemplateIN3c104HalfEfLj32ELj16ELj128ELb0ELb0ELb0EEEvllPKT_S7_PKT0_SA_PS5_SB_,comdat
.Lfunc_end90:
	.size	_ZN2at6native12_GLOBAL__N_135GammaBetaBackwardCUDAKernelTemplateIN3c104HalfEfLj32ELj16ELj128ELb0ELb0ELb0EEEvllPKT_S7_PKT0_SA_PS5_SB_, .Lfunc_end90-_ZN2at6native12_GLOBAL__N_135GammaBetaBackwardCUDAKernelTemplateIN3c104HalfEfLj32ELj16ELj128ELb0ELb0ELb0EEEvllPKT_S7_PKT0_SA_PS5_SB_
                                        ; -- End function
	.set _ZN2at6native12_GLOBAL__N_135GammaBetaBackwardCUDAKernelTemplateIN3c104HalfEfLj32ELj16ELj128ELb0ELb0ELb0EEEvllPKT_S7_PKT0_SA_PS5_SB_.num_vgpr, 105
	.set _ZN2at6native12_GLOBAL__N_135GammaBetaBackwardCUDAKernelTemplateIN3c104HalfEfLj32ELj16ELj128ELb0ELb0ELb0EEEvllPKT_S7_PKT0_SA_PS5_SB_.num_agpr, 0
	.set _ZN2at6native12_GLOBAL__N_135GammaBetaBackwardCUDAKernelTemplateIN3c104HalfEfLj32ELj16ELj128ELb0ELb0ELb0EEEvllPKT_S7_PKT0_SA_PS5_SB_.numbered_sgpr, 52
	.set _ZN2at6native12_GLOBAL__N_135GammaBetaBackwardCUDAKernelTemplateIN3c104HalfEfLj32ELj16ELj128ELb0ELb0ELb0EEEvllPKT_S7_PKT0_SA_PS5_SB_.num_named_barrier, 0
	.set _ZN2at6native12_GLOBAL__N_135GammaBetaBackwardCUDAKernelTemplateIN3c104HalfEfLj32ELj16ELj128ELb0ELb0ELb0EEEvllPKT_S7_PKT0_SA_PS5_SB_.private_seg_size, 0
	.set _ZN2at6native12_GLOBAL__N_135GammaBetaBackwardCUDAKernelTemplateIN3c104HalfEfLj32ELj16ELj128ELb0ELb0ELb0EEEvllPKT_S7_PKT0_SA_PS5_SB_.uses_vcc, 1
	.set _ZN2at6native12_GLOBAL__N_135GammaBetaBackwardCUDAKernelTemplateIN3c104HalfEfLj32ELj16ELj128ELb0ELb0ELb0EEEvllPKT_S7_PKT0_SA_PS5_SB_.uses_flat_scratch, 0
	.set _ZN2at6native12_GLOBAL__N_135GammaBetaBackwardCUDAKernelTemplateIN3c104HalfEfLj32ELj16ELj128ELb0ELb0ELb0EEEvllPKT_S7_PKT0_SA_PS5_SB_.has_dyn_sized_stack, 0
	.set _ZN2at6native12_GLOBAL__N_135GammaBetaBackwardCUDAKernelTemplateIN3c104HalfEfLj32ELj16ELj128ELb0ELb0ELb0EEEvllPKT_S7_PKT0_SA_PS5_SB_.has_recursion, 0
	.set _ZN2at6native12_GLOBAL__N_135GammaBetaBackwardCUDAKernelTemplateIN3c104HalfEfLj32ELj16ELj128ELb0ELb0ELb0EEEvllPKT_S7_PKT0_SA_PS5_SB_.has_indirect_call, 0
	.section	.AMDGPU.csdata,"",@progbits
; Kernel info:
; codeLenInByte = 8372
; TotalNumSgprs: 58
; NumVgprs: 105
; NumAgprs: 0
; TotalNumVgprs: 105
; ScratchSize: 0
; MemoryBound: 0
; FloatMode: 240
; IeeeMode: 1
; LDSByteSize: 0 bytes/workgroup (compile time only)
; SGPRBlocks: 7
; VGPRBlocks: 13
; NumSGPRsForWavesPerEU: 58
; NumVGPRsForWavesPerEU: 105
; AccumOffset: 108
; Occupancy: 4
; WaveLimiterHint : 0
; COMPUTE_PGM_RSRC2:SCRATCH_EN: 0
; COMPUTE_PGM_RSRC2:USER_SGPR: 2
; COMPUTE_PGM_RSRC2:TRAP_HANDLER: 0
; COMPUTE_PGM_RSRC2:TGID_X_EN: 1
; COMPUTE_PGM_RSRC2:TGID_Y_EN: 1
; COMPUTE_PGM_RSRC2:TGID_Z_EN: 0
; COMPUTE_PGM_RSRC2:TIDIG_COMP_CNT: 1
; COMPUTE_PGM_RSRC3_GFX90A:ACCUM_OFFSET: 26
; COMPUTE_PGM_RSRC3_GFX90A:TG_SPLIT: 0
	.section	.text._ZN2at6native12_GLOBAL__N_135GammaBetaBackwardCUDAKernelTemplateIN3c104HalfEfLj32ELj32ELj256ELb0ELb1ELb0EEEvllPKT_S7_PKT0_SA_PS5_SB_,"axG",@progbits,_ZN2at6native12_GLOBAL__N_135GammaBetaBackwardCUDAKernelTemplateIN3c104HalfEfLj32ELj32ELj256ELb0ELb1ELb0EEEvllPKT_S7_PKT0_SA_PS5_SB_,comdat
	.globl	_ZN2at6native12_GLOBAL__N_135GammaBetaBackwardCUDAKernelTemplateIN3c104HalfEfLj32ELj32ELj256ELb0ELb1ELb0EEEvllPKT_S7_PKT0_SA_PS5_SB_ ; -- Begin function _ZN2at6native12_GLOBAL__N_135GammaBetaBackwardCUDAKernelTemplateIN3c104HalfEfLj32ELj32ELj256ELb0ELb1ELb0EEEvllPKT_S7_PKT0_SA_PS5_SB_
	.p2align	8
	.type	_ZN2at6native12_GLOBAL__N_135GammaBetaBackwardCUDAKernelTemplateIN3c104HalfEfLj32ELj32ELj256ELb0ELb1ELb0EEEvllPKT_S7_PKT0_SA_PS5_SB_,@function
_ZN2at6native12_GLOBAL__N_135GammaBetaBackwardCUDAKernelTemplateIN3c104HalfEfLj32ELj32ELj256ELb0ELb1ELb0EEEvllPKT_S7_PKT0_SA_PS5_SB_: ; @_ZN2at6native12_GLOBAL__N_135GammaBetaBackwardCUDAKernelTemplateIN3c104HalfEfLj32ELj32ELj256ELb0ELb1ELb0EEEvllPKT_S7_PKT0_SA_PS5_SB_
; %bb.0:
	s_load_dwordx4 s[16:19], s[0:1], 0x0
	s_lshl_b32 s20, s3, 8
	s_mov_b32 s21, 0
	v_mov_b64_e32 v[2:3], s[20:21]
	v_bfe_u32 v12, v0, 10, 10
	s_waitcnt lgkmcnt(0)
	v_cmp_gt_i64_e32 vcc, s[16:17], v[2:3]
	s_cbranch_vccnz .LBB91_2
; %bb.1:
	s_mov_b64 s[4:5], 0
	v_bfe_u32 v2, v0, 10, 10
	s_branch .LBB91_3
.LBB91_2:
	s_mov_b64 s[4:5], -1
                                        ; implicit-def: $vgpr2
.LBB91_3:
	s_load_dwordx4 s[12:15], s[0:1], 0x30
	v_mov_b32_e32 v1, 0
	v_and_b32_e32 v10, 0x3ff, v0
	s_andn2_b64 vcc, exec, s[4:5]
	v_mbcnt_lo_u32_b32 v11, -1, 0
	v_mov_b32_e32 v0, v1
	s_cbranch_vccnz .LBB91_11
; %bb.4:
	s_load_dword s3, s[0:1], 0x4c
	s_load_dword s22, s[0:1], 0x44
	s_load_dwordx8 s[4:11], s[0:1], 0x10
	v_lshlrev_b32_e32 v0, 3, v12
	v_mbcnt_hi_u32_b32 v4, -1, v11
	s_waitcnt lgkmcnt(0)
	s_and_b32 s0, s3, 0xffff
	v_mad_u32_u24 v1, v12, s0, v10
	v_and_b32_e32 v2, 63, v1
	v_mov_b32_e32 v1, 0
	v_mov_b32_e32 v3, v1
	v_lshl_add_u64 v[8:9], v[0:1], 0, s[20:21]
	v_cmp_gt_u32_e64 s[0:1], 8, v2
	s_lshl_b32 s22, s22, 8
	v_lshl_add_u64 v[2:3], v[8:9], 0, v[2:3]
	v_mul_lo_u32 v0, s19, v8
	v_mul_lo_u32 v21, s18, v9
	v_mad_u64_u32 v[8:9], s[26:27], s18, v8, 0
	v_lshl_add_u32 v6, s2, 5, v10
	v_mov_b32_e32 v7, v1
	v_lshlrev_b32_e32 v4, 2, v4
	s_mul_i32 s3, s19, s22
	s_mul_hi_u32 s26, s18, s22
	s_mov_b32 s23, 0
	v_and_b32_e32 v13, 0x100, v4
	v_add3_u32 v9, v9, v21, v0
	v_lshlrev_b64 v[6:7], 1, v[6:7]
	s_add_i32 s27, s26, s3
	s_mul_i32 s26, s18, s22
	v_or_b32_e32 v14, 4, v13
	v_or_b32_e32 v15, 8, v13
	;; [unrolled: 1-line block ×7, first 2 shown]
	v_lshlrev_b64 v[4:5], 2, v[2:3]
	s_lshl_b64 s[24:25], s[22:23], 2
	v_lshl_add_u64 v[6:7], v[8:9], 1, v[6:7]
	s_lshl_b64 s[26:27], s[26:27], 1
	s_lshl_b64 s[18:19], s[18:19], 1
	v_mov_b64_e32 v[8:9], s[16:17]
	v_mov_b32_e32 v0, v1
	s_branch .LBB91_7
.LBB91_5:                               ;   in Loop: Header=BB91_7 Depth=1
	s_or_b64 exec, exec, s[30:31]
.LBB91_6:                               ;   in Loop: Header=BB91_7 Depth=1
	s_or_b64 exec, exec, s[28:29]
	v_lshl_add_u64 v[24:25], s[4:5], 0, v[6:7]
	global_load_ushort v23, v[24:25], off
	v_lshl_add_u64 v[26:27], s[6:7], 0, v[6:7]
	v_lshl_add_u64 v[24:25], v[24:25], 0, s[18:19]
	global_load_ushort v28, v[26:27], off
	global_load_ushort v29, v[24:25], off
	v_lshl_add_u64 v[26:27], v[26:27], 0, s[18:19]
	v_lshl_add_u64 v[24:25], v[24:25], 0, s[18:19]
	global_load_ushort v30, v[26:27], off
	;; [unrolled: 4-line block ×7, first 2 shown]
	global_load_ushort v41, v[24:25], off
	v_lshl_add_u64 v[24:25], v[26:27], 0, s[18:19]
	global_load_ushort v25, v[24:25], off
	s_waitcnt vmcnt(17)
	ds_bpermute_b32 v42, v13, v21
	s_waitcnt vmcnt(16)
	ds_bpermute_b32 v27, v13, v22
	ds_bpermute_b32 v43, v14, v22
	;; [unrolled: 1-line block ×15, first 2 shown]
	s_add_u32 s20, s20, s22
	s_addc_u32 s21, s21, 0
	v_cmp_lt_i64_e32 vcc, s[20:21], v[8:9]
	v_lshl_add_u64 v[4:5], v[4:5], 0, s[24:25]
	v_lshl_add_u64 v[2:3], v[2:3], 0, s[22:23]
	;; [unrolled: 1-line block ×3, first 2 shown]
	s_and_b64 vcc, exec, vcc
	s_waitcnt vmcnt(15)
	v_cvt_f32_f16_e32 v22, v23
	s_waitcnt vmcnt(14)
	v_cvt_f32_f16_e32 v23, v28
	;; [unrolled: 2-line block ×5, first 2 shown]
	s_waitcnt lgkmcnt(14)
	v_sub_f32_e32 v23, v23, v42
	v_mul_f32_e32 v23, v23, v22
	s_waitcnt vmcnt(10)
	v_cvt_f32_f16_e32 v31, v32
	s_waitcnt vmcnt(9)
	v_cvt_f32_f16_e32 v28, v33
	s_waitcnt lgkmcnt(12)
	v_sub_f32_e32 v29, v29, v44
	v_mul_f32_e32 v23, v23, v27
	s_waitcnt vmcnt(8)
	v_cvt_f32_f16_e32 v33, v34
	s_waitcnt vmcnt(7)
	v_cvt_f32_f16_e32 v30, v35
	v_mul_f32_e32 v27, v29, v24
	s_waitcnt lgkmcnt(5)
	v_sub_f32_e32 v29, v31, v46
	s_waitcnt vmcnt(6)
	v_cvt_f32_f16_e32 v35, v36
	s_waitcnt vmcnt(5)
	v_cvt_f32_f16_e32 v32, v37
	v_pk_add_f32 v[0:1], v[0:1], v[22:23]
	s_waitcnt vmcnt(4)
	v_cvt_f32_f16_e32 v37, v38
	s_waitcnt vmcnt(3)
	v_cvt_f32_f16_e32 v34, v39
	s_waitcnt lgkmcnt(3)
	v_sub_f32_e32 v23, v35, v50
	s_waitcnt vmcnt(2)
	v_cvt_f32_f16_e32 v38, v40
	s_waitcnt vmcnt(1)
	v_cvt_f32_f16_e32 v36, v41
	;; [unrolled: 2-line block ×3, first 2 shown]
	v_mul_f32_e32 v25, v27, v43
	v_mul_f32_e32 v27, v29, v26
	v_sub_f32_e32 v29, v33, v48
	v_mul_f32_e32 v27, v27, v45
	v_mul_f32_e32 v22, v29, v28
	v_pk_add_f32 v[0:1], v[0:1], v[24:25]
	v_mul_f32_e32 v29, v22, v47
	v_mul_f32_e32 v22, v23, v30
	s_waitcnt lgkmcnt(2)
	v_sub_f32_e32 v23, v37, v52
	v_pk_add_f32 v[0:1], v[0:1], v[26:27]
	v_mul_f32_e32 v31, v22, v49
	v_mul_f32_e32 v22, v23, v32
	s_waitcnt lgkmcnt(1)
	v_sub_f32_e32 v23, v38, v54
	v_pk_add_f32 v[0:1], v[0:1], v[28:29]
	v_mul_f32_e32 v33, v22, v51
	v_mul_f32_e32 v22, v23, v34
	v_pk_add_f32 v[0:1], v[0:1], v[30:31]
	s_waitcnt lgkmcnt(0)
	v_sub_f32_e32 v21, v39, v21
	v_mul_f32_e32 v35, v22, v53
	v_pk_add_f32 v[0:1], v[0:1], v[32:33]
	v_mul_f32_e32 v21, v21, v36
	v_pk_add_f32 v[0:1], v[0:1], v[34:35]
	v_mul_f32_e32 v37, v21, v55
	v_pk_add_f32 v[0:1], v[0:1], v[36:37]
	s_cbranch_vccz .LBB91_10
.LBB91_7:                               ; =>This Inner Loop Header: Depth=1
	v_mov_b32_e32 v22, 0
	v_mov_b32_e32 v21, 0
	s_and_saveexec_b64 s[28:29], s[0:1]
	s_cbranch_execz .LBB91_6
; %bb.8:                                ;   in Loop: Header=BB91_7 Depth=1
	v_cmp_gt_i64_e32 vcc, s[16:17], v[2:3]
	v_mov_b32_e32 v21, 0
	v_mov_b32_e32 v22, 0
	s_and_saveexec_b64 s[30:31], vcc
	s_cbranch_execz .LBB91_5
; %bb.9:                                ;   in Loop: Header=BB91_7 Depth=1
	v_lshl_add_u64 v[26:27], s[8:9], 0, v[4:5]
	v_lshl_add_u64 v[24:25], s[10:11], 0, v[4:5]
	global_load_dword v21, v[26:27], off
	global_load_dword v22, v[24:25], off
	s_branch .LBB91_5
.LBB91_10:
	v_mov_b32_e32 v2, v12
.LBB91_11:
	v_mad_u32_u24 v3, v2, 33, v10
	v_sub_u32_e32 v7, v3, v2
	s_movk_i32 s0, 0x800
	v_lshl_add_u32 v4, v3, 2, 0
	v_cmp_gt_u32_e32 vcc, s0, v7
	ds_write_b32 v4, v1
	ds_write_b32 v4, v0 offset:4224
	s_waitcnt lgkmcnt(0)
	s_barrier
	s_and_saveexec_b64 s[0:1], vcc
	s_cbranch_execz .LBB91_27
; %bb.12:
	v_and_b32_e32 v1, 63, v7
	v_lshrrev_b32_e32 v0, 6, v7
	v_cmp_gt_u32_e64 s[4:5], 32, v1
	v_mul_u32_u24_e32 v6, 33, v1
                                        ; implicit-def: $vgpr2
	s_and_saveexec_b64 s[0:1], s[4:5]
	s_cbranch_execz .LBB91_14
; %bb.13:
	v_add_u32_e32 v1, v0, v6
	v_lshl_add_u32 v1, v1, 2, 0
	ds_read_b32 v3, v1
	ds_read_b32 v2, v1 offset:4224
.LBB91_14:
	s_or_b64 exec, exec, s[0:1]
	v_mbcnt_hi_u32_b32 v1, -1, v11
	v_and_b32_e32 v4, 64, v1
	v_add_u32_e32 v12, 64, v4
	v_xor_b32_e32 v4, 16, v1
	v_cmp_lt_i32_e32 vcc, v4, v12
	v_xor_b32_e32 v9, 8, v1
	v_cmp_eq_u32_e64 s[0:1], 0, v10
	v_cndmask_b32_e32 v4, v1, v4, vcc
	v_lshlrev_b32_e32 v8, 2, v4
	s_waitcnt lgkmcnt(1)
	ds_bpermute_b32 v5, v8, v3
	s_waitcnt lgkmcnt(1)
	ds_bpermute_b32 v4, v8, v2
	v_cmp_lt_i32_e32 vcc, v9, v12
	v_xor_b32_e32 v10, 4, v1
	v_xor_b32_e32 v11, 2, v1
	v_cndmask_b32_e32 v9, v1, v9, vcc
	v_lshlrev_b32_e32 v9, 2, v9
	s_waitcnt lgkmcnt(0)
	v_pk_add_f32 v[2:3], v[2:3], v[4:5]
	ds_bpermute_b32 v5, v9, v3
	ds_bpermute_b32 v4, v9, v2
	v_cmp_lt_i32_e32 vcc, v10, v12
	v_xor_b32_e32 v13, 1, v1
	s_mov_b32 s3, 0
	v_cndmask_b32_e32 v10, v1, v10, vcc
	v_lshlrev_b32_e32 v10, 2, v10
	s_waitcnt lgkmcnt(0)
	v_pk_add_f32 v[2:3], v[2:3], v[4:5]
	ds_bpermute_b32 v5, v10, v3
	ds_bpermute_b32 v4, v10, v2
	v_cmp_lt_i32_e32 vcc, v11, v12
	s_lshl_b64 s[2:3], s[2:3], 5
	s_cmp_lg_u64 s[12:13], 0
	v_cndmask_b32_e32 v11, v1, v11, vcc
	v_lshlrev_b32_e32 v11, 2, v11
	s_waitcnt lgkmcnt(0)
	v_pk_add_f32 v[2:3], v[2:3], v[4:5]
	ds_bpermute_b32 v5, v11, v3
	ds_bpermute_b32 v4, v11, v2
	v_cmp_lt_i32_e32 vcc, v13, v12
	s_cselect_b64 s[8:9], -1, 0
	s_cmp_lg_u64 s[14:15], 0
	v_cndmask_b32_e32 v1, v1, v13, vcc
	v_lshlrev_b32_e32 v12, 2, v1
	s_waitcnt lgkmcnt(0)
	v_pk_add_f32 v[2:3], v[2:3], v[4:5]
	ds_bpermute_b32 v5, v12, v3
	ds_bpermute_b32 v4, v12, v2
	s_cselect_b64 s[6:7], -1, 0
	v_mov_b32_e32 v1, 0
	s_waitcnt lgkmcnt(0)
	v_pk_add_f32 v[2:3], v[2:3], v[4:5]
	s_and_saveexec_b64 s[10:11], s[0:1]
	s_cbranch_execz .LBB91_19
; %bb.15:
	v_mov_b32_e32 v5, s3
	s_andn2_b64 vcc, exec, s[8:9]
	v_or_b32_e32 v4, s2, v0
	s_cbranch_vccnz .LBB91_17
; %bb.16:
	v_cvt_f16_f32_e32 v13, v3
	v_lshl_add_u64 v[14:15], v[4:5], 1, s[12:13]
	global_store_short v[14:15], v13, off
.LBB91_17:
	s_andn2_b64 vcc, exec, s[6:7]
	s_cbranch_vccnz .LBB91_19
; %bb.18:
	v_cvt_f16_f32_e32 v13, v2
	v_lshl_add_u64 v[4:5], v[4:5], 1, s[14:15]
	global_store_short v[4:5], v13, off
.LBB91_19:
	s_or_b64 exec, exec, s[10:11]
	s_movk_i32 s10, 0x400
	v_cmp_gt_u32_e32 vcc, s10, v7
	s_and_b64 exec, exec, vcc
	s_cbranch_execz .LBB91_27
; %bb.20:
	s_and_saveexec_b64 s[10:11], s[4:5]
	s_cbranch_execz .LBB91_22
; %bb.21:
	v_add_u32_e32 v2, v0, v6
	v_lshl_add_u32 v2, v2, 2, 0
	ds_read_b32 v3, v2 offset:64
	ds_read_b32 v2, v2 offset:4288
.LBB91_22:
	s_or_b64 exec, exec, s[10:11]
	s_waitcnt lgkmcnt(1)
	ds_bpermute_b32 v4, v8, v3
	s_waitcnt lgkmcnt(1)
	ds_bpermute_b32 v5, v8, v2
	s_waitcnt lgkmcnt(1)
	v_add_f32_e32 v3, v3, v4
	s_waitcnt lgkmcnt(0)
	v_add_f32_e32 v2, v2, v5
	ds_bpermute_b32 v4, v9, v3
	ds_bpermute_b32 v5, v9, v2
	s_waitcnt lgkmcnt(1)
	v_add_f32_e32 v3, v3, v4
	s_waitcnt lgkmcnt(0)
	v_add_f32_e32 v2, v2, v5
	ds_bpermute_b32 v4, v10, v3
	;; [unrolled: 6-line block ×4, first 2 shown]
	ds_bpermute_b32 v3, v12, v2
	s_and_b64 exec, exec, s[0:1]
	s_cbranch_execz .LBB91_27
; %bb.23:
	s_andn2_b64 vcc, exec, s[8:9]
	v_lshl_add_u64 v[0:1], s[2:3], 0, v[0:1]
	s_cbranch_vccnz .LBB91_25
; %bb.24:
	s_waitcnt lgkmcnt(1)
	v_add_f32_e32 v4, v4, v5
	v_cvt_f16_f32_e32 v6, v4
	v_lshl_add_u64 v[4:5], v[0:1], 1, s[12:13]
	global_store_short v[4:5], v6, off offset:32
.LBB91_25:
	s_andn2_b64 vcc, exec, s[6:7]
	s_cbranch_vccnz .LBB91_27
; %bb.26:
	s_waitcnt lgkmcnt(0)
	v_add_f32_e32 v2, v2, v3
	v_cvt_f16_f32_e32 v2, v2
	v_lshl_add_u64 v[0:1], v[0:1], 1, s[14:15]
	global_store_short v[0:1], v2, off offset:32
.LBB91_27:
	s_endpgm
	.section	.rodata,"a",@progbits
	.p2align	6, 0x0
	.amdhsa_kernel _ZN2at6native12_GLOBAL__N_135GammaBetaBackwardCUDAKernelTemplateIN3c104HalfEfLj32ELj32ELj256ELb0ELb1ELb0EEEvllPKT_S7_PKT0_SA_PS5_SB_
		.amdhsa_group_segment_fixed_size 0
		.amdhsa_private_segment_fixed_size 0
		.amdhsa_kernarg_size 320
		.amdhsa_user_sgpr_count 2
		.amdhsa_user_sgpr_dispatch_ptr 0
		.amdhsa_user_sgpr_queue_ptr 0
		.amdhsa_user_sgpr_kernarg_segment_ptr 1
		.amdhsa_user_sgpr_dispatch_id 0
		.amdhsa_user_sgpr_kernarg_preload_length 0
		.amdhsa_user_sgpr_kernarg_preload_offset 0
		.amdhsa_user_sgpr_private_segment_size 0
		.amdhsa_uses_dynamic_stack 0
		.amdhsa_enable_private_segment 0
		.amdhsa_system_sgpr_workgroup_id_x 1
		.amdhsa_system_sgpr_workgroup_id_y 1
		.amdhsa_system_sgpr_workgroup_id_z 0
		.amdhsa_system_sgpr_workgroup_info 0
		.amdhsa_system_vgpr_workitem_id 1
		.amdhsa_next_free_vgpr 56
		.amdhsa_next_free_sgpr 32
		.amdhsa_accum_offset 56
		.amdhsa_reserve_vcc 1
		.amdhsa_float_round_mode_32 0
		.amdhsa_float_round_mode_16_64 0
		.amdhsa_float_denorm_mode_32 3
		.amdhsa_float_denorm_mode_16_64 3
		.amdhsa_dx10_clamp 1
		.amdhsa_ieee_mode 1
		.amdhsa_fp16_overflow 0
		.amdhsa_tg_split 0
		.amdhsa_exception_fp_ieee_invalid_op 0
		.amdhsa_exception_fp_denorm_src 0
		.amdhsa_exception_fp_ieee_div_zero 0
		.amdhsa_exception_fp_ieee_overflow 0
		.amdhsa_exception_fp_ieee_underflow 0
		.amdhsa_exception_fp_ieee_inexact 0
		.amdhsa_exception_int_div_zero 0
	.end_amdhsa_kernel
	.section	.text._ZN2at6native12_GLOBAL__N_135GammaBetaBackwardCUDAKernelTemplateIN3c104HalfEfLj32ELj32ELj256ELb0ELb1ELb0EEEvllPKT_S7_PKT0_SA_PS5_SB_,"axG",@progbits,_ZN2at6native12_GLOBAL__N_135GammaBetaBackwardCUDAKernelTemplateIN3c104HalfEfLj32ELj32ELj256ELb0ELb1ELb0EEEvllPKT_S7_PKT0_SA_PS5_SB_,comdat
.Lfunc_end91:
	.size	_ZN2at6native12_GLOBAL__N_135GammaBetaBackwardCUDAKernelTemplateIN3c104HalfEfLj32ELj32ELj256ELb0ELb1ELb0EEEvllPKT_S7_PKT0_SA_PS5_SB_, .Lfunc_end91-_ZN2at6native12_GLOBAL__N_135GammaBetaBackwardCUDAKernelTemplateIN3c104HalfEfLj32ELj32ELj256ELb0ELb1ELb0EEEvllPKT_S7_PKT0_SA_PS5_SB_
                                        ; -- End function
	.set _ZN2at6native12_GLOBAL__N_135GammaBetaBackwardCUDAKernelTemplateIN3c104HalfEfLj32ELj32ELj256ELb0ELb1ELb0EEEvllPKT_S7_PKT0_SA_PS5_SB_.num_vgpr, 56
	.set _ZN2at6native12_GLOBAL__N_135GammaBetaBackwardCUDAKernelTemplateIN3c104HalfEfLj32ELj32ELj256ELb0ELb1ELb0EEEvllPKT_S7_PKT0_SA_PS5_SB_.num_agpr, 0
	.set _ZN2at6native12_GLOBAL__N_135GammaBetaBackwardCUDAKernelTemplateIN3c104HalfEfLj32ELj32ELj256ELb0ELb1ELb0EEEvllPKT_S7_PKT0_SA_PS5_SB_.numbered_sgpr, 32
	.set _ZN2at6native12_GLOBAL__N_135GammaBetaBackwardCUDAKernelTemplateIN3c104HalfEfLj32ELj32ELj256ELb0ELb1ELb0EEEvllPKT_S7_PKT0_SA_PS5_SB_.num_named_barrier, 0
	.set _ZN2at6native12_GLOBAL__N_135GammaBetaBackwardCUDAKernelTemplateIN3c104HalfEfLj32ELj32ELj256ELb0ELb1ELb0EEEvllPKT_S7_PKT0_SA_PS5_SB_.private_seg_size, 0
	.set _ZN2at6native12_GLOBAL__N_135GammaBetaBackwardCUDAKernelTemplateIN3c104HalfEfLj32ELj32ELj256ELb0ELb1ELb0EEEvllPKT_S7_PKT0_SA_PS5_SB_.uses_vcc, 1
	.set _ZN2at6native12_GLOBAL__N_135GammaBetaBackwardCUDAKernelTemplateIN3c104HalfEfLj32ELj32ELj256ELb0ELb1ELb0EEEvllPKT_S7_PKT0_SA_PS5_SB_.uses_flat_scratch, 0
	.set _ZN2at6native12_GLOBAL__N_135GammaBetaBackwardCUDAKernelTemplateIN3c104HalfEfLj32ELj32ELj256ELb0ELb1ELb0EEEvllPKT_S7_PKT0_SA_PS5_SB_.has_dyn_sized_stack, 0
	.set _ZN2at6native12_GLOBAL__N_135GammaBetaBackwardCUDAKernelTemplateIN3c104HalfEfLj32ELj32ELj256ELb0ELb1ELb0EEEvllPKT_S7_PKT0_SA_PS5_SB_.has_recursion, 0
	.set _ZN2at6native12_GLOBAL__N_135GammaBetaBackwardCUDAKernelTemplateIN3c104HalfEfLj32ELj32ELj256ELb0ELb1ELb0EEEvllPKT_S7_PKT0_SA_PS5_SB_.has_indirect_call, 0
	.section	.AMDGPU.csdata,"",@progbits
; Kernel info:
; codeLenInByte = 1960
; TotalNumSgprs: 38
; NumVgprs: 56
; NumAgprs: 0
; TotalNumVgprs: 56
; ScratchSize: 0
; MemoryBound: 0
; FloatMode: 240
; IeeeMode: 1
; LDSByteSize: 0 bytes/workgroup (compile time only)
; SGPRBlocks: 4
; VGPRBlocks: 6
; NumSGPRsForWavesPerEU: 38
; NumVGPRsForWavesPerEU: 56
; AccumOffset: 56
; Occupancy: 8
; WaveLimiterHint : 0
; COMPUTE_PGM_RSRC2:SCRATCH_EN: 0
; COMPUTE_PGM_RSRC2:USER_SGPR: 2
; COMPUTE_PGM_RSRC2:TRAP_HANDLER: 0
; COMPUTE_PGM_RSRC2:TGID_X_EN: 1
; COMPUTE_PGM_RSRC2:TGID_Y_EN: 1
; COMPUTE_PGM_RSRC2:TGID_Z_EN: 0
; COMPUTE_PGM_RSRC2:TIDIG_COMP_CNT: 1
; COMPUTE_PGM_RSRC3_GFX90A:ACCUM_OFFSET: 13
; COMPUTE_PGM_RSRC3_GFX90A:TG_SPLIT: 0
	.section	.text._ZN2at6native12_GLOBAL__N_135GammaBetaBackwardCUDAKernelTemplateIN3c104HalfEfLj32ELj32ELj256ELb0ELb0ELb0EEEvllPKT_S7_PKT0_SA_PS5_SB_,"axG",@progbits,_ZN2at6native12_GLOBAL__N_135GammaBetaBackwardCUDAKernelTemplateIN3c104HalfEfLj32ELj32ELj256ELb0ELb0ELb0EEEvllPKT_S7_PKT0_SA_PS5_SB_,comdat
	.globl	_ZN2at6native12_GLOBAL__N_135GammaBetaBackwardCUDAKernelTemplateIN3c104HalfEfLj32ELj32ELj256ELb0ELb0ELb0EEEvllPKT_S7_PKT0_SA_PS5_SB_ ; -- Begin function _ZN2at6native12_GLOBAL__N_135GammaBetaBackwardCUDAKernelTemplateIN3c104HalfEfLj32ELj32ELj256ELb0ELb0ELb0EEEvllPKT_S7_PKT0_SA_PS5_SB_
	.p2align	8
	.type	_ZN2at6native12_GLOBAL__N_135GammaBetaBackwardCUDAKernelTemplateIN3c104HalfEfLj32ELj32ELj256ELb0ELb0ELb0EEEvllPKT_S7_PKT0_SA_PS5_SB_,@function
_ZN2at6native12_GLOBAL__N_135GammaBetaBackwardCUDAKernelTemplateIN3c104HalfEfLj32ELj32ELj256ELb0ELb0ELb0EEEvllPKT_S7_PKT0_SA_PS5_SB_: ; @_ZN2at6native12_GLOBAL__N_135GammaBetaBackwardCUDAKernelTemplateIN3c104HalfEfLj32ELj32ELj256ELb0ELb0ELb0EEEvllPKT_S7_PKT0_SA_PS5_SB_
; %bb.0:
	s_load_dwordx8 s[8:15], s[0:1], 0x0
	s_load_dwordx4 s[16:19], s[0:1], 0x20
	s_lshl_b32 s33, s2, 5
	s_mov_b32 s21, 0
	s_lshl_b32 s20, s3, 8
	s_or_b32 s4, s33, 31
	v_mov_b64_e32 v[2:3], s[20:21]
	v_mov_b32_e32 v26, s4
	v_mov_b32_e32 v27, 0
	s_waitcnt lgkmcnt(0)
	v_cmp_gt_i64_e64 s[4:5], s[8:9], v[2:3]
	v_cmp_le_i64_e32 vcc, s[10:11], v[26:27]
	s_nop 0
	v_cndmask_b32_e64 v1, 0, 1, s[4:5]
	v_cmp_ne_u32_e64 s[4:5], 1, v1
	s_cbranch_vccz .LBB92_48
; %bb.1:
	s_and_b64 vcc, exec, s[4:5]
	v_mov_b32_e32 v26, 0
	s_cbranch_vccnz .LBB92_49
; %bb.2:
	v_and_b32_e32 v1, 0x3ff, v0
	v_mov_b32_e32 v2, 0
	v_bfe_u32 v62, v0, 10, 10
	v_add_u32_e32 v4, s33, v1
	v_mov_b32_e32 v5, v2
	v_lshlrev_b32_e32 v20, 3, v62
	v_mov_b32_e32 v21, v2
	v_cmp_gt_i64_e64 s[6:7], s[10:11], v[4:5]
	v_lshlrev_b64 v[22:23], 1, v[4:5]
	v_lshl_add_u64 v[4:5], v[20:21], 0, s[20:21]
	v_mul_lo_u32 v3, s11, v4
	v_mul_lo_u32 v8, s10, v5
	v_mad_u64_u32 v[6:7], s[24:25], s10, v4, 0
	v_add3_u32 v7, v7, v8, v3
	v_lshlrev_b64 v[6:7], 1, v[6:7]
	v_lshl_add_u64 v[24:25], s[12:13], 0, v[6:7]
	v_lshl_add_u64 v[28:29], s[14:15], 0, v[6:7]
	v_lshl_add_u64 v[6:7], v[4:5], 0, 7
	v_mul_lo_u32 v9, s11, v6
	v_mul_lo_u32 v10, s10, v7
	v_mad_u64_u32 v[6:7], s[26:27], s10, v6, 0
	v_add3_u32 v7, v7, v10, v9
	v_lshlrev_b64 v[6:7], 1, v[6:7]
	v_lshl_add_u64 v[30:31], s[12:13], 0, v[6:7]
	v_lshl_add_u64 v[32:33], s[14:15], 0, v[6:7]
	;; [unrolled: 8-line block ×5, first 2 shown]
	v_lshl_add_u64 v[6:7], v[4:5], 0, 3
	v_mul_lo_u32 v9, s11, v6
	v_mul_lo_u32 v10, s10, v7
	v_mad_u64_u32 v[6:7], s[26:27], s10, v6, 0
	v_add3_u32 v7, v7, v10, v9
	s_load_dword s3, s[0:1], 0x44
	v_lshlrev_b64 v[6:7], 1, v[6:7]
	v_lshl_add_u64 v[46:47], s[12:13], 0, v[6:7]
	v_lshl_add_u64 v[48:49], s[14:15], 0, v[6:7]
	;; [unrolled: 1-line block ×3, first 2 shown]
	v_mul_lo_u32 v5, s11, v6
	v_mul_lo_u32 v9, s10, v7
	v_mad_u64_u32 v[6:7], s[26:27], s10, v6, 0
	v_add3_u32 v7, v7, v9, v5
	s_add_u32 s22, s0, 64
	v_lshlrev_b64 v[6:7], 1, v[6:7]
	s_addc_u32 s23, s1, 0
	s_waitcnt lgkmcnt(0)
	s_lshl_b32 s3, s3, 8
	v_lshl_add_u64 v[50:51], s[12:13], 0, v[6:7]
	v_lshl_add_u64 v[52:53], s[14:15], 0, v[6:7]
	v_mov_b64_e32 v[6:7], s[10:11]
	s_mul_i32 s24, s11, s3
	s_mul_hi_u32 s25, s10, s3
	v_mad_u64_u32 v[4:5], s[26:27], s10, v4, v[6:7]
	s_add_i32 s25, s25, s24
	s_mul_i32 s24, s10, s3
	v_add3_u32 v5, v3, v5, v8
	v_mbcnt_lo_u32_b32 v3, -1, 0
	s_lshl_b64 s[24:25], s[24:25], 1
	v_mbcnt_hi_u32_b32 v3, -1, v3
	v_lshlrev_b64 v[4:5], 1, v[4:5]
	s_add_u32 s26, s20, 0xff
	s_movk_i32 s28, 0xff01
	s_movk_i32 s30, 0xff02
	;; [unrolled: 1-line block ×8, first 2 shown]
	v_lshlrev_b32_e32 v3, 2, v3
	v_lshl_add_u64 v[54:55], s[12:13], 0, v[4:5]
	v_lshl_add_u64 v[56:57], s[14:15], 0, v[4:5]
	s_addc_u32 s27, 0, 0
	s_mov_b32 s29, -1
	s_mov_b32 s31, -1
	;; [unrolled: 1-line block ×8, first 2 shown]
	v_and_b32_e32 v63, 0x100, v3
	s_mov_b64 s[46:47], s[20:21]
	v_mov_b32_e32 v26, 0
	v_mov_b32_e32 v27, v2
	s_branch .LBB92_5
.LBB92_3:                               ;   in Loop: Header=BB92_5 Depth=1
	s_or_b64 exec, exec, s[48:49]
	s_waitcnt vmcnt(1)
	ds_bpermute_b32 v3, v63, v61
	ds_bpermute_b32 v58, v63, v61 offset:4
	s_waitcnt vmcnt(0)
	ds_bpermute_b32 v59, v63, v60
	ds_bpermute_b32 v64, v63, v60 offset:4
	v_mov_b32_e32 v66, v8
	s_waitcnt lgkmcnt(3)
	v_sub_f32_e32 v3, v12, v3
	v_mul_f32_e32 v3, v4, v3
	s_waitcnt lgkmcnt(2)
	v_sub_f32_e32 v12, v13, v58
	s_waitcnt lgkmcnt(1)
	v_mul_f32_e32 v13, v3, v59
	ds_bpermute_b32 v3, v63, v61 offset:8
	v_mul_f32_e32 v12, v5, v12
	s_waitcnt lgkmcnt(1)
	v_mul_f32_e32 v59, v12, v64
	ds_bpermute_b32 v12, v63, v60 offset:8
	ds_bpermute_b32 v58, v63, v61 offset:12
	s_waitcnt lgkmcnt(2)
	v_sub_f32_e32 v3, v14, v3
	ds_bpermute_b32 v14, v63, v60 offset:12
	v_mul_f32_e32 v3, v6, v3
	s_waitcnt lgkmcnt(2)
	v_mul_f32_e32 v65, v3, v12
	s_waitcnt lgkmcnt(1)
	v_sub_f32_e32 v3, v15, v58
	ds_bpermute_b32 v12, v63, v61 offset:16
	v_mul_f32_e32 v3, v7, v3
	s_waitcnt lgkmcnt(1)
	v_mul_f32_e32 v15, v3, v14
	ds_bpermute_b32 v3, v63, v60 offset:16
	ds_bpermute_b32 v14, v63, v61 offset:20
	s_waitcnt lgkmcnt(2)
	v_sub_f32_e32 v12, v16, v12
	ds_bpermute_b32 v16, v63, v60 offset:20
	v_mul_f32_e32 v12, v8, v12
	s_waitcnt lgkmcnt(2)
	v_mul_f32_e32 v67, v12, v3
	v_mov_b32_e32 v12, v4
	s_waitcnt lgkmcnt(1)
	v_sub_f32_e32 v3, v17, v14
	v_pk_add_f32 v[12:13], v[26:27], v[12:13]
	v_mov_b32_e32 v58, v5
	v_mul_f32_e32 v3, v9, v3
	v_pk_add_f32 v[4:5], v[58:59], v[12:13]
	v_mov_b32_e32 v64, v6
	s_waitcnt lgkmcnt(0)
	v_mul_f32_e32 v17, v3, v16
	v_pk_add_f32 v[4:5], v[64:65], v[4:5]
	v_mov_b32_e32 v14, v7
	ds_bpermute_b32 v3, v63, v61 offset:24
	v_pk_add_f32 v[4:5], v[14:15], v[4:5]
	v_mov_b32_e32 v16, v9
	v_pk_add_f32 v[4:5], v[66:67], v[4:5]
	s_waitcnt lgkmcnt(0)
	v_sub_f32_e32 v8, v18, v3
	v_pk_add_f32 v[6:7], v[16:17], v[4:5]
	ds_bpermute_b32 v5, v63, v60 offset:24
	ds_bpermute_b32 v3, v63, v60 offset:28
	;; [unrolled: 1-line block ×3, first 2 shown]
	v_mul_f32_e32 v8, v10, v8
	s_waitcnt lgkmcnt(2)
	v_mul_f32_e32 v9, v8, v5
	v_mov_b32_e32 v8, v10
	v_pk_add_f32 v[60:61], v[8:9], v[6:7]
.LBB92_4:                               ;   in Loop: Header=BB92_5 Depth=1
	s_waitcnt lgkmcnt(0)
	v_sub_f32_e32 v4, v19, v4
	v_mul_f32_e32 v4, v11, v4
	v_mul_f32_e32 v5, v4, v3
	v_mov_b32_e32 v4, v11
	s_add_u32 s46, s46, s3
	v_pk_add_f32 v[26:27], v[60:61], v[4:5]
	s_addc_u32 s47, s47, 0
	v_mov_b64_e32 v[4:5], s[8:9]
	s_add_u32 s26, s26, s3
	v_cmp_lt_i64_e32 vcc, s[46:47], v[4:5]
	v_lshl_add_u64 v[24:25], v[24:25], 0, s[24:25]
	v_lshl_add_u64 v[28:29], v[28:29], 0, s[24:25]
	;; [unrolled: 1-line block ×16, first 2 shown]
	s_addc_u32 s27, s27, 0
	s_cbranch_vccz .LBB92_49
.LBB92_5:                               ; =>This Inner Loop Header: Depth=1
	v_mov_b64_e32 v[4:5], s[8:9]
	v_cmp_ge_i64_e32 vcc, s[26:27], v[4:5]
	v_lshl_add_u64 v[58:59], v[20:21], 0, s[26:27]
	s_mov_b64 s[48:49], -1
	s_and_b64 vcc, exec, vcc
                                        ; implicit-def: $vgpr4_vgpr5_vgpr6_vgpr7_vgpr8_vgpr9_vgpr10_vgpr11
                                        ; implicit-def: $vgpr60_vgpr61
                                        ; implicit-def: $vgpr3
                                        ; implicit-def: $vgpr12_vgpr13_vgpr14_vgpr15_vgpr16_vgpr17_vgpr18_vgpr19
                                        ; implicit-def: $vgpr4
	s_cbranch_vccz .LBB92_27
; %bb.6:                                ;   in Loop: Header=BB92_5 Depth=1
	s_load_dword s48, s[22:23], 0xc
	v_mov_b32_e32 v60, 0
	v_mov_b32_e32 v61, 0
	s_waitcnt lgkmcnt(0)
	s_and_b32 s48, s48, 0xffff
	v_mad_u32_u24 v3, v62, s48, v1
	v_and_b32_e32 v4, 63, v3
	v_cmp_gt_u32_e32 vcc, 8, v4
	s_and_saveexec_b64 s[48:49], vcc
	s_cbranch_execz .LBB92_10
; %bb.7:                                ;   in Loop: Header=BB92_5 Depth=1
	v_mov_b32_e32 v5, v2
	v_lshl_add_u64 v[4:5], v[58:59], 0, v[4:5]
	v_lshl_add_u64 v[4:5], v[4:5], 0, s[28:29]
	v_cmp_gt_i64_e32 vcc, s[8:9], v[4:5]
	v_mov_b32_e32 v61, 0
	v_mov_b32_e32 v60, 0
	s_and_saveexec_b64 s[50:51], vcc
	s_cbranch_execz .LBB92_9
; %bb.8:                                ;   in Loop: Header=BB92_5 Depth=1
	v_lshlrev_b64 v[4:5], 2, v[4:5]
	v_lshl_add_u64 v[6:7], s[18:19], 0, v[4:5]
	v_lshl_add_u64 v[4:5], s[16:17], 0, v[4:5]
	global_load_dword v61, v[4:5], off
	global_load_dword v60, v[6:7], off
.LBB92_9:                               ;   in Loop: Header=BB92_5 Depth=1
	s_or_b64 exec, exec, s[50:51]
.LBB92_10:                              ;   in Loop: Header=BB92_5 Depth=1
	s_or_b64 exec, exec, s[48:49]
	v_lshl_add_u64 v[4:5], v[58:59], 0, s[28:29]
	v_mov_b32_e32 v8, v2
	v_mov_b32_e32 v9, v2
	v_cmp_gt_i64_e32 vcc, s[8:9], v[4:5]
	v_mov_b32_e32 v3, v2
	v_mov_b32_e32 v4, v2
	;; [unrolled: 1-line block ×5, first 2 shown]
	v_mov_b64_e32 v[18:19], v[8:9]
	v_mov_b64_e32 v[16:17], v[6:7]
	;; [unrolled: 1-line block ×5, first 2 shown]
	s_and_b64 s[50:51], s[6:7], vcc
	v_mov_b64_e32 v[8:9], v[6:7]
	v_mov_b64_e32 v[6:7], v[4:5]
	;; [unrolled: 1-line block ×3, first 2 shown]
	s_and_saveexec_b64 s[48:49], s[50:51]
	s_cbranch_execz .LBB92_12
; %bb.11:                               ;   in Loop: Header=BB92_5 Depth=1
	v_lshl_add_u64 v[4:5], v[24:25], 0, v[22:23]
	global_load_ushort v3, v[4:5], off
	v_lshl_add_u64 v[4:5], v[28:29], 0, v[22:23]
	global_load_ushort v12, v[4:5], off
	v_mov_b32_e32 v5, v2
	v_mov_b32_e32 v6, v2
	;; [unrolled: 1-line block ×14, first 2 shown]
	s_waitcnt vmcnt(1)
	v_cvt_f32_f16_e32 v4, v3
	s_waitcnt vmcnt(0)
	v_cvt_f32_f16_e32 v12, v12
.LBB92_12:                              ;   in Loop: Header=BB92_5 Depth=1
	s_or_b64 exec, exec, s[48:49]
	v_lshl_add_u64 v[64:65], v[58:59], 0, s[30:31]
	v_cmp_gt_i64_e32 vcc, s[8:9], v[64:65]
	s_and_b64 s[50:51], s[6:7], vcc
	s_and_saveexec_b64 s[48:49], s[50:51]
	s_cbranch_execz .LBB92_14
; %bb.13:                               ;   in Loop: Header=BB92_5 Depth=1
	v_lshl_add_u64 v[64:65], v[54:55], 0, v[22:23]
	global_load_ushort v3, v[64:65], off
	v_lshl_add_u64 v[64:65], v[56:57], 0, v[22:23]
	global_load_ushort v13, v[64:65], off
	s_waitcnt vmcnt(1)
	v_cvt_f32_f16_e32 v5, v3
	s_waitcnt vmcnt(0)
	v_cvt_f32_f16_e32 v13, v13
.LBB92_14:                              ;   in Loop: Header=BB92_5 Depth=1
	s_or_b64 exec, exec, s[48:49]
	v_lshl_add_u64 v[64:65], v[58:59], 0, s[34:35]
	v_cmp_gt_i64_e32 vcc, s[8:9], v[64:65]
	s_and_b64 s[50:51], s[6:7], vcc
	s_and_saveexec_b64 s[48:49], s[50:51]
	s_cbranch_execz .LBB92_16
; %bb.15:                               ;   in Loop: Header=BB92_5 Depth=1
	v_lshl_add_u64 v[64:65], v[50:51], 0, v[22:23]
	global_load_ushort v3, v[64:65], off
	v_lshl_add_u64 v[64:65], v[52:53], 0, v[22:23]
	global_load_ushort v14, v[64:65], off
	s_waitcnt vmcnt(1)
	v_cvt_f32_f16_e32 v6, v3
	s_waitcnt vmcnt(0)
	v_cvt_f32_f16_e32 v14, v14
.LBB92_16:                              ;   in Loop: Header=BB92_5 Depth=1
	;; [unrolled: 16-line block ×7, first 2 shown]
	s_or_b64 exec, exec, s[48:49]
	s_waitcnt vmcnt(1)
	ds_bpermute_b32 v3, v63, v61
	ds_bpermute_b32 v64, v63, v61 offset:4
	s_waitcnt vmcnt(0)
	ds_bpermute_b32 v65, v63, v60
	ds_bpermute_b32 v66, v63, v60 offset:4
	v_mov_b32_e32 v68, v8
	s_waitcnt lgkmcnt(3)
	v_sub_f32_e32 v3, v12, v3
	v_mul_f32_e32 v3, v4, v3
	s_waitcnt lgkmcnt(2)
	v_sub_f32_e32 v12, v13, v64
	s_waitcnt lgkmcnt(1)
	v_mul_f32_e32 v13, v3, v65
	ds_bpermute_b32 v3, v63, v61 offset:8
	v_mul_f32_e32 v12, v5, v12
	s_waitcnt lgkmcnt(1)
	v_mul_f32_e32 v65, v12, v66
	ds_bpermute_b32 v12, v63, v60 offset:8
	ds_bpermute_b32 v64, v63, v61 offset:12
	s_waitcnt lgkmcnt(2)
	v_sub_f32_e32 v3, v14, v3
	ds_bpermute_b32 v14, v63, v60 offset:12
	v_mul_f32_e32 v3, v6, v3
	s_waitcnt lgkmcnt(2)
	v_mul_f32_e32 v67, v3, v12
	ds_bpermute_b32 v12, v63, v61 offset:16
	s_waitcnt lgkmcnt(2)
	v_sub_f32_e32 v3, v15, v64
	v_mul_f32_e32 v3, v7, v3
	s_waitcnt lgkmcnt(1)
	v_mul_f32_e32 v15, v3, v14
	ds_bpermute_b32 v3, v63, v60 offset:16
	ds_bpermute_b32 v14, v63, v61 offset:20
	s_waitcnt lgkmcnt(2)
	v_sub_f32_e32 v12, v16, v12
	ds_bpermute_b32 v16, v63, v60 offset:20
	v_mul_f32_e32 v12, v8, v12
	s_waitcnt lgkmcnt(2)
	v_mul_f32_e32 v69, v12, v3
	s_waitcnt lgkmcnt(1)
	v_sub_f32_e32 v3, v17, v14
	v_mov_b32_e32 v12, v4
	v_mul_f32_e32 v3, v9, v3
	v_pk_add_f32 v[12:13], v[26:27], v[12:13]
	v_mov_b32_e32 v64, v5
	s_waitcnt lgkmcnt(0)
	v_mul_f32_e32 v17, v3, v16
	v_pk_add_f32 v[4:5], v[64:65], v[12:13]
	v_mov_b32_e32 v66, v6
	ds_bpermute_b32 v3, v63, v61 offset:24
	v_pk_add_f32 v[4:5], v[66:67], v[4:5]
	v_mov_b32_e32 v14, v7
	v_pk_add_f32 v[4:5], v[14:15], v[4:5]
	v_mov_b32_e32 v16, v9
	v_pk_add_f32 v[4:5], v[68:69], v[4:5]
	s_waitcnt lgkmcnt(0)
	v_sub_f32_e32 v3, v18, v3
	v_pk_add_f32 v[6:7], v[16:17], v[4:5]
	ds_bpermute_b32 v5, v63, v60 offset:24
	v_mul_f32_e32 v8, v10, v3
	ds_bpermute_b32 v3, v63, v60 offset:28
	ds_bpermute_b32 v4, v63, v61 offset:28
	s_mov_b64 s[48:49], 0
	s_waitcnt lgkmcnt(2)
	v_mul_f32_e32 v9, v8, v5
	v_mov_b32_e32 v8, v10
	v_pk_add_f32 v[60:61], v[8:9], v[6:7]
.LBB92_27:                              ;   in Loop: Header=BB92_5 Depth=1
	s_and_b64 vcc, exec, s[48:49]
	s_cbranch_vccz .LBB92_4
; %bb.28:                               ;   in Loop: Header=BB92_5 Depth=1
	s_load_dword s48, s[22:23], 0x0
	v_mov_b32_e32 v60, 0
	v_mov_b32_e32 v61, 0
	s_waitcnt lgkmcnt(0)
	s_cmp_lt_u32 s2, s48
	s_cselect_b32 s48, 12, 18
	s_add_u32 s48, s22, s48
	s_addc_u32 s49, s23, 0
	global_load_ushort v3, v2, s[48:49]
	s_waitcnt vmcnt(0)
	v_mad_u32_u24 v3, v62, v3, v1
	v_and_b32_e32 v4, 63, v3
	v_cmp_gt_u32_e32 vcc, 8, v4
	s_and_saveexec_b64 s[48:49], vcc
	s_cbranch_execz .LBB92_32
; %bb.29:                               ;   in Loop: Header=BB92_5 Depth=1
	v_mov_b32_e32 v5, v2
	v_lshl_add_u64 v[4:5], v[58:59], 0, v[4:5]
	v_lshl_add_u64 v[4:5], v[4:5], 0, s[28:29]
	v_cmp_gt_i64_e32 vcc, s[8:9], v[4:5]
	v_mov_b32_e32 v61, 0
	v_mov_b32_e32 v60, 0
	s_and_saveexec_b64 s[50:51], vcc
	s_cbranch_execz .LBB92_31
; %bb.30:                               ;   in Loop: Header=BB92_5 Depth=1
	v_lshlrev_b64 v[4:5], 2, v[4:5]
	v_lshl_add_u64 v[6:7], s[18:19], 0, v[4:5]
	v_lshl_add_u64 v[4:5], s[16:17], 0, v[4:5]
	global_load_dword v61, v[4:5], off
	global_load_dword v60, v[6:7], off
.LBB92_31:                              ;   in Loop: Header=BB92_5 Depth=1
	s_or_b64 exec, exec, s[50:51]
.LBB92_32:                              ;   in Loop: Header=BB92_5 Depth=1
	s_or_b64 exec, exec, s[48:49]
	v_mov_b32_e32 v8, v2
	v_mov_b32_e32 v9, v2
	v_mov_b32_e32 v3, v2
	v_mov_b32_e32 v4, v2
	v_mov_b32_e32 v5, v2
	v_mov_b32_e32 v6, v2
	v_mov_b32_e32 v7, v2
	v_mov_b64_e32 v[18:19], v[8:9]
	v_mov_b64_e32 v[16:17], v[6:7]
	;; [unrolled: 1-line block ×8, first 2 shown]
	s_and_saveexec_b64 s[48:49], s[6:7]
	s_cbranch_execnz .LBB92_40
; %bb.33:                               ;   in Loop: Header=BB92_5 Depth=1
	s_or_b64 exec, exec, s[48:49]
	s_and_saveexec_b64 s[48:49], s[6:7]
	s_cbranch_execnz .LBB92_41
.LBB92_34:                              ;   in Loop: Header=BB92_5 Depth=1
	s_or_b64 exec, exec, s[48:49]
	s_and_saveexec_b64 s[48:49], s[6:7]
	s_cbranch_execnz .LBB92_42
.LBB92_35:                              ;   in Loop: Header=BB92_5 Depth=1
	s_or_b64 exec, exec, s[48:49]
	s_and_saveexec_b64 s[48:49], s[6:7]
	s_cbranch_execnz .LBB92_43
.LBB92_36:                              ;   in Loop: Header=BB92_5 Depth=1
	s_or_b64 exec, exec, s[48:49]
	s_and_saveexec_b64 s[48:49], s[6:7]
	s_cbranch_execnz .LBB92_44
.LBB92_37:                              ;   in Loop: Header=BB92_5 Depth=1
	s_or_b64 exec, exec, s[48:49]
	s_and_saveexec_b64 s[48:49], s[6:7]
	s_cbranch_execnz .LBB92_45
.LBB92_38:                              ;   in Loop: Header=BB92_5 Depth=1
	s_or_b64 exec, exec, s[48:49]
	s_and_saveexec_b64 s[48:49], s[6:7]
	s_cbranch_execnz .LBB92_46
.LBB92_39:                              ;   in Loop: Header=BB92_5 Depth=1
	s_or_b64 exec, exec, s[48:49]
	s_and_saveexec_b64 s[48:49], s[6:7]
	s_cbranch_execz .LBB92_3
	s_branch .LBB92_47
.LBB92_40:                              ;   in Loop: Header=BB92_5 Depth=1
	v_lshl_add_u64 v[4:5], v[24:25], 0, v[22:23]
	global_load_ushort v3, v[4:5], off
	v_lshl_add_u64 v[4:5], v[28:29], 0, v[22:23]
	global_load_ushort v12, v[4:5], off
	v_mov_b32_e32 v5, v2
	v_mov_b32_e32 v6, v2
	;; [unrolled: 1-line block ×14, first 2 shown]
	s_waitcnt vmcnt(1)
	v_cvt_f32_f16_e32 v4, v3
	s_waitcnt vmcnt(0)
	v_cvt_f32_f16_e32 v12, v12
	s_or_b64 exec, exec, s[48:49]
	s_and_saveexec_b64 s[48:49], s[6:7]
	s_cbranch_execz .LBB92_34
.LBB92_41:                              ;   in Loop: Header=BB92_5 Depth=1
	v_lshl_add_u64 v[58:59], v[54:55], 0, v[22:23]
	global_load_ushort v3, v[58:59], off
	v_lshl_add_u64 v[58:59], v[56:57], 0, v[22:23]
	global_load_ushort v13, v[58:59], off
	s_waitcnt vmcnt(1)
	v_cvt_f32_f16_e32 v5, v3
	s_waitcnt vmcnt(0)
	v_cvt_f32_f16_e32 v13, v13
	s_or_b64 exec, exec, s[48:49]
	s_and_saveexec_b64 s[48:49], s[6:7]
	s_cbranch_execz .LBB92_35
.LBB92_42:                              ;   in Loop: Header=BB92_5 Depth=1
	v_lshl_add_u64 v[58:59], v[50:51], 0, v[22:23]
	global_load_ushort v3, v[58:59], off
	v_lshl_add_u64 v[58:59], v[52:53], 0, v[22:23]
	global_load_ushort v14, v[58:59], off
	s_waitcnt vmcnt(1)
	v_cvt_f32_f16_e32 v6, v3
	s_waitcnt vmcnt(0)
	v_cvt_f32_f16_e32 v14, v14
	s_or_b64 exec, exec, s[48:49]
	s_and_saveexec_b64 s[48:49], s[6:7]
	s_cbranch_execz .LBB92_36
.LBB92_43:                              ;   in Loop: Header=BB92_5 Depth=1
	v_lshl_add_u64 v[58:59], v[46:47], 0, v[22:23]
	global_load_ushort v3, v[58:59], off
	v_lshl_add_u64 v[58:59], v[48:49], 0, v[22:23]
	global_load_ushort v15, v[58:59], off
	s_waitcnt vmcnt(1)
	v_cvt_f32_f16_e32 v7, v3
	s_waitcnt vmcnt(0)
	v_cvt_f32_f16_e32 v15, v15
	s_or_b64 exec, exec, s[48:49]
	s_and_saveexec_b64 s[48:49], s[6:7]
	s_cbranch_execz .LBB92_37
.LBB92_44:                              ;   in Loop: Header=BB92_5 Depth=1
	v_lshl_add_u64 v[58:59], v[42:43], 0, v[22:23]
	global_load_ushort v3, v[58:59], off
	v_lshl_add_u64 v[58:59], v[44:45], 0, v[22:23]
	global_load_ushort v16, v[58:59], off
	s_waitcnt vmcnt(1)
	v_cvt_f32_f16_e32 v8, v3
	s_waitcnt vmcnt(0)
	v_cvt_f32_f16_e32 v16, v16
	s_or_b64 exec, exec, s[48:49]
	s_and_saveexec_b64 s[48:49], s[6:7]
	s_cbranch_execz .LBB92_38
.LBB92_45:                              ;   in Loop: Header=BB92_5 Depth=1
	v_lshl_add_u64 v[58:59], v[38:39], 0, v[22:23]
	global_load_ushort v3, v[58:59], off
	v_lshl_add_u64 v[58:59], v[40:41], 0, v[22:23]
	global_load_ushort v17, v[58:59], off
	s_waitcnt vmcnt(1)
	v_cvt_f32_f16_e32 v9, v3
	s_waitcnt vmcnt(0)
	v_cvt_f32_f16_e32 v17, v17
	s_or_b64 exec, exec, s[48:49]
	s_and_saveexec_b64 s[48:49], s[6:7]
	s_cbranch_execz .LBB92_39
.LBB92_46:                              ;   in Loop: Header=BB92_5 Depth=1
	v_lshl_add_u64 v[58:59], v[34:35], 0, v[22:23]
	global_load_ushort v3, v[58:59], off
	v_lshl_add_u64 v[58:59], v[36:37], 0, v[22:23]
	global_load_ushort v18, v[58:59], off
	s_waitcnt vmcnt(1)
	v_cvt_f32_f16_e32 v10, v3
	s_waitcnt vmcnt(0)
	v_cvt_f32_f16_e32 v18, v18
	s_or_b64 exec, exec, s[48:49]
	s_and_saveexec_b64 s[48:49], s[6:7]
	s_cbranch_execz .LBB92_3
.LBB92_47:                              ;   in Loop: Header=BB92_5 Depth=1
	v_lshl_add_u64 v[58:59], v[30:31], 0, v[22:23]
	global_load_ushort v3, v[58:59], off
	v_lshl_add_u64 v[58:59], v[32:33], 0, v[22:23]
	global_load_ushort v19, v[58:59], off
	s_waitcnt vmcnt(1)
	v_cvt_f32_f16_e32 v11, v3
	s_waitcnt vmcnt(0)
	v_cvt_f32_f16_e32 v19, v19
	s_branch .LBB92_3
.LBB92_48:
                                        ; implicit-def: $vgpr27
	s_branch .LBB92_50
.LBB92_49:
	s_cbranch_execnz .LBB92_81
.LBB92_50:
	v_mov_b32_e32 v27, 0
	s_and_b64 vcc, exec, s[4:5]
	v_mov_b32_e32 v26, v27
	s_cbranch_vccnz .LBB92_81
; %bb.51:
	v_mov_b32_e32 v2, 0
	v_bfe_u32 v90, v0, 10, 10
	v_lshlrev_b32_e32 v6, 4, v90
	v_mov_b32_e32 v7, v2
	v_lshl_add_u64 v[6:7], s[20:21], 1, v[6:7]
	v_lshl_add_u64 v[8:9], v[6:7], 0, 2
	v_mov_b64_e32 v[10:11], s[12:13]
	v_lshl_add_u64 v[12:13], v[6:7], 0, 4
	v_lshl_add_u64 v[14:15], v[6:7], 0, 6
	;; [unrolled: 1-line block ×6, first 2 shown]
	v_mad_u64_u32 v[22:23], s[4:5], s10, v8, v[10:11]
	v_mad_u64_u32 v[24:25], s[4:5], s10, v12, v[10:11]
	;; [unrolled: 1-line block ×7, first 2 shown]
	v_mov_b64_e32 v[10:11], s[14:15]
	v_mul_lo_u32 v9, s10, v9
	v_mul_lo_u32 v40, s11, v8
	v_mad_u64_u32 v[38:39], s[4:5], s10, v8, v[10:11]
	v_add3_u32 v23, v40, v23, v9
	v_mul_lo_u32 v13, s10, v13
	v_mul_lo_u32 v42, s11, v12
	v_add3_u32 v39, v40, v39, v9
	v_mad_u64_u32 v[40:41], s[4:5], s10, v12, v[10:11]
	v_add3_u32 v25, v42, v25, v13
	v_mul_lo_u32 v15, s10, v15
	v_mul_lo_u32 v44, s11, v14
	v_add3_u32 v41, v42, v41, v13
	;; [unrolled: 5-line block ×4, first 2 shown]
	v_mad_u64_u32 v[46:47], s[4:5], s10, v18, v[10:11]
	v_lshlrev_b32_e32 v20, 3, v90
	v_mov_b32_e32 v21, v2
	v_add3_u32 v33, v48, v33, v19
	v_mul_lo_u32 v27, s10, v27
	v_mul_lo_u32 v50, s11, v26
	v_add3_u32 v47, v48, v47, v19
	v_mad_u64_u32 v[48:49], s[4:5], s10, v26, v[10:11]
	v_lshl_add_u64 v[4:5], v[20:21], 0, s[20:21]
	v_add3_u32 v35, v50, v35, v27
	v_mul_lo_u32 v7, s10, v7
	v_mul_lo_u32 v8, s11, v6
	v_add3_u32 v49, v50, v49, v27
	v_mad_u64_u32 v[50:51], s[4:5], s10, v6, v[10:11]
	v_add3_u32 v37, v8, v37, v7
	v_add3_u32 v51, v8, v51, v7
	v_lshl_add_u64 v[6:7], v[4:5], 0, 7
	v_mul_lo_u32 v8, s11, v6
	v_mul_lo_u32 v9, s10, v7
	v_mad_u64_u32 v[6:7], s[4:5], s10, v6, 0
	v_add3_u32 v7, v7, v9, v8
	v_lshl_add_u64 v[8:9], v[4:5], 0, 6
	v_mul_lo_u32 v10, s11, v8
	v_mul_lo_u32 v11, s10, v9
	v_mad_u64_u32 v[8:9], s[4:5], s10, v8, 0
	;; [unrolled: 5-line block ×5, first 2 shown]
	v_add3_u32 v15, v15, v17, v16
	v_lshl_add_u64 v[16:17], v[4:5], 0, 2
	v_mul_lo_u32 v52, s10, v5
	v_mul_lo_u32 v5, s11, v16
	;; [unrolled: 1-line block ×3, first 2 shown]
	v_mad_u64_u32 v[16:17], s[4:5], s10, v16, 0
	v_add3_u32 v17, v17, v18, v5
	v_mov_b64_e32 v[18:19], s[10:11]
	v_mul_lo_u32 v3, s11, v4
	v_mad_u64_u32 v[18:19], s[4:5], s10, v4, v[18:19]
	v_mad_u64_u32 v[4:5], s[4:5], s10, v4, 0
	s_load_dword s3, s[0:1], 0x44
	v_add3_u32 v5, v5, v52, v3
	v_lshlrev_b64 v[4:5], 1, v[4:5]
	v_lshl_add_u64 v[54:55], s[12:13], 0, v[4:5]
	v_lshl_add_u64 v[56:57], s[14:15], 0, v[4:5]
	v_lshlrev_b64 v[4:5], 1, v[6:7]
	v_lshl_add_u64 v[58:59], s[12:13], 0, v[4:5]
	v_lshl_add_u64 v[60:61], s[14:15], 0, v[4:5]
	v_lshlrev_b64 v[4:5], 1, v[8:9]
	s_add_u32 s4, s0, 64
	v_lshl_add_u64 v[62:63], s[12:13], 0, v[4:5]
	v_lshl_add_u64 v[64:65], s[14:15], 0, v[4:5]
	v_lshlrev_b64 v[4:5], 1, v[10:11]
	s_addc_u32 s5, s1, 0
	s_waitcnt lgkmcnt(0)
	s_lshl_b32 s3, s3, 8
	v_lshl_add_u64 v[66:67], s[12:13], 0, v[4:5]
	v_lshl_add_u64 v[68:69], s[14:15], 0, v[4:5]
	v_lshlrev_b64 v[4:5], 1, v[12:13]
	s_mul_i32 s6, s11, s3
	s_mul_hi_u32 s7, s10, s3
	v_lshl_add_u64 v[70:71], s[12:13], 0, v[4:5]
	v_lshl_add_u64 v[72:73], s[14:15], 0, v[4:5]
	v_lshlrev_b64 v[4:5], 1, v[14:15]
	v_add3_u32 v19, v3, v19, v52
	s_add_i32 s7, s7, s6
	s_mul_i32 s6, s10, s3
	v_lshl_add_u64 v[74:75], s[12:13], 0, v[4:5]
	v_lshl_add_u64 v[76:77], s[14:15], 0, v[4:5]
	v_lshlrev_b64 v[4:5], 1, v[16:17]
	v_mbcnt_lo_u32_b32 v3, -1, 0
	v_and_b32_e32 v1, 0x3ff, v0
	s_lshl_b64 s[6:7], s[6:7], 1
	v_lshl_add_u64 v[78:79], s[12:13], 0, v[4:5]
	v_lshl_add_u64 v[80:81], s[14:15], 0, v[4:5]
	v_lshlrev_b64 v[4:5], 1, v[18:19]
	v_mbcnt_hi_u32_b32 v3, -1, v3
	v_add_u32_e32 v26, s33, v1
	v_mov_b32_e32 v27, v2
	s_add_u32 s22, s20, 0xff
	v_lshl_add_u64 v[82:83], s[12:13], 0, v[4:5]
	v_lshl_add_u64 v[84:85], s[14:15], 0, v[4:5]
	s_movk_i32 s12, 0xff01
	s_movk_i32 s14, 0xff02
	;; [unrolled: 1-line block ×8, first 2 shown]
	v_lshlrev_b32_e32 v3, 2, v3
	v_lshlrev_b64 v[52:53], 1, v[26:27]
	s_addc_u32 s23, 0, 0
	s_mov_b32 s13, -1
	s_mov_b32 s15, -1
	;; [unrolled: 1-line block ×8, first 2 shown]
	v_and_b32_e32 v91, 0x100, v3
	v_mov_b32_e32 v26, 0
	s_branch .LBB92_55
.LBB92_52:                              ;   in Loop: Header=BB92_55 Depth=1
	s_or_b64 exec, exec, s[40:41]
.LBB92_53:                              ;   in Loop: Header=BB92_55 Depth=1
	s_or_b64 exec, exec, s[38:39]
	v_lshl_add_u64 v[4:5], v[54:55], 0, v[52:53]
	global_load_ushort v7, v[4:5], off
	v_lshl_add_u64 v[4:5], v[56:57], 0, v[52:53]
	global_load_ushort v8, v[4:5], off
	v_lshl_add_u64 v[4:5], v[22:23], 0, v[52:53]
	global_load_ushort v9, v[4:5], off
	v_lshl_add_u64 v[4:5], v[38:39], 0, v[52:53]
	global_load_ushort v10, v[4:5], off
	v_lshl_add_u64 v[4:5], v[24:25], 0, v[52:53]
	global_load_ushort v11, v[4:5], off
	v_lshl_add_u64 v[4:5], v[40:41], 0, v[52:53]
	global_load_ushort v12, v[4:5], off
	v_lshl_add_u64 v[4:5], v[28:29], 0, v[52:53]
	global_load_ushort v13, v[4:5], off
	v_lshl_add_u64 v[4:5], v[42:43], 0, v[52:53]
	global_load_ushort v14, v[4:5], off
	v_lshl_add_u64 v[4:5], v[30:31], 0, v[52:53]
	global_load_ushort v15, v[4:5], off
	v_lshl_add_u64 v[4:5], v[44:45], 0, v[52:53]
	global_load_ushort v16, v[4:5], off
	v_lshl_add_u64 v[4:5], v[32:33], 0, v[52:53]
	global_load_ushort v17, v[4:5], off
	v_lshl_add_u64 v[4:5], v[46:47], 0, v[52:53]
	global_load_ushort v18, v[4:5], off
	v_lshl_add_u64 v[4:5], v[34:35], 0, v[52:53]
	global_load_ushort v19, v[4:5], off
	v_lshl_add_u64 v[4:5], v[48:49], 0, v[52:53]
	global_load_ushort v26, v[4:5], off
	v_lshl_add_u64 v[4:5], v[36:37], 0, v[52:53]
	global_load_ushort v27, v[4:5], off
	v_lshl_add_u64 v[4:5], v[50:51], 0, v[52:53]
	global_load_ushort v5, v[4:5], off
	s_waitcnt vmcnt(17)
	ds_bpermute_b32 v89, v91, v6
	ds_bpermute_b32 v93, v91, v6 offset:4
	ds_bpermute_b32 v104, v91, v6 offset:28
	s_waitcnt vmcnt(16)
	ds_bpermute_b32 v88, v91, v3
	ds_bpermute_b32 v95, v91, v6 offset:8
	ds_bpermute_b32 v97, v91, v6 offset:12
	;; [unrolled: 1-line block ×12, first 2 shown]
	s_waitcnt vmcnt(15)
	v_cvt_f32_f16_e32 v4, v7
	s_waitcnt vmcnt(14)
	v_cvt_f32_f16_e32 v7, v8
	;; [unrolled: 2-line block ×4, first 2 shown]
	s_waitcnt lgkmcnt(14)
	v_sub_f32_e32 v7, v7, v89
	s_waitcnt vmcnt(11)
	v_cvt_f32_f16_e32 v8, v11
	v_mul_f32_e32 v7, v7, v4
	s_waitcnt vmcnt(10)
	v_cvt_f32_f16_e32 v11, v12
	v_sub_f32_e32 v9, v9, v93
	s_waitcnt vmcnt(9)
	v_cvt_f32_f16_e32 v10, v13
	v_mul_f32_e32 v9, v9, v6
	s_waitcnt vmcnt(8)
	v_cvt_f32_f16_e32 v13, v14
	s_waitcnt lgkmcnt(11)
	v_sub_f32_e32 v11, v11, v95
	s_waitcnt vmcnt(7)
	v_cvt_f32_f16_e32 v12, v15
	v_mul_f32_e32 v11, v11, v8
	s_waitcnt vmcnt(6)
	v_cvt_f32_f16_e32 v15, v16
	s_waitcnt lgkmcnt(10)
	;; [unrolled: 7-line block ×5, first 2 shown]
	v_sub_f32_e32 v19, v19, v103
	v_mul_f32_e32 v19, v19, v16
	v_sub_f32_e32 v5, v5, v104
	v_mul_f32_e32 v26, v5, v18
	v_mul_f32_e32 v5, v7, v88
	s_waitcnt lgkmcnt(6)
	v_mul_f32_e32 v7, v9, v92
	v_pk_add_f32 v[4:5], v[86:87], v[4:5]
	s_waitcnt lgkmcnt(5)
	v_mul_f32_e32 v9, v11, v94
	v_pk_add_f32 v[4:5], v[4:5], v[6:7]
	;; [unrolled: 3-line block ×7, first 2 shown]
	s_nop 0
	v_pk_add_f32 v[26:27], v[4:5], v[18:19]
.LBB92_54:                              ;   in Loop: Header=BB92_55 Depth=1
	s_add_u32 s20, s20, s3
	s_addc_u32 s21, s21, 0
	v_mov_b64_e32 v[4:5], s[8:9]
	s_add_u32 s22, s22, s3
	v_cmp_ge_i64_e32 vcc, s[20:21], v[4:5]
	v_lshl_add_u64 v[54:55], v[54:55], 0, s[6:7]
	v_lshl_add_u64 v[56:57], v[56:57], 0, s[6:7]
	s_addc_u32 s23, s23, 0
	v_lshl_add_u64 v[22:23], v[22:23], 0, s[6:7]
	v_lshl_add_u64 v[24:25], v[24:25], 0, s[6:7]
	;; [unrolled: 1-line block ×28, first 2 shown]
	s_cbranch_vccnz .LBB92_81
.LBB92_55:                              ; =>This Inner Loop Header: Depth=1
	v_mov_b64_e32 v[4:5], s[8:9]
	v_cmp_ge_i64_e32 vcc, s[22:23], v[4:5]
	v_mov_b32_e32 v86, v26
	v_mov_b32_e32 v87, v27
	v_lshl_add_u64 v[88:89], v[20:21], 0, s[22:23]
	s_mov_b64 s[38:39], -1
                                        ; implicit-def: $vgpr27
	s_cbranch_vccz .LBB92_77
; %bb.56:                               ;   in Loop: Header=BB92_55 Depth=1
	s_load_dword s33, s[4:5], 0xc
	v_mov_b32_e32 v26, 0
	v_mov_b32_e32 v27, 0
	s_waitcnt lgkmcnt(0)
	s_and_b32 s33, s33, 0xffff
	v_mad_u32_u24 v3, v90, s33, v1
	v_and_b32_e32 v4, 63, v3
	v_cmp_gt_u32_e32 vcc, 8, v4
	s_and_saveexec_b64 s[38:39], vcc
	s_cbranch_execz .LBB92_60
; %bb.57:                               ;   in Loop: Header=BB92_55 Depth=1
	v_mov_b32_e32 v5, v2
	v_lshl_add_u64 v[4:5], v[88:89], 0, v[4:5]
	v_lshl_add_u64 v[4:5], v[4:5], 0, s[12:13]
	v_cmp_gt_i64_e32 vcc, s[8:9], v[4:5]
	v_mov_b32_e32 v27, 0
	v_mov_b32_e32 v26, 0
	s_and_saveexec_b64 s[40:41], vcc
	s_cbranch_execz .LBB92_59
; %bb.58:                               ;   in Loop: Header=BB92_55 Depth=1
	v_lshlrev_b64 v[4:5], 2, v[4:5]
	v_lshl_add_u64 v[6:7], s[18:19], 0, v[4:5]
	v_lshl_add_u64 v[4:5], s[16:17], 0, v[4:5]
	global_load_dword v27, v[4:5], off
	global_load_dword v26, v[6:7], off
.LBB92_59:                              ;   in Loop: Header=BB92_55 Depth=1
	s_or_b64 exec, exec, s[40:41]
.LBB92_60:                              ;   in Loop: Header=BB92_55 Depth=1
	s_or_b64 exec, exec, s[38:39]
	v_lshl_add_u64 v[4:5], v[88:89], 0, s[12:13]
	v_mov_b32_e32 v8, v2
	v_mov_b32_e32 v9, v2
	v_cmp_gt_i64_e32 vcc, s[8:9], v[4:5]
	v_mov_b32_e32 v3, v2
	v_mov_b32_e32 v4, v2
	;; [unrolled: 1-line block ×5, first 2 shown]
	v_mov_b64_e32 v[18:19], v[8:9]
	v_mov_b64_e32 v[16:17], v[6:7]
	;; [unrolled: 1-line block ×8, first 2 shown]
	s_and_saveexec_b64 s[38:39], vcc
	s_cbranch_execz .LBB92_62
; %bb.61:                               ;   in Loop: Header=BB92_55 Depth=1
	v_lshl_add_u64 v[4:5], v[54:55], 0, v[52:53]
	global_load_ushort v3, v[4:5], off
	v_lshl_add_u64 v[4:5], v[56:57], 0, v[52:53]
	global_load_ushort v12, v[4:5], off
	v_mov_b32_e32 v5, v2
	v_mov_b32_e32 v6, v2
	;; [unrolled: 1-line block ×14, first 2 shown]
	s_waitcnt vmcnt(1)
	v_cvt_f32_f16_e32 v4, v3
	s_waitcnt vmcnt(0)
	v_cvt_f32_f16_e32 v12, v12
.LBB92_62:                              ;   in Loop: Header=BB92_55 Depth=1
	s_or_b64 exec, exec, s[38:39]
	v_lshl_add_u64 v[92:93], v[88:89], 0, s[14:15]
	v_cmp_gt_i64_e32 vcc, s[8:9], v[92:93]
	s_and_saveexec_b64 s[38:39], vcc
	s_cbranch_execz .LBB92_64
; %bb.63:                               ;   in Loop: Header=BB92_55 Depth=1
	v_lshl_add_u64 v[92:93], v[82:83], 0, v[52:53]
	global_load_ushort v3, v[92:93], off
	v_lshl_add_u64 v[92:93], v[84:85], 0, v[52:53]
	global_load_ushort v13, v[92:93], off
	s_waitcnt vmcnt(1)
	v_cvt_f32_f16_e32 v5, v3
	s_waitcnt vmcnt(0)
	v_cvt_f32_f16_e32 v13, v13
.LBB92_64:                              ;   in Loop: Header=BB92_55 Depth=1
	s_or_b64 exec, exec, s[38:39]
	v_lshl_add_u64 v[92:93], v[88:89], 0, s[24:25]
	v_cmp_gt_i64_e32 vcc, s[8:9], v[92:93]
	s_and_saveexec_b64 s[38:39], vcc
	s_cbranch_execz .LBB92_66
; %bb.65:                               ;   in Loop: Header=BB92_55 Depth=1
	v_lshl_add_u64 v[92:93], v[78:79], 0, v[52:53]
	global_load_ushort v3, v[92:93], off
	v_lshl_add_u64 v[92:93], v[80:81], 0, v[52:53]
	global_load_ushort v14, v[92:93], off
	s_waitcnt vmcnt(1)
	v_cvt_f32_f16_e32 v6, v3
	s_waitcnt vmcnt(0)
	v_cvt_f32_f16_e32 v14, v14
.LBB92_66:                              ;   in Loop: Header=BB92_55 Depth=1
	;; [unrolled: 15-line block ×7, first 2 shown]
	s_or_b64 exec, exec, s[38:39]
	s_waitcnt vmcnt(1)
	ds_bpermute_b32 v3, v91, v27
	s_waitcnt vmcnt(0)
	ds_bpermute_b32 v92, v91, v26
	ds_bpermute_b32 v95, v91, v27 offset:4
	ds_bpermute_b32 v94, v91, v26 offset:4
	;; [unrolled: 1-line block ×3, first 2 shown]
	s_waitcnt lgkmcnt(4)
	v_sub_f32_e32 v3, v12, v3
	v_mul_f32_e32 v3, v4, v3
	ds_bpermute_b32 v12, v91, v26 offset:8
	s_waitcnt lgkmcnt(4)
	v_mul_f32_e32 v93, v3, v92
	s_waitcnt lgkmcnt(3)
	v_sub_f32_e32 v3, v13, v95
	v_mul_f32_e32 v3, v5, v3
	s_waitcnt lgkmcnt(2)
	v_mul_f32_e32 v13, v3, v94
	s_waitcnt lgkmcnt(1)
	v_sub_f32_e32 v3, v14, v96
	ds_bpermute_b32 v14, v91, v27 offset:12
	v_mul_f32_e32 v3, v6, v3
	s_waitcnt lgkmcnt(1)
	v_mul_f32_e32 v95, v3, v12
	ds_bpermute_b32 v3, v91, v26 offset:12
	ds_bpermute_b32 v12, v91, v27 offset:16
	;; [unrolled: 1-line block ×3, first 2 shown]
	s_waitcnt lgkmcnt(3)
	v_sub_f32_e32 v14, v15, v14
	v_mul_f32_e32 v14, v7, v14
	s_waitcnt lgkmcnt(2)
	v_mul_f32_e32 v15, v14, v3
	s_waitcnt lgkmcnt(1)
	v_sub_f32_e32 v3, v16, v12
	ds_bpermute_b32 v12, v91, v27 offset:20
	v_mul_f32_e32 v3, v8, v3
	s_waitcnt lgkmcnt(1)
	v_mul_f32_e32 v97, v3, v92
	ds_bpermute_b32 v3, v91, v26 offset:20
	ds_bpermute_b32 v14, v91, v27 offset:24
	;; [unrolled: 1-line block ×3, first 2 shown]
	s_waitcnt lgkmcnt(3)
	v_sub_f32_e32 v12, v17, v12
	v_mul_f32_e32 v12, v9, v12
	s_waitcnt lgkmcnt(2)
	v_mul_f32_e32 v17, v12, v3
	s_waitcnt lgkmcnt(1)
	v_sub_f32_e32 v3, v18, v14
	v_mul_f32_e32 v3, v10, v3
	s_waitcnt lgkmcnt(0)
	v_mul_f32_e32 v99, v3, v16
	v_mov_b32_e32 v92, v4
	ds_bpermute_b32 v3, v91, v27 offset:28
	v_pk_add_f32 v[92:93], v[86:87], v[92:93]
	v_mov_b32_e32 v12, v5
	v_pk_add_f32 v[4:5], v[12:13], v[92:93]
	v_mov_b32_e32 v94, v6
	ds_bpermute_b32 v6, v91, v26 offset:28
	v_pk_add_f32 v[4:5], v[94:95], v[4:5]
	v_mov_b32_e32 v14, v7
	v_pk_add_f32 v[4:5], v[14:15], v[4:5]
	v_mov_b32_e32 v96, v8
	;; [unrolled: 2-line block ×3, first 2 shown]
	s_waitcnt lgkmcnt(1)
	v_sub_f32_e32 v3, v19, v3
	v_pk_add_f32 v[4:5], v[16:17], v[4:5]
	v_mov_b32_e32 v98, v10
	v_mul_f32_e32 v3, v11, v3
	v_pk_add_f32 v[4:5], v[98:99], v[4:5]
	s_waitcnt lgkmcnt(0)
	v_mul_f32_e32 v7, v3, v6
	v_mov_b32_e32 v6, v11
	v_pk_add_f32 v[26:27], v[6:7], v[4:5]
	s_mov_b64 s[38:39], 0
.LBB92_77:                              ;   in Loop: Header=BB92_55 Depth=1
	s_and_b64 vcc, exec, s[38:39]
	s_cbranch_vccz .LBB92_54
; %bb.78:                               ;   in Loop: Header=BB92_55 Depth=1
	s_load_dword s33, s[4:5], 0x0
	v_mov_b32_e32 v3, 0
	v_mov_b32_e32 v6, 0
	s_waitcnt lgkmcnt(0)
	s_cmp_lt_u32 s2, s33
	s_cselect_b32 s33, 12, 18
	s_add_u32 s38, s4, s33
	s_addc_u32 s39, s5, 0
	global_load_ushort v4, v2, s[38:39]
	s_waitcnt vmcnt(0)
	v_mad_u32_u24 v4, v90, v4, v1
	v_and_b32_e32 v4, 63, v4
	v_cmp_gt_u32_e32 vcc, 8, v4
	s_and_saveexec_b64 s[38:39], vcc
	s_cbranch_execz .LBB92_53
; %bb.79:                               ;   in Loop: Header=BB92_55 Depth=1
	v_mov_b32_e32 v5, v2
	v_lshl_add_u64 v[4:5], v[88:89], 0, v[4:5]
	v_lshl_add_u64 v[4:5], v[4:5], 0, s[12:13]
	v_cmp_gt_i64_e32 vcc, s[8:9], v[4:5]
	v_mov_b32_e32 v6, 0
	v_mov_b32_e32 v3, 0
	s_and_saveexec_b64 s[40:41], vcc
	s_cbranch_execz .LBB92_52
; %bb.80:                               ;   in Loop: Header=BB92_55 Depth=1
	v_lshlrev_b64 v[4:5], 2, v[4:5]
	v_lshl_add_u64 v[8:9], s[18:19], 0, v[4:5]
	v_lshl_add_u64 v[4:5], s[16:17], 0, v[4:5]
	global_load_dword v6, v[4:5], off
	global_load_dword v3, v[8:9], off
	s_branch .LBB92_52
.LBB92_81:
	v_and_b32_e32 v1, 0x3ff, v0
	v_bfe_u32 v0, v0, 10, 10
	v_mad_u32_u24 v2, v0, 33, v1
	v_sub_u32_e32 v7, v2, v0
	s_movk_i32 s3, 0x800
	v_lshl_add_u32 v3, v2, 2, 0
	v_cmp_gt_u32_e32 vcc, s3, v7
	ds_write_b32 v3, v27
	ds_write_b32 v3, v26 offset:4224
	s_waitcnt lgkmcnt(0)
	s_barrier
	s_and_saveexec_b64 s[4:5], vcc
	s_cbranch_execz .LBB92_97
; %bb.82:
	s_load_dwordx4 s[12:15], s[0:1], 0x30
	v_and_b32_e32 v2, 63, v7
	v_lshrrev_b32_e32 v0, 6, v7
	v_cmp_gt_u32_e64 s[4:5], 32, v2
	v_mul_u32_u24_e32 v6, 33, v2
                                        ; implicit-def: $vgpr2
	s_and_saveexec_b64 s[0:1], s[4:5]
	s_cbranch_execz .LBB92_84
; %bb.83:
	v_add_u32_e32 v2, v0, v6
	v_lshl_add_u32 v2, v2, 2, 0
	ds_read_b32 v3, v2
	ds_read_b32 v2, v2 offset:4224
.LBB92_84:
	s_or_b64 exec, exec, s[0:1]
	v_mbcnt_lo_u32_b32 v4, -1, 0
	v_mbcnt_hi_u32_b32 v12, -1, v4
	v_and_b32_e32 v4, 64, v12
	v_add_u32_e32 v13, 64, v4
	v_cmp_eq_u32_e64 s[0:1], 0, v1
	v_xor_b32_e32 v1, 16, v12
	v_cmp_lt_i32_e32 vcc, v1, v13
	s_mov_b32 s3, 0
	s_lshl_b64 s[2:3], s[2:3], 5
	v_cndmask_b32_e32 v1, v12, v1, vcc
	v_lshlrev_b32_e32 v8, 2, v1
	s_waitcnt lgkmcnt(0)
	ds_bpermute_b32 v5, v8, v3
	ds_bpermute_b32 v4, v8, v2
	v_xor_b32_e32 v1, 8, v12
	v_cmp_lt_i32_e32 vcc, v1, v13
	s_cmp_lg_u64 s[12:13], 0
	s_cselect_b64 s[8:9], -1, 0
	v_cndmask_b32_e32 v1, v12, v1, vcc
	v_lshlrev_b32_e32 v9, 2, v1
	s_waitcnt lgkmcnt(0)
	v_pk_add_f32 v[2:3], v[2:3], v[4:5]
	ds_bpermute_b32 v5, v9, v3
	ds_bpermute_b32 v4, v9, v2
	v_xor_b32_e32 v1, 4, v12
	v_cmp_lt_i32_e32 vcc, v1, v13
	s_cmp_lg_u64 s[14:15], 0
	s_cselect_b64 s[6:7], -1, 0
	v_cndmask_b32_e32 v1, v12, v1, vcc
	v_lshlrev_b32_e32 v10, 2, v1
	s_waitcnt lgkmcnt(0)
	v_pk_add_f32 v[2:3], v[2:3], v[4:5]
	ds_bpermute_b32 v5, v10, v3
	ds_bpermute_b32 v4, v10, v2
	v_xor_b32_e32 v1, 2, v12
	v_cmp_lt_i32_e32 vcc, v1, v13
	s_waitcnt lgkmcnt(0)
	v_pk_add_f32 v[2:3], v[2:3], v[4:5]
	v_cndmask_b32_e32 v1, v12, v1, vcc
	v_lshlrev_b32_e32 v11, 2, v1
	ds_bpermute_b32 v5, v11, v3
	ds_bpermute_b32 v4, v11, v2
	v_xor_b32_e32 v1, 1, v12
	v_cmp_lt_i32_e32 vcc, v1, v13
	s_waitcnt lgkmcnt(0)
	v_pk_add_f32 v[2:3], v[2:3], v[4:5]
	v_cndmask_b32_e32 v1, v12, v1, vcc
	v_lshlrev_b32_e32 v12, 2, v1
	ds_bpermute_b32 v5, v12, v3
	ds_bpermute_b32 v4, v12, v2
	v_mov_b32_e32 v1, 0
	s_waitcnt lgkmcnt(0)
	v_pk_add_f32 v[2:3], v[2:3], v[4:5]
	v_or_b32_e32 v4, s2, v0
	v_mov_b32_e32 v5, s3
	v_cmp_gt_i64_e32 vcc, s[10:11], v[4:5]
	s_and_b64 s[18:19], s[0:1], vcc
	s_and_saveexec_b64 s[16:17], s[18:19]
	s_cbranch_execz .LBB92_89
; %bb.85:
	s_andn2_b64 vcc, exec, s[8:9]
	s_cbranch_vccnz .LBB92_87
; %bb.86:
	v_cvt_f16_f32_e32 v13, v3
	v_lshl_add_u64 v[14:15], v[4:5], 1, s[12:13]
	global_store_short v[14:15], v13, off
.LBB92_87:
	s_andn2_b64 vcc, exec, s[6:7]
	s_cbranch_vccnz .LBB92_89
; %bb.88:
	v_cvt_f16_f32_e32 v13, v2
	v_lshl_add_u64 v[4:5], v[4:5], 1, s[14:15]
	global_store_short v[4:5], v13, off
.LBB92_89:
	s_or_b64 exec, exec, s[16:17]
	s_movk_i32 s16, 0x400
	v_cmp_gt_u32_e32 vcc, s16, v7
	s_and_b64 exec, exec, vcc
	s_cbranch_execz .LBB92_97
; %bb.90:
	s_and_saveexec_b64 s[16:17], s[4:5]
	s_cbranch_execz .LBB92_92
; %bb.91:
	v_add_u32_e32 v2, v0, v6
	v_lshl_add_u32 v2, v2, 2, 0
	ds_read_b32 v3, v2 offset:64
	ds_read_b32 v2, v2 offset:4288
.LBB92_92:
	s_or_b64 exec, exec, s[16:17]
	s_waitcnt lgkmcnt(1)
	ds_bpermute_b32 v4, v8, v3
	s_waitcnt lgkmcnt(1)
	ds_bpermute_b32 v5, v8, v2
	v_add_u32_e32 v6, 16, v0
	v_or_b32_e32 v6, s2, v6
	v_mov_b32_e32 v7, s3
	s_waitcnt lgkmcnt(1)
	v_add_f32_e32 v3, v3, v4
	s_waitcnt lgkmcnt(0)
	v_add_f32_e32 v2, v2, v5
	ds_bpermute_b32 v4, v9, v3
	ds_bpermute_b32 v5, v9, v2
	v_cmp_gt_i64_e32 vcc, s[10:11], v[6:7]
	s_and_b64 s[0:1], s[0:1], vcc
	s_waitcnt lgkmcnt(1)
	v_add_f32_e32 v3, v3, v4
	s_waitcnt lgkmcnt(0)
	v_add_f32_e32 v2, v2, v5
	ds_bpermute_b32 v4, v10, v3
	ds_bpermute_b32 v5, v10, v2
	s_waitcnt lgkmcnt(1)
	v_add_f32_e32 v3, v3, v4
	s_waitcnt lgkmcnt(0)
	v_add_f32_e32 v2, v2, v5
	ds_bpermute_b32 v4, v11, v3
	ds_bpermute_b32 v5, v11, v2
	;; [unrolled: 6-line block ×3, first 2 shown]
	s_and_b64 exec, exec, s[0:1]
	s_cbranch_execz .LBB92_97
; %bb.93:
	s_andn2_b64 vcc, exec, s[8:9]
	v_lshl_add_u64 v[0:1], s[2:3], 0, v[0:1]
	s_cbranch_vccnz .LBB92_95
; %bb.94:
	s_waitcnt lgkmcnt(1)
	v_add_f32_e32 v4, v4, v5
	v_cvt_f16_f32_e32 v6, v4
	v_lshl_add_u64 v[4:5], v[0:1], 1, s[12:13]
	global_store_short v[4:5], v6, off offset:32
.LBB92_95:
	s_andn2_b64 vcc, exec, s[6:7]
	s_cbranch_vccnz .LBB92_97
; %bb.96:
	s_waitcnt lgkmcnt(0)
	v_add_f32_e32 v2, v2, v3
	v_cvt_f16_f32_e32 v2, v2
	v_lshl_add_u64 v[0:1], v[0:1], 1, s[14:15]
	global_store_short v[0:1], v2, off offset:32
.LBB92_97:
	s_endpgm
	.section	.rodata,"a",@progbits
	.p2align	6, 0x0
	.amdhsa_kernel _ZN2at6native12_GLOBAL__N_135GammaBetaBackwardCUDAKernelTemplateIN3c104HalfEfLj32ELj32ELj256ELb0ELb0ELb0EEEvllPKT_S7_PKT0_SA_PS5_SB_
		.amdhsa_group_segment_fixed_size 0
		.amdhsa_private_segment_fixed_size 0
		.amdhsa_kernarg_size 320
		.amdhsa_user_sgpr_count 2
		.amdhsa_user_sgpr_dispatch_ptr 0
		.amdhsa_user_sgpr_queue_ptr 0
		.amdhsa_user_sgpr_kernarg_segment_ptr 1
		.amdhsa_user_sgpr_dispatch_id 0
		.amdhsa_user_sgpr_kernarg_preload_length 0
		.amdhsa_user_sgpr_kernarg_preload_offset 0
		.amdhsa_user_sgpr_private_segment_size 0
		.amdhsa_uses_dynamic_stack 0
		.amdhsa_enable_private_segment 0
		.amdhsa_system_sgpr_workgroup_id_x 1
		.amdhsa_system_sgpr_workgroup_id_y 1
		.amdhsa_system_sgpr_workgroup_id_z 0
		.amdhsa_system_sgpr_workgroup_info 0
		.amdhsa_system_vgpr_workitem_id 1
		.amdhsa_next_free_vgpr 105
		.amdhsa_next_free_sgpr 52
		.amdhsa_accum_offset 108
		.amdhsa_reserve_vcc 1
		.amdhsa_float_round_mode_32 0
		.amdhsa_float_round_mode_16_64 0
		.amdhsa_float_denorm_mode_32 3
		.amdhsa_float_denorm_mode_16_64 3
		.amdhsa_dx10_clamp 1
		.amdhsa_ieee_mode 1
		.amdhsa_fp16_overflow 0
		.amdhsa_tg_split 0
		.amdhsa_exception_fp_ieee_invalid_op 0
		.amdhsa_exception_fp_denorm_src 0
		.amdhsa_exception_fp_ieee_div_zero 0
		.amdhsa_exception_fp_ieee_overflow 0
		.amdhsa_exception_fp_ieee_underflow 0
		.amdhsa_exception_fp_ieee_inexact 0
		.amdhsa_exception_int_div_zero 0
	.end_amdhsa_kernel
	.section	.text._ZN2at6native12_GLOBAL__N_135GammaBetaBackwardCUDAKernelTemplateIN3c104HalfEfLj32ELj32ELj256ELb0ELb0ELb0EEEvllPKT_S7_PKT0_SA_PS5_SB_,"axG",@progbits,_ZN2at6native12_GLOBAL__N_135GammaBetaBackwardCUDAKernelTemplateIN3c104HalfEfLj32ELj32ELj256ELb0ELb0ELb0EEEvllPKT_S7_PKT0_SA_PS5_SB_,comdat
.Lfunc_end92:
	.size	_ZN2at6native12_GLOBAL__N_135GammaBetaBackwardCUDAKernelTemplateIN3c104HalfEfLj32ELj32ELj256ELb0ELb0ELb0EEEvllPKT_S7_PKT0_SA_PS5_SB_, .Lfunc_end92-_ZN2at6native12_GLOBAL__N_135GammaBetaBackwardCUDAKernelTemplateIN3c104HalfEfLj32ELj32ELj256ELb0ELb0ELb0EEEvllPKT_S7_PKT0_SA_PS5_SB_
                                        ; -- End function
	.set _ZN2at6native12_GLOBAL__N_135GammaBetaBackwardCUDAKernelTemplateIN3c104HalfEfLj32ELj32ELj256ELb0ELb0ELb0EEEvllPKT_S7_PKT0_SA_PS5_SB_.num_vgpr, 105
	.set _ZN2at6native12_GLOBAL__N_135GammaBetaBackwardCUDAKernelTemplateIN3c104HalfEfLj32ELj32ELj256ELb0ELb0ELb0EEEvllPKT_S7_PKT0_SA_PS5_SB_.num_agpr, 0
	.set _ZN2at6native12_GLOBAL__N_135GammaBetaBackwardCUDAKernelTemplateIN3c104HalfEfLj32ELj32ELj256ELb0ELb0ELb0EEEvllPKT_S7_PKT0_SA_PS5_SB_.numbered_sgpr, 52
	.set _ZN2at6native12_GLOBAL__N_135GammaBetaBackwardCUDAKernelTemplateIN3c104HalfEfLj32ELj32ELj256ELb0ELb0ELb0EEEvllPKT_S7_PKT0_SA_PS5_SB_.num_named_barrier, 0
	.set _ZN2at6native12_GLOBAL__N_135GammaBetaBackwardCUDAKernelTemplateIN3c104HalfEfLj32ELj32ELj256ELb0ELb0ELb0EEEvllPKT_S7_PKT0_SA_PS5_SB_.private_seg_size, 0
	.set _ZN2at6native12_GLOBAL__N_135GammaBetaBackwardCUDAKernelTemplateIN3c104HalfEfLj32ELj32ELj256ELb0ELb0ELb0EEEvllPKT_S7_PKT0_SA_PS5_SB_.uses_vcc, 1
	.set _ZN2at6native12_GLOBAL__N_135GammaBetaBackwardCUDAKernelTemplateIN3c104HalfEfLj32ELj32ELj256ELb0ELb0ELb0EEEvllPKT_S7_PKT0_SA_PS5_SB_.uses_flat_scratch, 0
	.set _ZN2at6native12_GLOBAL__N_135GammaBetaBackwardCUDAKernelTemplateIN3c104HalfEfLj32ELj32ELj256ELb0ELb0ELb0EEEvllPKT_S7_PKT0_SA_PS5_SB_.has_dyn_sized_stack, 0
	.set _ZN2at6native12_GLOBAL__N_135GammaBetaBackwardCUDAKernelTemplateIN3c104HalfEfLj32ELj32ELj256ELb0ELb0ELb0EEEvllPKT_S7_PKT0_SA_PS5_SB_.has_recursion, 0
	.set _ZN2at6native12_GLOBAL__N_135GammaBetaBackwardCUDAKernelTemplateIN3c104HalfEfLj32ELj32ELj256ELb0ELb0ELb0EEEvllPKT_S7_PKT0_SA_PS5_SB_.has_indirect_call, 0
	.section	.AMDGPU.csdata,"",@progbits
; Kernel info:
; codeLenInByte = 7860
; TotalNumSgprs: 58
; NumVgprs: 105
; NumAgprs: 0
; TotalNumVgprs: 105
; ScratchSize: 0
; MemoryBound: 0
; FloatMode: 240
; IeeeMode: 1
; LDSByteSize: 0 bytes/workgroup (compile time only)
; SGPRBlocks: 7
; VGPRBlocks: 13
; NumSGPRsForWavesPerEU: 58
; NumVGPRsForWavesPerEU: 105
; AccumOffset: 108
; Occupancy: 4
; WaveLimiterHint : 0
; COMPUTE_PGM_RSRC2:SCRATCH_EN: 0
; COMPUTE_PGM_RSRC2:USER_SGPR: 2
; COMPUTE_PGM_RSRC2:TRAP_HANDLER: 0
; COMPUTE_PGM_RSRC2:TGID_X_EN: 1
; COMPUTE_PGM_RSRC2:TGID_Y_EN: 1
; COMPUTE_PGM_RSRC2:TGID_Z_EN: 0
; COMPUTE_PGM_RSRC2:TIDIG_COMP_CNT: 1
; COMPUTE_PGM_RSRC3_GFX90A:ACCUM_OFFSET: 26
; COMPUTE_PGM_RSRC3_GFX90A:TG_SPLIT: 0
	.section	.text._ZN2at6native12_GLOBAL__N_118cuComputeGradInputIN3c108BFloat16EfLb0EEEvPKT_S7_llPKT0_SA_S7_PS5_,"axG",@progbits,_ZN2at6native12_GLOBAL__N_118cuComputeGradInputIN3c108BFloat16EfLb0EEEvPKT_S7_llPKT0_SA_S7_PS5_,comdat
	.globl	_ZN2at6native12_GLOBAL__N_118cuComputeGradInputIN3c108BFloat16EfLb0EEEvPKT_S7_llPKT0_SA_S7_PS5_ ; -- Begin function _ZN2at6native12_GLOBAL__N_118cuComputeGradInputIN3c108BFloat16EfLb0EEEvPKT_S7_llPKT0_SA_S7_PS5_
	.p2align	8
	.type	_ZN2at6native12_GLOBAL__N_118cuComputeGradInputIN3c108BFloat16EfLb0EEEvPKT_S7_llPKT0_SA_S7_PS5_,@function
_ZN2at6native12_GLOBAL__N_118cuComputeGradInputIN3c108BFloat16EfLb0EEEvPKT_S7_llPKT0_SA_S7_PS5_: ; @_ZN2at6native12_GLOBAL__N_118cuComputeGradInputIN3c108BFloat16EfLb0EEEvPKT_S7_llPKT0_SA_S7_PS5_
; %bb.0:
	s_load_dwordx4 s[24:27], s[0:1], 0x10
	s_mov_b32 s14, s3
	s_ashr_i32 s15, s3, 31
	v_mov_b64_e32 v[2:3], s[14:15]
	s_waitcnt lgkmcnt(0)
	v_cmp_le_i64_e32 vcc, s[24:25], v[2:3]
	s_cbranch_vccnz .LBB93_49
; %bb.1:
	s_load_dword s2, s[0:1], 0x4c
	s_load_dword s33, s[0:1], 0x44
	s_load_dwordx4 s[28:31], s[0:1], 0x0
	s_load_dwordx8 s[16:23], s[0:1], 0x20
	s_flbit_i32 s0, s27
	s_waitcnt lgkmcnt(0)
	s_lshr_b32 s44, s2, 16
	s_and_b32 s45, s2, 0xffff
	v_and_b32_e32 v12, 0x3ff, v0
	s_cmp_lg_u64 s[20:21], 0
	s_cselect_b64 s[6:7], -1, 0
	s_cmp_gt_u32 s45, 1
	s_cselect_b64 s[34:35], -1, 0
	s_cmp_gt_u32 s44, 1
	s_cselect_b64 s[36:37], -1, 0
	s_xor_b32 s1, s26, s27
	s_ashr_i32 s1, s1, 31
	s_add_i32 s0, s0, -1
	s_add_i32 s1, s1, 32
	s_min_u32 s2, s0, s1
	s_lshl_b64 s[0:1], s[26:27], s2
	s_min_u32 s0, s0, 1
	s_or_b32 s0, s1, s0
	v_cvt_f32_i32_e32 v1, s0
	s_sub_i32 s0, 32, s2
	v_bfe_u32 v13, v0, 10, 10
	v_mad_u32_u24 v0, v13, s45, v12
	v_ldexp_f32 v2, v1, s0
	v_div_scale_f32 v1, s[0:1], v2, v2, 1.0
	v_rcp_f32_e32 v4, v1
	v_lshlrev_b32_e32 v3, 3, v0
	s_mul_i32 s46, s44, s45
	v_lshlrev_b32_e32 v5, 3, v12
	v_fma_f32 v6, -v1, v4, 1.0
	v_fmac_f32_e32 v4, v6, v4
	v_div_scale_f32 v6, vcc, 1.0, v2, 1.0
	v_mul_f32_e32 v7, v6, v4
	v_fma_f32 v8, -v1, v7, v6
	v_fmac_f32_e32 v7, v8, v4
	v_fma_f32 v1, -v1, v7, v6
	v_div_fmas_f32 v1, v1, v4, v7
	v_mov_b32_e32 v4, 0
	v_cndmask_b32_e64 v6, 0, 1, s[6:7]
	v_cmp_gt_i64_e64 s[6:7], s[26:27], 0
	v_div_fixup_f32 v14, v1, v2, 1.0
	v_mov_b32_e32 v1, v4
	v_cndmask_b32_e64 v7, 0, 1, s[6:7]
	v_add_u32_e32 v16, 0, v3
	v_mbcnt_lo_u32_b32 v3, -1, 0
	v_cmp_eq_u32_e64 s[0:1], 0, v13
	v_cmp_ne_u32_e64 s[2:3], 0, v13
	v_cmp_gt_i64_e64 s[4:5], s[26:27], v[0:1]
	v_add_u32_e32 v15, s46, v0
	s_movk_i32 s47, 0x7fff
	v_cmp_ne_u32_e64 s[6:7], 1, v6
	v_cmp_ne_u32_e64 s[8:9], 1, v7
	v_mbcnt_hi_u32_b32 v17, -1, v3
	v_add_u32_e32 v18, 0, v5
	v_mov_b32_e32 v19, 0x7fc0
	s_branch .LBB93_4
.LBB93_2:                               ;   in Loop: Header=BB93_4 Depth=1
	s_or_b64 exec, exec, s[12:13]
.LBB93_3:                               ;   in Loop: Header=BB93_4 Depth=1
	s_add_i32 s14, s33, s14
	s_ashr_i32 s15, s14, 31
	v_mov_b64_e32 v[6:7], s[14:15]
	v_cmp_le_i64_e32 vcc, s[24:25], v[6:7]
	s_barrier
	s_cbranch_vccnz .LBB93_49
.LBB93_4:                               ; =>This Loop Header: Depth=1
                                        ;     Child Loop BB93_8 Depth 2
                                        ;     Child Loop BB93_20 Depth 2
	;; [unrolled: 1-line block ×6, first 2 shown]
	s_mul_i32 s10, s14, s27
	s_mul_hi_u32 s11, s14, s26
	s_add_i32 s10, s11, s10
	s_mul_i32 s11, s15, s26
	s_add_i32 s11, s10, s11
	s_lshl_b64 s[12:13], s[14:15], 2
	s_add_u32 s38, s16, s12
	s_addc_u32 s39, s17, s13
	s_add_u32 s12, s18, s12
	s_mul_i32 s10, s14, s26
	s_addc_u32 s13, s19, s13
	s_load_dword s15, s[38:39], 0x0
	s_load_dword s48, s[12:13], 0x0
	s_lshl_b64 s[42:43], s[10:11], 1
	s_add_u32 s38, s30, s42
	s_addc_u32 s39, s31, s43
	s_add_u32 s40, s28, s42
	s_addc_u32 s41, s29, s43
	s_and_b64 vcc, exec, s[6:7]
	s_cbranch_vccnz .LBB93_14
; %bb.5:                                ;   in Loop: Header=BB93_4 Depth=1
	s_and_b64 vcc, exec, s[8:9]
	s_cbranch_vccnz .LBB93_15
; %bb.6:                                ;   in Loop: Header=BB93_4 Depth=1
	v_mov_b32_e32 v6, 0
	s_mov_b32 s12, 0
	v_mov_b32_e32 v7, v6
	s_branch .LBB93_8
.LBB93_7:                               ;   in Loop: Header=BB93_8 Depth=2
	s_or_b64 exec, exec, s[10:11]
	s_waitcnt lgkmcnt(0)
	v_subrev_f32_e32 v9, s15, v10
	v_mul_f32_e32 v8, v3, v5
	v_mul_f32_e32 v3, v9, v8
	s_add_i32 s12, s12, s46
	v_mul_f32_e32 v9, s48, v3
	s_ashr_i32 s10, s12, 31
	v_pk_add_f32 v[6:7], v[6:7], v[8:9]
	v_mov_b32_e32 v8, s12
	v_mov_b32_e32 v9, s10
	v_cmp_le_i64_e32 vcc, s[26:27], v[8:9]
	s_cbranch_vccnz .LBB93_16
.LBB93_8:                               ;   Parent Loop BB93_4 Depth=1
                                        ; =>  This Inner Loop Header: Depth=2
	v_add_u32_e32 v8, s12, v0
	v_ashrrev_i32_e32 v9, 31, v8
	v_cmp_gt_i64_e32 vcc, s[26:27], v[8:9]
	v_mov_b32_e32 v3, 0
	s_and_saveexec_b64 s[10:11], vcc
	s_cbranch_execz .LBB93_10
; %bb.9:                                ;   in Loop: Header=BB93_8 Depth=2
	v_lshl_add_u64 v[10:11], v[8:9], 1, s[20:21]
	global_load_ushort v3, v[10:11], off
	s_waitcnt vmcnt(0)
	v_lshlrev_b32_e32 v3, 16, v3
.LBB93_10:                              ;   in Loop: Header=BB93_8 Depth=2
	s_or_b64 exec, exec, s[10:11]
	v_mov_b32_e32 v5, 0
	v_mov_b32_e32 v10, 0
	s_and_saveexec_b64 s[10:11], vcc
	s_cbranch_execz .LBB93_12
; %bb.11:                               ;   in Loop: Header=BB93_8 Depth=2
	v_lshl_add_u64 v[10:11], v[8:9], 1, s[38:39]
	global_load_ushort v10, v[10:11], off
	s_waitcnt vmcnt(0)
	v_lshlrev_b32_e32 v10, 16, v10
.LBB93_12:                              ;   in Loop: Header=BB93_8 Depth=2
	s_or_b64 exec, exec, s[10:11]
	s_and_saveexec_b64 s[10:11], vcc
	s_cbranch_execz .LBB93_7
; %bb.13:                               ;   in Loop: Header=BB93_8 Depth=2
	v_lshl_add_u64 v[8:9], v[8:9], 1, s[40:41]
	global_load_ushort v5, v[8:9], off
	s_waitcnt vmcnt(0)
	v_lshlrev_b32_e32 v5, 16, v5
	s_branch .LBB93_7
.LBB93_14:                              ;   in Loop: Header=BB93_4 Depth=1
                                        ; implicit-def: $vgpr6_vgpr7
	s_branch .LBB93_17
.LBB93_15:                              ;   in Loop: Header=BB93_4 Depth=1
	v_mov_b32_e32 v5, v4
	v_mov_b64_e32 v[6:7], v[4:5]
.LBB93_16:                              ;   in Loop: Header=BB93_4 Depth=1
	s_cbranch_execnz .LBB93_25
.LBB93_17:                              ;   in Loop: Header=BB93_4 Depth=1
	s_and_b64 vcc, exec, s[8:9]
	s_cbranch_vccnz .LBB93_24
; %bb.18:                               ;   in Loop: Header=BB93_4 Depth=1
	v_mov_b32_e32 v6, 0
	s_mov_b32 s12, 0
	v_mov_b32_e32 v7, v6
	s_branch .LBB93_20
.LBB93_19:                              ;   in Loop: Header=BB93_20 Depth=2
	s_or_b64 exec, exec, s[10:11]
	s_add_i32 s12, s12, s46
	s_waitcnt lgkmcnt(0)
	v_subrev_f32_e32 v3, s15, v3
	s_ashr_i32 s10, s12, 31
	v_mul_f32_e32 v3, v3, v10
	v_mov_b32_e32 v8, s12
	v_mov_b32_e32 v9, s10
	v_mul_f32_e32 v11, s48, v3
	v_cmp_le_i64_e32 vcc, s[26:27], v[8:9]
	v_pk_add_f32 v[6:7], v[6:7], v[10:11]
	s_cbranch_vccnz .LBB93_25
.LBB93_20:                              ;   Parent Loop BB93_4 Depth=1
                                        ; =>  This Inner Loop Header: Depth=2
	v_add_u32_e32 v8, s12, v0
	v_ashrrev_i32_e32 v9, 31, v8
	v_cmp_gt_i64_e32 vcc, s[26:27], v[8:9]
	v_mov_b32_e32 v3, 0
	s_and_saveexec_b64 s[10:11], vcc
	s_cbranch_execz .LBB93_22
; %bb.21:                               ;   in Loop: Header=BB93_20 Depth=2
	v_lshl_add_u64 v[10:11], v[8:9], 1, s[38:39]
	global_load_ushort v3, v[10:11], off
	s_waitcnt vmcnt(0)
	v_lshlrev_b32_e32 v3, 16, v3
.LBB93_22:                              ;   in Loop: Header=BB93_20 Depth=2
	s_or_b64 exec, exec, s[10:11]
	v_mov_b32_e32 v10, 0
	s_and_saveexec_b64 s[10:11], vcc
	s_cbranch_execz .LBB93_19
; %bb.23:                               ;   in Loop: Header=BB93_20 Depth=2
	v_lshl_add_u64 v[8:9], v[8:9], 1, s[40:41]
	global_load_ushort v5, v[8:9], off
	s_waitcnt vmcnt(0)
	v_lshlrev_b32_e32 v10, 16, v5
	s_branch .LBB93_19
.LBB93_24:                              ;   in Loop: Header=BB93_4 Depth=1
	v_mov_b32_e32 v5, v4
	v_mov_b64_e32 v[6:7], v[4:5]
.LBB93_25:                              ;   in Loop: Header=BB93_4 Depth=1
	s_andn2_b64 vcc, exec, s[34:35]
	s_cbranch_vccnz .LBB93_28
; %bb.26:                               ;   in Loop: Header=BB93_4 Depth=1
	v_and_b32_e32 v3, 64, v17
	v_add_u32_e32 v3, 64, v3
	s_mov_b32 s10, s45
.LBB93_27:                              ;   Parent Loop BB93_4 Depth=1
                                        ; =>  This Inner Loop Header: Depth=2
	s_lshr_b32 s11, s10, 1
	v_xor_b32_e32 v5, s11, v17
	v_cmp_lt_i32_e32 vcc, v5, v3
	s_cmp_lt_u32 s10, 4
	s_mov_b32 s10, s11
	v_cndmask_b32_e32 v5, v17, v5, vcc
	v_lshlrev_b32_e32 v5, 2, v5
	ds_bpermute_b32 v8, v5, v6
	ds_bpermute_b32 v9, v5, v7
	s_waitcnt lgkmcnt(0)
	v_pk_add_f32 v[6:7], v[6:7], v[8:9]
	s_cbranch_scc0 .LBB93_27
.LBB93_28:                              ;   in Loop: Header=BB93_4 Depth=1
	s_andn2_b64 vcc, exec, s[36:37]
	s_mov_b32 s49, s44
	s_cbranch_vccnz .LBB93_40
.LBB93_29:                              ;   Parent Loop BB93_4 Depth=1
                                        ; =>  This Inner Loop Header: Depth=2
	s_lshr_b32 s50, s49, 1
	s_and_b32 s12, s49, 0xfffe
	v_cmp_le_u32_e64 s[10:11], s50, v13
	v_cmp_gt_u32_e64 s[12:13], s12, v13
	v_cmp_gt_u32_e32 vcc, s50, v13
	s_and_b64 s[12:13], s[10:11], s[12:13]
	s_and_saveexec_b64 s[10:11], s[12:13]
; %bb.30:                               ;   in Loop: Header=BB93_29 Depth=2
	v_subrev_u32_e32 v3, s50, v13
	v_mad_u32_u24 v3, v3, s45, v12
	v_lshl_add_u32 v3, v3, 3, 0
	ds_write_b64 v3, v[6:7]
; %bb.31:                               ;   in Loop: Header=BB93_29 Depth=2
	s_or_b64 exec, exec, s[10:11]
	s_waitcnt lgkmcnt(0)
	s_barrier
	s_and_saveexec_b64 s[10:11], vcc
	s_cbranch_execz .LBB93_33
; %bb.32:                               ;   in Loop: Header=BB93_29 Depth=2
	ds_read_b64 v[8:9], v16
	s_waitcnt lgkmcnt(0)
	v_pk_add_f32 v[6:7], v[6:7], v[8:9]
.LBB93_33:                              ;   in Loop: Header=BB93_29 Depth=2
	s_or_b64 exec, exec, s[10:11]
	s_cmp_lt_u32 s49, 4
	s_barrier
	s_cbranch_scc1 .LBB93_35
; %bb.34:                               ;   in Loop: Header=BB93_29 Depth=2
	s_mov_b32 s49, s50
	s_branch .LBB93_29
.LBB93_35:                              ;   in Loop: Header=BB93_4 Depth=1
	s_and_saveexec_b64 s[10:11], s[0:1]
; %bb.36:                               ;   in Loop: Header=BB93_4 Depth=1
	ds_write_b64 v18, v[6:7]
; %bb.37:                               ;   in Loop: Header=BB93_4 Depth=1
	s_or_b64 exec, exec, s[10:11]
	s_waitcnt lgkmcnt(0)
	s_barrier
	s_and_saveexec_b64 s[10:11], s[2:3]
; %bb.38:                               ;   in Loop: Header=BB93_4 Depth=1
	ds_read_b64 v[6:7], v18
; %bb.39:                               ;   in Loop: Header=BB93_4 Depth=1
	s_or_b64 exec, exec, s[10:11]
.LBB93_40:                              ;   in Loop: Header=BB93_4 Depth=1
	s_add_u32 s10, s22, s42
	s_addc_u32 s11, s23, s43
	s_and_b64 vcc, exec, s[6:7]
	s_waitcnt lgkmcnt(0)
	v_mul_f32_e32 v5, s48, v14
	s_cbranch_vccnz .LBB93_45
; %bb.41:                               ;   in Loop: Header=BB93_4 Depth=1
	s_and_saveexec_b64 s[12:13], s[4:5]
	s_cbranch_execz .LBB93_44
; %bb.42:                               ;   in Loop: Header=BB93_4 Depth=1
	v_mov_b32_e32 v3, s15
	s_mov_b64 s[42:43], 0
	v_mov_b32_e32 v8, v15
	v_mov_b64_e32 v[10:11], v[0:1]
.LBB93_43:                              ;   Parent Loop BB93_4 Depth=1
                                        ; =>  This Inner Loop Header: Depth=2
	v_lshlrev_b64 v[10:11], 1, v[10:11]
	v_lshl_add_u64 v[22:23], s[40:41], 0, v[10:11]
	v_lshl_add_u64 v[20:21], s[38:39], 0, v[10:11]
	;; [unrolled: 1-line block ×3, first 2 shown]
	global_load_ushort v26, v[22:23], off
	global_load_ushort v27, v[20:21], off
	global_load_ushort v28, v[24:25], off
	v_mov_b32_e32 v21, s48
	v_ashrrev_i32_e32 v9, 31, v8
	v_lshl_add_u64 v[22:23], s[10:11], 0, v[10:11]
	v_mov_b64_e32 v[10:11], v[8:9]
	v_cmp_le_i64_e32 vcc, s[26:27], v[8:9]
	s_or_b64 s[42:43], vcc, s[42:43]
	v_add_u32_e32 v8, s46, v8
	s_waitcnt vmcnt(2)
	v_lshlrev_b32_e32 v24, 16, v26
	s_waitcnt vmcnt(1)
	v_lshlrev_b32_e32 v25, 16, v27
	v_pk_mul_f32 v[26:27], v[2:3], v[24:25]
	v_pk_add_f32 v[24:25], v[24:25], v[2:3] neg_lo:[0,1] neg_hi:[0,1]
	s_waitcnt vmcnt(0)
	v_lshlrev_b32_e32 v20, 16, v28
	v_mov_b32_e32 v27, v25
	v_pk_mul_f32 v[20:21], v[26:27], v[20:21]
	s_nop 0
	v_sub_f32_e32 v9, v20, v6
	v_fma_f32 v9, -v21, v7, v9
	v_mul_f32_e32 v9, v5, v9
	v_bfe_u32 v20, v9, 16, 1
	v_add3_u32 v20, v9, v20, s47
	v_lshrrev_b32_e32 v20, 16, v20
	v_cmp_o_f32_e32 vcc, v9, v9
	s_nop 1
	v_cndmask_b32_e32 v9, v19, v20, vcc
	global_store_short v[22:23], v9, off
	s_andn2_b64 exec, exec, s[42:43]
	s_cbranch_execnz .LBB93_43
.LBB93_44:                              ;   in Loop: Header=BB93_4 Depth=1
	s_or_b64 exec, exec, s[12:13]
	s_cbranch_execnz .LBB93_3
	s_branch .LBB93_46
.LBB93_45:                              ;   in Loop: Header=BB93_4 Depth=1
.LBB93_46:                              ;   in Loop: Header=BB93_4 Depth=1
	s_and_saveexec_b64 s[12:13], s[4:5]
	s_cbranch_execz .LBB93_2
; %bb.47:                               ;   in Loop: Header=BB93_4 Depth=1
	v_mov_b32_e32 v3, s48
	s_mov_b64 s[42:43], 0
	v_mov_b32_e32 v8, v15
	v_mov_b64_e32 v[10:11], v[0:1]
.LBB93_48:                              ;   Parent Loop BB93_4 Depth=1
                                        ; =>  This Inner Loop Header: Depth=2
	v_lshlrev_b64 v[10:11], 1, v[10:11]
	v_lshl_add_u64 v[20:21], s[38:39], 0, v[10:11]
	v_lshl_add_u64 v[22:23], s[40:41], 0, v[10:11]
	global_load_ushort v24, v[20:21], off
	global_load_ushort v25, v[22:23], off
	v_ashrrev_i32_e32 v9, 31, v8
	v_lshl_add_u64 v[20:21], s[10:11], 0, v[10:11]
	v_mov_b64_e32 v[10:11], v[8:9]
	v_cmp_le_i64_e32 vcc, s[26:27], v[8:9]
	s_or_b64 s[42:43], vcc, s[42:43]
	v_add_u32_e32 v8, s46, v8
	s_waitcnt vmcnt(1)
	v_lshlrev_b32_e32 v9, 16, v24
	s_waitcnt vmcnt(0)
	v_lshlrev_b32_e32 v22, 16, v25
	v_subrev_f32_e32 v23, s15, v9
	v_pk_mul_f32 v[22:23], v[2:3], v[22:23]
	s_nop 0
	v_sub_f32_e32 v9, v22, v6
	v_fma_f32 v9, -v23, v7, v9
	v_mul_f32_e32 v9, v5, v9
	v_bfe_u32 v22, v9, 16, 1
	v_add3_u32 v22, v9, v22, s47
	v_lshrrev_b32_e32 v22, 16, v22
	v_cmp_o_f32_e32 vcc, v9, v9
	s_nop 1
	v_cndmask_b32_e32 v9, v19, v22, vcc
	global_store_short v[20:21], v9, off
	s_andn2_b64 exec, exec, s[42:43]
	s_cbranch_execnz .LBB93_48
	s_branch .LBB93_2
.LBB93_49:
	s_endpgm
	.section	.rodata,"a",@progbits
	.p2align	6, 0x0
	.amdhsa_kernel _ZN2at6native12_GLOBAL__N_118cuComputeGradInputIN3c108BFloat16EfLb0EEEvPKT_S7_llPKT0_SA_S7_PS5_
		.amdhsa_group_segment_fixed_size 0
		.amdhsa_private_segment_fixed_size 0
		.amdhsa_kernarg_size 320
		.amdhsa_user_sgpr_count 2
		.amdhsa_user_sgpr_dispatch_ptr 0
		.amdhsa_user_sgpr_queue_ptr 0
		.amdhsa_user_sgpr_kernarg_segment_ptr 1
		.amdhsa_user_sgpr_dispatch_id 0
		.amdhsa_user_sgpr_kernarg_preload_length 0
		.amdhsa_user_sgpr_kernarg_preload_offset 0
		.amdhsa_user_sgpr_private_segment_size 0
		.amdhsa_uses_dynamic_stack 0
		.amdhsa_enable_private_segment 0
		.amdhsa_system_sgpr_workgroup_id_x 1
		.amdhsa_system_sgpr_workgroup_id_y 1
		.amdhsa_system_sgpr_workgroup_id_z 0
		.amdhsa_system_sgpr_workgroup_info 0
		.amdhsa_system_vgpr_workitem_id 1
		.amdhsa_next_free_vgpr 29
		.amdhsa_next_free_sgpr 51
		.amdhsa_accum_offset 32
		.amdhsa_reserve_vcc 1
		.amdhsa_float_round_mode_32 0
		.amdhsa_float_round_mode_16_64 0
		.amdhsa_float_denorm_mode_32 3
		.amdhsa_float_denorm_mode_16_64 3
		.amdhsa_dx10_clamp 1
		.amdhsa_ieee_mode 1
		.amdhsa_fp16_overflow 0
		.amdhsa_tg_split 0
		.amdhsa_exception_fp_ieee_invalid_op 0
		.amdhsa_exception_fp_denorm_src 0
		.amdhsa_exception_fp_ieee_div_zero 0
		.amdhsa_exception_fp_ieee_overflow 0
		.amdhsa_exception_fp_ieee_underflow 0
		.amdhsa_exception_fp_ieee_inexact 0
		.amdhsa_exception_int_div_zero 0
	.end_amdhsa_kernel
	.section	.text._ZN2at6native12_GLOBAL__N_118cuComputeGradInputIN3c108BFloat16EfLb0EEEvPKT_S7_llPKT0_SA_S7_PS5_,"axG",@progbits,_ZN2at6native12_GLOBAL__N_118cuComputeGradInputIN3c108BFloat16EfLb0EEEvPKT_S7_llPKT0_SA_S7_PS5_,comdat
.Lfunc_end93:
	.size	_ZN2at6native12_GLOBAL__N_118cuComputeGradInputIN3c108BFloat16EfLb0EEEvPKT_S7_llPKT0_SA_S7_PS5_, .Lfunc_end93-_ZN2at6native12_GLOBAL__N_118cuComputeGradInputIN3c108BFloat16EfLb0EEEvPKT_S7_llPKT0_SA_S7_PS5_
                                        ; -- End function
	.set _ZN2at6native12_GLOBAL__N_118cuComputeGradInputIN3c108BFloat16EfLb0EEEvPKT_S7_llPKT0_SA_S7_PS5_.num_vgpr, 29
	.set _ZN2at6native12_GLOBAL__N_118cuComputeGradInputIN3c108BFloat16EfLb0EEEvPKT_S7_llPKT0_SA_S7_PS5_.num_agpr, 0
	.set _ZN2at6native12_GLOBAL__N_118cuComputeGradInputIN3c108BFloat16EfLb0EEEvPKT_S7_llPKT0_SA_S7_PS5_.numbered_sgpr, 51
	.set _ZN2at6native12_GLOBAL__N_118cuComputeGradInputIN3c108BFloat16EfLb0EEEvPKT_S7_llPKT0_SA_S7_PS5_.num_named_barrier, 0
	.set _ZN2at6native12_GLOBAL__N_118cuComputeGradInputIN3c108BFloat16EfLb0EEEvPKT_S7_llPKT0_SA_S7_PS5_.private_seg_size, 0
	.set _ZN2at6native12_GLOBAL__N_118cuComputeGradInputIN3c108BFloat16EfLb0EEEvPKT_S7_llPKT0_SA_S7_PS5_.uses_vcc, 1
	.set _ZN2at6native12_GLOBAL__N_118cuComputeGradInputIN3c108BFloat16EfLb0EEEvPKT_S7_llPKT0_SA_S7_PS5_.uses_flat_scratch, 0
	.set _ZN2at6native12_GLOBAL__N_118cuComputeGradInputIN3c108BFloat16EfLb0EEEvPKT_S7_llPKT0_SA_S7_PS5_.has_dyn_sized_stack, 0
	.set _ZN2at6native12_GLOBAL__N_118cuComputeGradInputIN3c108BFloat16EfLb0EEEvPKT_S7_llPKT0_SA_S7_PS5_.has_recursion, 0
	.set _ZN2at6native12_GLOBAL__N_118cuComputeGradInputIN3c108BFloat16EfLb0EEEvPKT_S7_llPKT0_SA_S7_PS5_.has_indirect_call, 0
	.section	.AMDGPU.csdata,"",@progbits
; Kernel info:
; codeLenInByte = 1628
; TotalNumSgprs: 57
; NumVgprs: 29
; NumAgprs: 0
; TotalNumVgprs: 29
; ScratchSize: 0
; MemoryBound: 0
; FloatMode: 240
; IeeeMode: 1
; LDSByteSize: 0 bytes/workgroup (compile time only)
; SGPRBlocks: 7
; VGPRBlocks: 3
; NumSGPRsForWavesPerEU: 57
; NumVGPRsForWavesPerEU: 29
; AccumOffset: 32
; Occupancy: 8
; WaveLimiterHint : 0
; COMPUTE_PGM_RSRC2:SCRATCH_EN: 0
; COMPUTE_PGM_RSRC2:USER_SGPR: 2
; COMPUTE_PGM_RSRC2:TRAP_HANDLER: 0
; COMPUTE_PGM_RSRC2:TGID_X_EN: 1
; COMPUTE_PGM_RSRC2:TGID_Y_EN: 1
; COMPUTE_PGM_RSRC2:TGID_Z_EN: 0
; COMPUTE_PGM_RSRC2:TIDIG_COMP_CNT: 1
; COMPUTE_PGM_RSRC3_GFX90A:ACCUM_OFFSET: 7
; COMPUTE_PGM_RSRC3_GFX90A:TG_SPLIT: 0
	.section	.text._ZN2at6native12_GLOBAL__N_128layer_norm_grad_input_kernelIN3c108BFloat16EfLb0EEEvPKT_S7_PKT0_SA_S7_PS5_i,"axG",@progbits,_ZN2at6native12_GLOBAL__N_128layer_norm_grad_input_kernelIN3c108BFloat16EfLb0EEEvPKT_S7_PKT0_SA_S7_PS5_i,comdat
	.globl	_ZN2at6native12_GLOBAL__N_128layer_norm_grad_input_kernelIN3c108BFloat16EfLb0EEEvPKT_S7_PKT0_SA_S7_PS5_i ; -- Begin function _ZN2at6native12_GLOBAL__N_128layer_norm_grad_input_kernelIN3c108BFloat16EfLb0EEEvPKT_S7_PKT0_SA_S7_PS5_i
	.p2align	8
	.type	_ZN2at6native12_GLOBAL__N_128layer_norm_grad_input_kernelIN3c108BFloat16EfLb0EEEvPKT_S7_PKT0_SA_S7_PS5_i,@function
_ZN2at6native12_GLOBAL__N_128layer_norm_grad_input_kernelIN3c108BFloat16EfLb0EEEvPKT_S7_PKT0_SA_S7_PS5_i: ; @_ZN2at6native12_GLOBAL__N_128layer_norm_grad_input_kernelIN3c108BFloat16EfLb0EEEvPKT_S7_PKT0_SA_S7_PS5_i
; %bb.0:
	s_load_dword s24, s[0:1], 0x30
	s_load_dwordx2 s[12:13], s[0:1], 0x20
	s_load_dwordx8 s[4:11], s[0:1], 0x0
	s_mov_b32 s3, 0
	v_lshlrev_b32_e32 v4, 2, v0
	s_waitcnt lgkmcnt(0)
	s_ashr_i32 s14, s24, 31
	s_mul_hi_u32 s15, s24, s2
	s_mul_i32 s14, s14, s2
	s_add_i32 s17, s15, s14
	s_mul_i32 s16, s24, s2
	s_lshl_b64 s[2:3], s[2:3], 2
	s_add_u32 s8, s8, s2
	s_addc_u32 s9, s9, s3
	s_add_u32 s2, s10, s2
	s_addc_u32 s3, s11, s3
	s_load_dword s25, s[8:9], 0x0
	s_load_dword s26, s[2:3], 0x0
	s_lshl_b64 s[14:15], s[16:17], 1
	s_add_u32 s8, s6, s14
	s_addc_u32 s9, s7, s15
	s_add_u32 s10, s4, s14
	v_or_b32_e32 v1, 3, v4
	v_mov_b32_e32 v5, 0
	s_addc_u32 s11, s5, s15
	v_cmp_gt_u32_e32 vcc, s24, v1
	v_mov_b32_e32 v2, v5
	v_mov_b32_e32 v3, v5
	s_and_saveexec_b64 s[18:19], vcc
	s_cbranch_execz .LBB94_12
; %bb.1:
	s_load_dword s2, s[0:1], 0x44
	s_cmp_lg_u64 s[12:13], 0
	s_cselect_b64 s[22:23], -1, 0
	v_cndmask_b32_e64 v1, 0, 1, s[22:23]
	s_mov_b64 s[20:21], 0
	s_waitcnt lgkmcnt(0)
	s_and_b32 s2, s2, 0xffff
	s_lshl_b32 s27, s2, 2
	v_cmp_ne_u32_e64 s[2:3], 1, v1
	v_mov_b32_e32 v2, v5
	v_mov_b32_e32 v3, v5
	s_branch .LBB94_3
.LBB94_2:                               ;   in Loop: Header=BB94_3 Depth=1
	global_load_ushort v21, v[6:7], off offset:6
	global_load_ushort v22, v[8:9], off offset:6
	s_waitcnt vmcnt(7)
	v_lshlrev_b32_e32 v6, 16, v15
	s_waitcnt vmcnt(6)
	v_lshlrev_b32_e32 v7, 16, v16
	;; [unrolled: 2-line block ×5, first 2 shown]
	v_subrev_f32_e32 v6, s25, v6
	v_mul_f32_e32 v7, v12, v7
	v_lshlrev_b32_e32 v8, 16, v17
	v_add_u32_e32 v4, s27, v4
	v_mul_f32_e32 v9, v1, v9
	v_subrev_f32_e32 v1, s25, v10
	v_mul_f32_e32 v11, v14, v11
	v_mul_f32_e32 v6, v6, v7
	v_subrev_f32_e32 v8, s25, v8
	v_add_u32_e32 v10, 3, v4
	v_mul_f32_e32 v1, v1, v11
	v_mul_f32_e32 v6, s26, v6
	;; [unrolled: 1-line block ×3, first 2 shown]
	v_cmp_le_u32_e32 vcc, s24, v10
	v_mul_f32_e32 v10, s26, v1
	v_pk_add_f32 v[2:3], v[2:3], v[6:7]
	v_mul_f32_e32 v8, s26, v8
	v_pk_add_f32 v[2:3], v[2:3], v[8:9]
	s_or_b64 s[20:21], vcc, s[20:21]
	v_pk_add_f32 v[2:3], v[2:3], v[10:11]
	s_waitcnt vmcnt(1)
	v_lshlrev_b32_e32 v1, 16, v21
	s_waitcnt vmcnt(0)
	v_lshlrev_b32_e32 v6, 16, v22
	v_subrev_f32_e32 v1, s25, v1
	v_mul_f32_e32 v7, v13, v6
	v_mul_f32_e32 v1, v1, v7
	;; [unrolled: 1-line block ×3, first 2 shown]
	v_pk_add_f32 v[2:3], v[2:3], v[6:7]
	s_andn2_b64 exec, exec, s[20:21]
	s_cbranch_execz .LBB94_11
.LBB94_3:                               ; =>This Inner Loop Header: Depth=1
	v_mov_b32_e32 v1, 1.0
	s_and_b64 vcc, exec, s[22:23]
	v_lshl_add_u64 v[10:11], v[4:5], 1, s[12:13]
	v_mov_b32_e32 v12, 1.0
	s_cbranch_vccz .LBB94_5
; %bb.4:                                ;   in Loop: Header=BB94_3 Depth=1
	global_load_ushort v6, v[10:11], off
	s_waitcnt vmcnt(0)
	v_lshlrev_b32_e32 v12, 16, v6
.LBB94_5:                               ;   in Loop: Header=BB94_3 Depth=1
	v_lshlrev_b64 v[8:9], 1, v[4:5]
	v_lshl_add_u64 v[6:7], s[8:9], 0, v[8:9]
	v_lshl_add_u64 v[8:9], s[10:11], 0, v[8:9]
	global_load_ushort v15, v[6:7], off
	global_load_ushort v16, v[8:9], off
	s_and_b64 vcc, exec, s[2:3]
	s_cbranch_vccnz .LBB94_7
; %bb.6:                                ;   in Loop: Header=BB94_3 Depth=1
	global_load_ushort v1, v[10:11], off offset:2
	s_waitcnt vmcnt(0)
	v_lshlrev_b32_e32 v1, 16, v1
.LBB94_7:                               ;   in Loop: Header=BB94_3 Depth=1
	global_load_ushort v17, v[6:7], off offset:2
	global_load_ushort v18, v[8:9], off offset:2
	v_mov_b32_e32 v13, 1.0
	s_and_b64 vcc, exec, s[2:3]
	v_mov_b32_e32 v14, 1.0
	s_cbranch_vccnz .LBB94_9
; %bb.8:                                ;   in Loop: Header=BB94_3 Depth=1
	global_load_ushort v14, v[10:11], off offset:4
	s_waitcnt vmcnt(0)
	v_lshlrev_b32_e32 v14, 16, v14
.LBB94_9:                               ;   in Loop: Header=BB94_3 Depth=1
	global_load_ushort v19, v[6:7], off offset:4
	global_load_ushort v20, v[8:9], off offset:4
	s_and_b64 vcc, exec, s[2:3]
	s_cbranch_vccnz .LBB94_2
; %bb.10:                               ;   in Loop: Header=BB94_3 Depth=1
	global_load_ushort v10, v[10:11], off offset:6
	s_waitcnt vmcnt(0)
	v_lshlrev_b32_e32 v13, 16, v10
	s_branch .LBB94_2
.LBB94_11:
	s_or_b64 exec, exec, s[20:21]
.LBB94_12:
	s_or_b64 exec, exec, s[18:19]
	v_cmp_gt_u32_e32 vcc, s24, v4
	s_and_saveexec_b64 s[18:19], vcc
	s_cbranch_execz .LBB94_19
; %bb.13:
	s_cmp_lg_u64 s[12:13], 0
	v_mov_b32_e32 v5, 0
	v_lshlrev_b64 v[8:9], 1, v[4:5]
	s_cselect_b64 s[2:3], -1, 0
	v_lshl_add_u64 v[10:11], s[16:17], 1, v[8:9]
	v_cndmask_b32_e64 v1, 0, 1, s[2:3]
	s_mov_b64 s[20:21], 0
	v_lshl_add_u64 v[6:7], s[12:13], 0, v[8:9]
	v_lshl_add_u64 v[8:9], s[6:7], 0, v[10:11]
	;; [unrolled: 1-line block ×3, first 2 shown]
	v_cmp_ne_u32_e64 s[2:3], 1, v1
	s_branch .LBB94_16
.LBB94_14:                              ;   in Loop: Header=BB94_16 Depth=1
	global_load_ushort v1, v[6:7], off
	s_waitcnt vmcnt(0)
	v_lshlrev_b32_e32 v1, 16, v1
.LBB94_15:                              ;   in Loop: Header=BB94_16 Depth=1
	global_load_ushort v5, v[8:9], off
	global_load_ushort v12, v[10:11], off
	v_add_u32_e32 v4, 1, v4
	v_cmp_le_u32_e32 vcc, s24, v4
	v_lshl_add_u64 v[6:7], v[6:7], 0, 2
	v_lshl_add_u64 v[8:9], v[8:9], 0, 2
	s_or_b64 s[20:21], vcc, s[20:21]
	v_lshl_add_u64 v[10:11], v[10:11], 0, 2
	s_waitcnt vmcnt(1)
	v_lshlrev_b32_e32 v5, 16, v5
	s_waitcnt vmcnt(0)
	v_lshlrev_b32_e32 v12, 16, v12
	s_waitcnt lgkmcnt(0)
	v_subrev_f32_e32 v5, s25, v5
	v_mul_f32_e32 v13, v1, v12
	v_mul_f32_e32 v1, v5, v13
	v_mul_f32_e32 v12, s26, v1
	v_pk_add_f32 v[2:3], v[2:3], v[12:13]
	s_andn2_b64 exec, exec, s[20:21]
	s_cbranch_execz .LBB94_18
.LBB94_16:                              ; =>This Inner Loop Header: Depth=1
	s_and_b64 vcc, exec, s[2:3]
	s_cbranch_vccz .LBB94_14
; %bb.17:                               ;   in Loop: Header=BB94_16 Depth=1
	v_mov_b32_e32 v1, 1.0
	s_branch .LBB94_15
.LBB94_18:
	s_or_b64 exec, exec, s[20:21]
.LBB94_19:
	s_or_b64 exec, exec, s[18:19]
	v_mbcnt_lo_u32_b32 v1, -1, 0
	v_mbcnt_hi_u32_b32 v4, -1, v1
	v_mov_b32_e32 v1, 0x80
	v_lshl_or_b32 v1, v4, 2, v1
	ds_bpermute_b32 v5, v1, v3
	v_and_b32_e32 v9, 63, v4
	v_cmp_gt_u32_e32 vcc, 48, v9
	v_and_b32_e32 v10, 63, v0
	s_waitcnt lgkmcnt(0)
	v_cndmask_b32_e64 v6, 0, 16, vcc
	v_add_f32_e32 v5, v3, v5
	v_add_lshl_u32 v3, v6, v4, 2
	ds_bpermute_b32 v7, v3, v5
	v_cmp_gt_u32_e32 vcc, 56, v9
	s_barrier
	s_waitcnt lgkmcnt(0)
	v_cndmask_b32_e64 v6, 0, 8, vcc
	v_add_lshl_u32 v6, v6, v4, 2
	v_add_f32_e32 v5, v5, v7
	ds_bpermute_b32 v8, v6, v5
	v_cmp_gt_u32_e32 vcc, 60, v9
	s_waitcnt lgkmcnt(0)
	v_add_f32_e32 v5, v5, v8
	v_cndmask_b32_e64 v7, 0, 4, vcc
	v_add_lshl_u32 v7, v7, v4, 2
	ds_bpermute_b32 v11, v7, v5
	v_cmp_gt_u32_e32 vcc, 62, v9
	s_waitcnt lgkmcnt(0)
	v_add_f32_e32 v5, v5, v11
	v_cndmask_b32_e64 v8, 0, 2, vcc
	v_add_lshl_u32 v8, v8, v4, 2
	ds_bpermute_b32 v11, v8, v5
	v_cmp_ne_u32_e32 vcc, 63, v9
	s_nop 1
	v_addc_co_u32_e32 v4, vcc, 0, v4, vcc
	v_lshlrev_b32_e32 v9, 2, v4
	s_waitcnt lgkmcnt(0)
	v_add_f32_e32 v4, v5, v11
	ds_bpermute_b32 v11, v9, v4
	v_cmp_eq_u32_e32 vcc, 0, v10
	v_lshrrev_b32_e32 v5, 4, v0
	s_and_saveexec_b64 s[2:3], vcc
	s_cbranch_execz .LBB94_21
; %bb.20:
	v_add_u32_e32 v12, 0, v5
	s_waitcnt lgkmcnt(0)
	v_add_f32_e32 v4, v4, v11
	ds_write_b32 v12, v4
.LBB94_21:
	s_or_b64 exec, exec, s[2:3]
	s_waitcnt lgkmcnt(0)
	s_barrier
	s_load_dword s16, s[0:1], 0x44
	v_mov_b32_e32 v4, 0
	v_lshl_add_u32 v10, v10, 2, 0
	s_waitcnt lgkmcnt(0)
	s_bfe_u32 s2, s16, 0xa0006
	v_cmp_gt_u32_e64 s[2:3], s2, v0
	s_and_saveexec_b64 s[4:5], s[2:3]
; %bb.22:
	ds_read_b32 v4, v10
; %bb.23:
	s_or_b64 exec, exec, s[4:5]
	v_cmp_gt_u32_e64 s[4:5], 64, v0
	s_and_saveexec_b64 s[6:7], s[4:5]
	s_cbranch_execz .LBB94_25
; %bb.24:
	s_waitcnt lgkmcnt(0)
	ds_bpermute_b32 v11, v1, v4
	s_waitcnt lgkmcnt(0)
	v_add_f32_e32 v4, v4, v11
	ds_bpermute_b32 v11, v3, v4
	s_waitcnt lgkmcnt(0)
	v_add_f32_e32 v4, v4, v11
	;; [unrolled: 3-line block ×6, first 2 shown]
.LBB94_25:
	s_or_b64 exec, exec, s[6:7]
	ds_bpermute_b32 v11, v1, v2
	s_waitcnt lgkmcnt(0)
	s_barrier
	v_add_f32_e32 v2, v2, v11
	ds_bpermute_b32 v11, v3, v2
	s_waitcnt lgkmcnt(0)
	v_add_f32_e32 v2, v2, v11
	ds_bpermute_b32 v11, v6, v2
	s_waitcnt lgkmcnt(0)
	;; [unrolled: 3-line block ×4, first 2 shown]
	v_add_f32_e32 v2, v2, v11
	ds_bpermute_b32 v11, v9, v2
	s_and_saveexec_b64 s[6:7], vcc
	s_cbranch_execz .LBB94_27
; %bb.26:
	v_add_u32_e32 v5, 0, v5
	s_waitcnt lgkmcnt(0)
	v_add_f32_e32 v2, v2, v11
	ds_write_b32 v5, v2
.LBB94_27:
	s_or_b64 exec, exec, s[6:7]
	v_mov_b32_e32 v5, 0
	s_waitcnt lgkmcnt(0)
	s_barrier
	s_and_saveexec_b64 s[6:7], s[2:3]
	s_cbranch_execnz .LBB94_38
; %bb.28:
	s_or_b64 exec, exec, s[6:7]
	s_and_saveexec_b64 s[2:3], s[4:5]
	s_cbranch_execnz .LBB94_39
.LBB94_29:
	s_or_b64 exec, exec, s[2:3]
	v_cmp_eq_u32_e32 vcc, 0, v0
	s_and_saveexec_b64 s[2:3], vcc
	s_cbranch_execz .LBB94_31
.LBB94_30:
	v_mov_b32_e32 v1, 0
	s_waitcnt lgkmcnt(0)
	ds_write_b64 v1, v[4:5]
.LBB94_31:
	s_or_b64 exec, exec, s[2:3]
	v_cmp_gt_i32_e32 vcc, s24, v0
	s_waitcnt lgkmcnt(0)
	s_barrier
	s_and_saveexec_b64 s[2:3], vcc
	s_cbranch_execz .LBB94_37
; %bb.32:
	v_cvt_f32_i32_e32 v2, s24
	s_load_dwordx2 s[0:1], s[0:1], 0x28
	v_mov_b32_e32 v1, 0
	ds_read_b32 v8, v1
	ds_read_b32 v5, v1 offset:4
	v_div_scale_f32 v3, s[2:3], v2, v2, 1.0
	v_rcp_f32_e32 v4, v3
	v_div_scale_f32 v1, vcc, 1.0, v2, 1.0
	s_and_b32 s6, 0xffff, s16
	v_fma_f32 v6, -v3, v4, 1.0
	v_fmac_f32_e32 v4, v6, v4
	v_mul_f32_e32 v6, v1, v4
	v_fma_f32 v7, -v3, v6, v1
	v_fmac_f32_e32 v6, v7, v4
	s_waitcnt lgkmcnt(0)
	s_add_u32 s2, s0, s14
	v_fma_f32 v1, -v3, v6, v1
	s_addc_u32 s3, s1, s15
	v_div_fmas_f32 v1, v1, v4, v6
	s_cmp_lg_u64 s[12:13], 0
	v_div_fixup_f32 v1, v1, v2, 1.0
	s_cselect_b64 s[0:1], -1, 0
	v_mul_f32_e32 v9, s26, v1
	v_cndmask_b32_e64 v1, 0, 1, s[0:1]
	s_mov_b64 s[4:5], 0
	v_cmp_ne_u32_e64 s[0:1], 1, v1
	s_movk_i32 s7, 0x7fff
	v_mov_b32_e32 v10, 0x7fc0
	s_branch .LBB94_35
.LBB94_33:                              ;   in Loop: Header=BB94_35 Depth=1
	v_lshl_add_u64 v[6:7], v[0:1], 1, s[12:13]
	global_load_ushort v6, v[6:7], off
	s_waitcnt vmcnt(0)
	v_lshlrev_b32_e32 v6, 16, v6
.LBB94_34:                              ;   in Loop: Header=BB94_35 Depth=1
	s_waitcnt vmcnt(1)
	v_lshlrev_b32_e32 v3, 16, v3
	v_subrev_f32_e32 v3, s25, v3
	v_mov_b32_e32 v7, s26
	s_waitcnt vmcnt(0)
	v_lshlrev_b32_e32 v4, 16, v4
	v_pk_mul_f32 v[6:7], v[6:7], v[2:3]
	s_nop 0
	v_pk_mul_f32 v[6:7], v[6:7], v[4:5]
	s_nop 0
	v_sub_f32_e32 v3, v6, v7
	v_sub_f32_e32 v3, v3, v8
	v_mul_f32_e32 v3, v9, v3
	v_bfe_u32 v4, v3, 16, 1
	v_add3_u32 v4, v3, v4, s7
	v_cmp_o_f32_e32 vcc, v3, v3
	v_lshl_add_u64 v[6:7], v[0:1], 1, s[2:3]
	v_add_u32_e32 v0, s6, v0
	v_cndmask_b32_sdwa v3, v10, v4, vcc dst_sel:DWORD dst_unused:UNUSED_PAD src0_sel:DWORD src1_sel:WORD_1
	v_cmp_le_i32_e32 vcc, s24, v0
	s_or_b64 s[4:5], vcc, s[4:5]
	global_store_short v[6:7], v3, off
	s_andn2_b64 exec, exec, s[4:5]
	s_cbranch_execz .LBB94_37
.LBB94_35:                              ; =>This Inner Loop Header: Depth=1
	v_ashrrev_i32_e32 v1, 31, v0
	v_lshlrev_b64 v[6:7], 1, v[0:1]
	v_lshl_add_u64 v[12:13], s[8:9], 0, v[6:7]
	v_lshl_add_u64 v[6:7], s[10:11], 0, v[6:7]
	global_load_ushort v3, v[12:13], off
	global_load_ushort v4, v[6:7], off
	s_and_b64 vcc, exec, s[0:1]
	s_cbranch_vccz .LBB94_33
; %bb.36:                               ;   in Loop: Header=BB94_35 Depth=1
	v_mov_b32_e32 v6, 1.0
	s_branch .LBB94_34
.LBB94_37:
	s_endpgm
.LBB94_38:
	ds_read_b32 v5, v10
	s_or_b64 exec, exec, s[6:7]
	s_and_saveexec_b64 s[2:3], s[4:5]
	s_cbranch_execz .LBB94_29
.LBB94_39:
	s_waitcnt lgkmcnt(0)
	ds_bpermute_b32 v1, v1, v5
	s_waitcnt lgkmcnt(0)
	v_add_f32_e32 v1, v5, v1
	ds_bpermute_b32 v2, v3, v1
	s_waitcnt lgkmcnt(0)
	v_add_f32_e32 v1, v1, v2
	;; [unrolled: 3-line block ×6, first 2 shown]
	s_or_b64 exec, exec, s[2:3]
	v_cmp_eq_u32_e32 vcc, 0, v0
	s_and_saveexec_b64 s[2:3], vcc
	s_cbranch_execnz .LBB94_30
	s_branch .LBB94_31
	.section	.rodata,"a",@progbits
	.p2align	6, 0x0
	.amdhsa_kernel _ZN2at6native12_GLOBAL__N_128layer_norm_grad_input_kernelIN3c108BFloat16EfLb0EEEvPKT_S7_PKT0_SA_S7_PS5_i
		.amdhsa_group_segment_fixed_size 0
		.amdhsa_private_segment_fixed_size 0
		.amdhsa_kernarg_size 312
		.amdhsa_user_sgpr_count 2
		.amdhsa_user_sgpr_dispatch_ptr 0
		.amdhsa_user_sgpr_queue_ptr 0
		.amdhsa_user_sgpr_kernarg_segment_ptr 1
		.amdhsa_user_sgpr_dispatch_id 0
		.amdhsa_user_sgpr_kernarg_preload_length 0
		.amdhsa_user_sgpr_kernarg_preload_offset 0
		.amdhsa_user_sgpr_private_segment_size 0
		.amdhsa_uses_dynamic_stack 0
		.amdhsa_enable_private_segment 0
		.amdhsa_system_sgpr_workgroup_id_x 1
		.amdhsa_system_sgpr_workgroup_id_y 0
		.amdhsa_system_sgpr_workgroup_id_z 0
		.amdhsa_system_sgpr_workgroup_info 0
		.amdhsa_system_vgpr_workitem_id 0
		.amdhsa_next_free_vgpr 23
		.amdhsa_next_free_sgpr 28
		.amdhsa_accum_offset 24
		.amdhsa_reserve_vcc 1
		.amdhsa_float_round_mode_32 0
		.amdhsa_float_round_mode_16_64 0
		.amdhsa_float_denorm_mode_32 3
		.amdhsa_float_denorm_mode_16_64 3
		.amdhsa_dx10_clamp 1
		.amdhsa_ieee_mode 1
		.amdhsa_fp16_overflow 0
		.amdhsa_tg_split 0
		.amdhsa_exception_fp_ieee_invalid_op 0
		.amdhsa_exception_fp_denorm_src 0
		.amdhsa_exception_fp_ieee_div_zero 0
		.amdhsa_exception_fp_ieee_overflow 0
		.amdhsa_exception_fp_ieee_underflow 0
		.amdhsa_exception_fp_ieee_inexact 0
		.amdhsa_exception_int_div_zero 0
	.end_amdhsa_kernel
	.section	.text._ZN2at6native12_GLOBAL__N_128layer_norm_grad_input_kernelIN3c108BFloat16EfLb0EEEvPKT_S7_PKT0_SA_S7_PS5_i,"axG",@progbits,_ZN2at6native12_GLOBAL__N_128layer_norm_grad_input_kernelIN3c108BFloat16EfLb0EEEvPKT_S7_PKT0_SA_S7_PS5_i,comdat
.Lfunc_end94:
	.size	_ZN2at6native12_GLOBAL__N_128layer_norm_grad_input_kernelIN3c108BFloat16EfLb0EEEvPKT_S7_PKT0_SA_S7_PS5_i, .Lfunc_end94-_ZN2at6native12_GLOBAL__N_128layer_norm_grad_input_kernelIN3c108BFloat16EfLb0EEEvPKT_S7_PKT0_SA_S7_PS5_i
                                        ; -- End function
	.set _ZN2at6native12_GLOBAL__N_128layer_norm_grad_input_kernelIN3c108BFloat16EfLb0EEEvPKT_S7_PKT0_SA_S7_PS5_i.num_vgpr, 23
	.set _ZN2at6native12_GLOBAL__N_128layer_norm_grad_input_kernelIN3c108BFloat16EfLb0EEEvPKT_S7_PKT0_SA_S7_PS5_i.num_agpr, 0
	.set _ZN2at6native12_GLOBAL__N_128layer_norm_grad_input_kernelIN3c108BFloat16EfLb0EEEvPKT_S7_PKT0_SA_S7_PS5_i.numbered_sgpr, 28
	.set _ZN2at6native12_GLOBAL__N_128layer_norm_grad_input_kernelIN3c108BFloat16EfLb0EEEvPKT_S7_PKT0_SA_S7_PS5_i.num_named_barrier, 0
	.set _ZN2at6native12_GLOBAL__N_128layer_norm_grad_input_kernelIN3c108BFloat16EfLb0EEEvPKT_S7_PKT0_SA_S7_PS5_i.private_seg_size, 0
	.set _ZN2at6native12_GLOBAL__N_128layer_norm_grad_input_kernelIN3c108BFloat16EfLb0EEEvPKT_S7_PKT0_SA_S7_PS5_i.uses_vcc, 1
	.set _ZN2at6native12_GLOBAL__N_128layer_norm_grad_input_kernelIN3c108BFloat16EfLb0EEEvPKT_S7_PKT0_SA_S7_PS5_i.uses_flat_scratch, 0
	.set _ZN2at6native12_GLOBAL__N_128layer_norm_grad_input_kernelIN3c108BFloat16EfLb0EEEvPKT_S7_PKT0_SA_S7_PS5_i.has_dyn_sized_stack, 0
	.set _ZN2at6native12_GLOBAL__N_128layer_norm_grad_input_kernelIN3c108BFloat16EfLb0EEEvPKT_S7_PKT0_SA_S7_PS5_i.has_recursion, 0
	.set _ZN2at6native12_GLOBAL__N_128layer_norm_grad_input_kernelIN3c108BFloat16EfLb0EEEvPKT_S7_PKT0_SA_S7_PS5_i.has_indirect_call, 0
	.section	.AMDGPU.csdata,"",@progbits
; Kernel info:
; codeLenInByte = 2024
; TotalNumSgprs: 34
; NumVgprs: 23
; NumAgprs: 0
; TotalNumVgprs: 23
; ScratchSize: 0
; MemoryBound: 0
; FloatMode: 240
; IeeeMode: 1
; LDSByteSize: 0 bytes/workgroup (compile time only)
; SGPRBlocks: 4
; VGPRBlocks: 2
; NumSGPRsForWavesPerEU: 34
; NumVGPRsForWavesPerEU: 23
; AccumOffset: 24
; Occupancy: 8
; WaveLimiterHint : 0
; COMPUTE_PGM_RSRC2:SCRATCH_EN: 0
; COMPUTE_PGM_RSRC2:USER_SGPR: 2
; COMPUTE_PGM_RSRC2:TRAP_HANDLER: 0
; COMPUTE_PGM_RSRC2:TGID_X_EN: 1
; COMPUTE_PGM_RSRC2:TGID_Y_EN: 0
; COMPUTE_PGM_RSRC2:TGID_Z_EN: 0
; COMPUTE_PGM_RSRC2:TIDIG_COMP_CNT: 0
; COMPUTE_PGM_RSRC3_GFX90A:ACCUM_OFFSET: 5
; COMPUTE_PGM_RSRC3_GFX90A:TG_SPLIT: 0
	.section	.text._ZN2at6native12_GLOBAL__N_133GammaBetaBackwardSimpleCUDAKernelIN3c108BFloat16EfLb0EEEvllPKT_S7_PKT0_SA_PS5_SB_,"axG",@progbits,_ZN2at6native12_GLOBAL__N_133GammaBetaBackwardSimpleCUDAKernelIN3c108BFloat16EfLb0EEEvllPKT_S7_PKT0_SA_PS5_SB_,comdat
	.globl	_ZN2at6native12_GLOBAL__N_133GammaBetaBackwardSimpleCUDAKernelIN3c108BFloat16EfLb0EEEvllPKT_S7_PKT0_SA_PS5_SB_ ; -- Begin function _ZN2at6native12_GLOBAL__N_133GammaBetaBackwardSimpleCUDAKernelIN3c108BFloat16EfLb0EEEvllPKT_S7_PKT0_SA_PS5_SB_
	.p2align	8
	.type	_ZN2at6native12_GLOBAL__N_133GammaBetaBackwardSimpleCUDAKernelIN3c108BFloat16EfLb0EEEvllPKT_S7_PKT0_SA_PS5_SB_,@function
_ZN2at6native12_GLOBAL__N_133GammaBetaBackwardSimpleCUDAKernelIN3c108BFloat16EfLb0EEEvllPKT_S7_PKT0_SA_PS5_SB_: ; @_ZN2at6native12_GLOBAL__N_133GammaBetaBackwardSimpleCUDAKernelIN3c108BFloat16EfLb0EEEvllPKT_S7_PKT0_SA_PS5_SB_
; %bb.0:
	s_load_dword s3, s[0:1], 0x4c
	s_load_dwordx16 s[4:19], s[0:1], 0x0
	v_mov_b32_e32 v1, 0
	v_mov_b32_e32 v2, s2
	s_waitcnt lgkmcnt(0)
	s_and_b32 s0, s3, 0xffff
	v_mad_u64_u32 v[2:3], s[0:1], s0, v2, v[0:1]
	v_cmp_gt_i64_e32 vcc, s[6:7], v[2:3]
	s_and_saveexec_b64 s[0:1], vcc
	s_cbranch_execz .LBB95_13
; %bb.1:
	v_cmp_lt_i64_e64 s[0:1], s[4:5], 1
	s_and_b64 vcc, exec, s[0:1]
	v_mov_b32_e32 v0, 0
	s_cbranch_vccnz .LBB95_9
; %bb.2:
	s_cmp_lg_u64 s[16:17], 0
	s_cselect_b64 s[0:1], -1, 0
	s_cmp_lg_u64 s[18:19], 0
	s_cselect_b64 s[2:3], -1, 0
	v_cndmask_b32_e64 v0, 0, 1, s[0:1]
	v_cmp_ne_u32_e64 s[0:1], 1, v0
	v_cndmask_b32_e64 v0, 0, 1, s[2:3]
	v_lshlrev_b64 v[4:5], 1, v[2:3]
	s_lshl_b64 s[6:7], s[6:7], 1
	v_mov_b32_e32 v1, 0
	v_cmp_ne_u32_e64 s[2:3], 1, v0
	v_mov_b32_e32 v0, 0
	s_branch .LBB95_5
.LBB95_3:                               ;   in Loop: Header=BB95_5 Depth=1
	global_load_ushort v6, v[6:7], off
	s_waitcnt vmcnt(0)
	v_lshlrev_b32_e32 v6, 16, v6
.LBB95_4:                               ;   in Loop: Header=BB95_5 Depth=1
	s_add_u32 s4, s4, -1
	s_addc_u32 s5, s5, -1
	s_add_u32 s14, s14, 4
	s_addc_u32 s15, s15, 0
	s_add_u32 s12, s12, 4
	s_addc_u32 s13, s13, 0
	v_add_f32_e32 v1, v1, v8
	v_add_f32_e32 v0, v0, v6
	s_cmp_eq_u64 s[4:5], 0
	v_lshl_add_u64 v[4:5], v[4:5], 0, s[6:7]
	s_cbranch_scc1 .LBB95_9
.LBB95_5:                               ; =>This Inner Loop Header: Depth=1
	s_and_b64 vcc, exec, s[0:1]
	v_lshl_add_u64 v[6:7], s[8:9], 0, v[4:5]
	v_mov_b32_e32 v8, 0
	s_cbranch_vccnz .LBB95_7
; %bb.6:                                ;   in Loop: Header=BB95_5 Depth=1
	v_lshl_add_u64 v[8:9], s[10:11], 0, v[4:5]
	global_load_ushort v8, v[8:9], off
	s_waitcnt vmcnt(0)
	v_lshlrev_b32_e32 v8, 16, v8
	global_load_ushort v10, v[6:7], off
	s_load_dword s20, s[12:13], 0x0
	s_load_dword s21, s[14:15], 0x0
	s_waitcnt lgkmcnt(0)
	v_subrev_f32_e32 v8, s20, v8
	s_waitcnt vmcnt(0)
	v_lshlrev_b32_e32 v9, 16, v10
	v_mul_f32_e32 v8, v8, v9
	v_mul_f32_e32 v8, s21, v8
.LBB95_7:                               ;   in Loop: Header=BB95_5 Depth=1
	s_and_b64 vcc, exec, s[2:3]
	s_cbranch_vccz .LBB95_3
; %bb.8:                                ;   in Loop: Header=BB95_5 Depth=1
	v_mov_b32_e32 v6, 0
	s_branch .LBB95_4
.LBB95_9:
	s_cmp_lg_u64 s[16:17], 0
	s_cbranch_scc0 .LBB95_11
; %bb.10:
	v_bfe_u32 v4, v1, 16, 1
	s_movk_i32 s0, 0x7fff
	v_add3_u32 v4, v1, v4, s0
	v_cmp_o_f32_e32 vcc, v1, v1
	v_mov_b32_e32 v1, 0x7fc0
	s_nop 0
	v_cndmask_b32_sdwa v1, v1, v4, vcc dst_sel:DWORD dst_unused:UNUSED_PAD src0_sel:DWORD src1_sel:WORD_1
	v_lshl_add_u64 v[4:5], v[2:3], 1, s[16:17]
	global_store_short v[4:5], v1, off
.LBB95_11:
	s_cmp_eq_u64 s[18:19], 0
	s_cbranch_scc1 .LBB95_13
; %bb.12:
	v_bfe_u32 v1, v0, 16, 1
	s_movk_i32 s0, 0x7fff
	v_add3_u32 v1, v0, v1, s0
	v_cmp_o_f32_e32 vcc, v0, v0
	v_mov_b32_e32 v0, 0x7fc0
	s_nop 0
	v_cndmask_b32_sdwa v4, v0, v1, vcc dst_sel:DWORD dst_unused:UNUSED_PAD src0_sel:DWORD src1_sel:WORD_1
	v_lshl_add_u64 v[0:1], v[2:3], 1, s[18:19]
	global_store_short v[0:1], v4, off
.LBB95_13:
	s_endpgm
	.section	.rodata,"a",@progbits
	.p2align	6, 0x0
	.amdhsa_kernel _ZN2at6native12_GLOBAL__N_133GammaBetaBackwardSimpleCUDAKernelIN3c108BFloat16EfLb0EEEvllPKT_S7_PKT0_SA_PS5_SB_
		.amdhsa_group_segment_fixed_size 0
		.amdhsa_private_segment_fixed_size 0
		.amdhsa_kernarg_size 320
		.amdhsa_user_sgpr_count 2
		.amdhsa_user_sgpr_dispatch_ptr 0
		.amdhsa_user_sgpr_queue_ptr 0
		.amdhsa_user_sgpr_kernarg_segment_ptr 1
		.amdhsa_user_sgpr_dispatch_id 0
		.amdhsa_user_sgpr_kernarg_preload_length 0
		.amdhsa_user_sgpr_kernarg_preload_offset 0
		.amdhsa_user_sgpr_private_segment_size 0
		.amdhsa_uses_dynamic_stack 0
		.amdhsa_enable_private_segment 0
		.amdhsa_system_sgpr_workgroup_id_x 1
		.amdhsa_system_sgpr_workgroup_id_y 0
		.amdhsa_system_sgpr_workgroup_id_z 0
		.amdhsa_system_sgpr_workgroup_info 0
		.amdhsa_system_vgpr_workitem_id 0
		.amdhsa_next_free_vgpr 11
		.amdhsa_next_free_sgpr 22
		.amdhsa_accum_offset 12
		.amdhsa_reserve_vcc 1
		.amdhsa_float_round_mode_32 0
		.amdhsa_float_round_mode_16_64 0
		.amdhsa_float_denorm_mode_32 3
		.amdhsa_float_denorm_mode_16_64 3
		.amdhsa_dx10_clamp 1
		.amdhsa_ieee_mode 1
		.amdhsa_fp16_overflow 0
		.amdhsa_tg_split 0
		.amdhsa_exception_fp_ieee_invalid_op 0
		.amdhsa_exception_fp_denorm_src 0
		.amdhsa_exception_fp_ieee_div_zero 0
		.amdhsa_exception_fp_ieee_overflow 0
		.amdhsa_exception_fp_ieee_underflow 0
		.amdhsa_exception_fp_ieee_inexact 0
		.amdhsa_exception_int_div_zero 0
	.end_amdhsa_kernel
	.section	.text._ZN2at6native12_GLOBAL__N_133GammaBetaBackwardSimpleCUDAKernelIN3c108BFloat16EfLb0EEEvllPKT_S7_PKT0_SA_PS5_SB_,"axG",@progbits,_ZN2at6native12_GLOBAL__N_133GammaBetaBackwardSimpleCUDAKernelIN3c108BFloat16EfLb0EEEvllPKT_S7_PKT0_SA_PS5_SB_,comdat
.Lfunc_end95:
	.size	_ZN2at6native12_GLOBAL__N_133GammaBetaBackwardSimpleCUDAKernelIN3c108BFloat16EfLb0EEEvllPKT_S7_PKT0_SA_PS5_SB_, .Lfunc_end95-_ZN2at6native12_GLOBAL__N_133GammaBetaBackwardSimpleCUDAKernelIN3c108BFloat16EfLb0EEEvllPKT_S7_PKT0_SA_PS5_SB_
                                        ; -- End function
	.set _ZN2at6native12_GLOBAL__N_133GammaBetaBackwardSimpleCUDAKernelIN3c108BFloat16EfLb0EEEvllPKT_S7_PKT0_SA_PS5_SB_.num_vgpr, 11
	.set _ZN2at6native12_GLOBAL__N_133GammaBetaBackwardSimpleCUDAKernelIN3c108BFloat16EfLb0EEEvllPKT_S7_PKT0_SA_PS5_SB_.num_agpr, 0
	.set _ZN2at6native12_GLOBAL__N_133GammaBetaBackwardSimpleCUDAKernelIN3c108BFloat16EfLb0EEEvllPKT_S7_PKT0_SA_PS5_SB_.numbered_sgpr, 22
	.set _ZN2at6native12_GLOBAL__N_133GammaBetaBackwardSimpleCUDAKernelIN3c108BFloat16EfLb0EEEvllPKT_S7_PKT0_SA_PS5_SB_.num_named_barrier, 0
	.set _ZN2at6native12_GLOBAL__N_133GammaBetaBackwardSimpleCUDAKernelIN3c108BFloat16EfLb0EEEvllPKT_S7_PKT0_SA_PS5_SB_.private_seg_size, 0
	.set _ZN2at6native12_GLOBAL__N_133GammaBetaBackwardSimpleCUDAKernelIN3c108BFloat16EfLb0EEEvllPKT_S7_PKT0_SA_PS5_SB_.uses_vcc, 1
	.set _ZN2at6native12_GLOBAL__N_133GammaBetaBackwardSimpleCUDAKernelIN3c108BFloat16EfLb0EEEvllPKT_S7_PKT0_SA_PS5_SB_.uses_flat_scratch, 0
	.set _ZN2at6native12_GLOBAL__N_133GammaBetaBackwardSimpleCUDAKernelIN3c108BFloat16EfLb0EEEvllPKT_S7_PKT0_SA_PS5_SB_.has_dyn_sized_stack, 0
	.set _ZN2at6native12_GLOBAL__N_133GammaBetaBackwardSimpleCUDAKernelIN3c108BFloat16EfLb0EEEvllPKT_S7_PKT0_SA_PS5_SB_.has_recursion, 0
	.set _ZN2at6native12_GLOBAL__N_133GammaBetaBackwardSimpleCUDAKernelIN3c108BFloat16EfLb0EEEvllPKT_S7_PKT0_SA_PS5_SB_.has_indirect_call, 0
	.section	.AMDGPU.csdata,"",@progbits
; Kernel info:
; codeLenInByte = 460
; TotalNumSgprs: 28
; NumVgprs: 11
; NumAgprs: 0
; TotalNumVgprs: 11
; ScratchSize: 0
; MemoryBound: 0
; FloatMode: 240
; IeeeMode: 1
; LDSByteSize: 0 bytes/workgroup (compile time only)
; SGPRBlocks: 3
; VGPRBlocks: 1
; NumSGPRsForWavesPerEU: 28
; NumVGPRsForWavesPerEU: 11
; AccumOffset: 12
; Occupancy: 8
; WaveLimiterHint : 0
; COMPUTE_PGM_RSRC2:SCRATCH_EN: 0
; COMPUTE_PGM_RSRC2:USER_SGPR: 2
; COMPUTE_PGM_RSRC2:TRAP_HANDLER: 0
; COMPUTE_PGM_RSRC2:TGID_X_EN: 1
; COMPUTE_PGM_RSRC2:TGID_Y_EN: 0
; COMPUTE_PGM_RSRC2:TGID_Z_EN: 0
; COMPUTE_PGM_RSRC2:TIDIG_COMP_CNT: 0
; COMPUTE_PGM_RSRC3_GFX90A:ACCUM_OFFSET: 2
; COMPUTE_PGM_RSRC3_GFX90A:TG_SPLIT: 0
	.section	.text._ZN2at6native12_GLOBAL__N_135GammaBetaBackwardCUDAKernelTemplateIN3c108BFloat16EfLj64ELj1ELj32ELb1ELb1ELb0EEEvllPKT_S7_PKT0_SA_PS5_SB_,"axG",@progbits,_ZN2at6native12_GLOBAL__N_135GammaBetaBackwardCUDAKernelTemplateIN3c108BFloat16EfLj64ELj1ELj32ELb1ELb1ELb0EEEvllPKT_S7_PKT0_SA_PS5_SB_,comdat
	.globl	_ZN2at6native12_GLOBAL__N_135GammaBetaBackwardCUDAKernelTemplateIN3c108BFloat16EfLj64ELj1ELj32ELb1ELb1ELb0EEEvllPKT_S7_PKT0_SA_PS5_SB_ ; -- Begin function _ZN2at6native12_GLOBAL__N_135GammaBetaBackwardCUDAKernelTemplateIN3c108BFloat16EfLj64ELj1ELj32ELb1ELb1ELb0EEEvllPKT_S7_PKT0_SA_PS5_SB_
	.p2align	8
	.type	_ZN2at6native12_GLOBAL__N_135GammaBetaBackwardCUDAKernelTemplateIN3c108BFloat16EfLj64ELj1ELj32ELb1ELb1ELb0EEEvllPKT_S7_PKT0_SA_PS5_SB_,@function
_ZN2at6native12_GLOBAL__N_135GammaBetaBackwardCUDAKernelTemplateIN3c108BFloat16EfLj64ELj1ELj32ELb1ELb1ELb0EEEvllPKT_S7_PKT0_SA_PS5_SB_: ; @_ZN2at6native12_GLOBAL__N_135GammaBetaBackwardCUDAKernelTemplateIN3c108BFloat16EfLj64ELj1ELj32ELb1ELb1ELb0EEEvllPKT_S7_PKT0_SA_PS5_SB_
; %bb.0:
	s_load_dwordx4 s[16:19], s[0:1], 0x0
	s_lshl_b32 s6, s3, 5
	s_mov_b32 s7, 0
	v_mov_b64_e32 v[2:3], s[6:7]
	s_mov_b32 s4, s3
	s_waitcnt lgkmcnt(0)
	v_cmp_gt_i64_e32 vcc, s[16:17], v[2:3]
	v_bfe_u32 v1, v0, 10, 10
	s_cbranch_vccnz .LBB96_2
; %bb.1:
	s_add_u32 s24, s0, 64
	s_addc_u32 s25, s1, 0
	s_mov_b64 s[8:9], 0
	v_bfe_u32 v2, v0, 10, 10
	s_branch .LBB96_3
.LBB96_2:
	s_mov_b64 s[8:9], -1
                                        ; implicit-def: $sgpr24_sgpr25
                                        ; implicit-def: $vgpr2
.LBB96_3:
	s_load_dwordx4 s[20:23], s[0:1], 0x30
	v_mov_b32_e32 v9, 0
	v_and_b32_e32 v0, 0x3ff, v0
	s_andn2_b64 vcc, exec, s[8:9]
	v_mov_b32_e32 v8, v9
	s_cbranch_vccnz .LBB96_11
; %bb.4:
	s_load_dword s3, s[0:1], 0x4c
	s_load_dword s5, s[0:1], 0x44
	s_load_dwordx8 s[8:15], s[0:1], 0x10
	s_add_u32 s24, s0, 64
	s_addc_u32 s25, s1, 0
	s_waitcnt lgkmcnt(0)
	s_and_b32 s0, s3, 0xffff
	v_mad_u32_u24 v2, v1, s0, v0
	v_lshlrev_b32_e32 v8, 5, v1
	v_mov_b32_e32 v9, 0
	v_mbcnt_lo_u32_b32 v4, -1, 0
	v_and_b32_e32 v2, 63, v2
	v_mov_b32_e32 v3, v9
	v_mbcnt_hi_u32_b32 v4, -1, v4
	s_lshl_b32 s26, s5, 5
	v_lshl_add_u64 v[42:43], v[8:9], 0, s[6:7]
	v_cmp_gt_u32_e64 s[0:1], 32, v2
	v_lshl_add_u32 v6, s2, 6, v0
	v_mov_b32_e32 v7, v9
	v_lshlrev_b32_e32 v4, 2, v4
	v_lshl_add_u64 v[2:3], v[42:43], 0, v[2:3]
	v_mul_lo_u32 v8, s19, v42
	v_mul_lo_u32 v44, s18, v43
	v_mad_u64_u32 v[42:43], s[30:31], s18, v42, 0
	s_mul_i32 s3, s19, s26
	s_mul_hi_u32 s5, s18, s26
	s_mov_b32 s27, 0
	v_and_b32_e32 v10, 0x100, v4
	v_add3_u32 v43, v43, v44, v8
	v_lshlrev_b64 v[6:7], 1, v[6:7]
	s_add_i32 s31, s5, s3
	s_mul_i32 s30, s18, s26
	v_or_b32_e32 v11, 4, v10
	v_or_b32_e32 v12, 8, v10
	;; [unrolled: 1-line block ×31, first 2 shown]
	v_lshlrev_b64 v[4:5], 2, v[2:3]
	s_lshl_b64 s[28:29], s[26:27], 2
	v_lshl_add_u64 v[6:7], v[42:43], 1, v[6:7]
	s_lshl_b64 s[30:31], s[30:31], 1
	s_lshl_b64 s[34:35], s[18:19], 1
	v_mov_b32_e32 v8, v9
	s_branch .LBB96_7
.LBB96_5:                               ;   in Loop: Header=BB96_7 Depth=1
	s_or_b64 exec, exec, s[38:39]
.LBB96_6:                               ;   in Loop: Header=BB96_7 Depth=1
	s_or_b64 exec, exec, s[36:37]
	v_lshl_add_u64 v[44:45], s[10:11], 0, v[6:7]
	global_load_ushort v48, v[44:45], off
	v_lshl_add_u64 v[46:47], s[8:9], 0, v[6:7]
	global_load_ushort v49, v[46:47], off
	;; [unrolled: 2-line block ×18, first 2 shown]
	v_lshl_add_u64 v[44:45], v[44:45], 0, s[34:35]
	v_lshl_add_u64 v[46:47], v[46:47], 0, s[34:35]
	global_load_ushort v68, v[44:45], off
	global_load_ushort v69, v[46:47], off
	s_waitcnt vmcnt(21)
	ds_bpermute_b32 v64, v10, v43
	s_waitcnt vmcnt(20)
	ds_bpermute_b32 v67, v10, v42
	v_lshl_add_u64 v[44:45], v[44:45], 0, s[34:35]
	v_lshl_add_u64 v[46:47], v[46:47], 0, s[34:35]
	s_add_u32 s6, s6, s26
	s_addc_u32 s7, s7, 0
	v_lshl_add_u64 v[4:5], v[4:5], 0, s[28:29]
	v_lshl_add_u64 v[2:3], v[2:3], 0, s[26:27]
	;; [unrolled: 1-line block ×3, first 2 shown]
	s_waitcnt vmcnt(19)
	v_lshlrev_b32_e32 v48, 16, v48
	s_waitcnt lgkmcnt(1)
	v_sub_f32_e32 v64, v48, v64
	s_waitcnt vmcnt(18)
	v_lshlrev_b32_e32 v48, 16, v49
	v_mul_f32_e32 v49, v64, v48
	ds_bpermute_b32 v64, v11, v43
	s_waitcnt vmcnt(17)
	v_lshlrev_b32_e32 v50, 16, v50
	s_waitcnt lgkmcnt(1)
	v_mul_f32_e32 v49, v49, v67
	ds_bpermute_b32 v67, v11, v42
	s_waitcnt vmcnt(15)
	v_lshlrev_b32_e32 v52, 16, v52
	s_waitcnt lgkmcnt(1)
	v_sub_f32_e32 v64, v50, v64
	v_lshlrev_b32_e32 v50, 16, v51
	v_mul_f32_e32 v51, v64, v50
	ds_bpermute_b32 v64, v12, v43
	s_waitcnt lgkmcnt(1)
	v_mul_f32_e32 v51, v51, v67
	ds_bpermute_b32 v67, v12, v42
	s_waitcnt vmcnt(13)
	v_lshlrev_b32_e32 v54, 16, v54
	s_waitcnt vmcnt(11)
	v_lshlrev_b32_e32 v56, 16, v56
	s_waitcnt lgkmcnt(1)
	v_sub_f32_e32 v64, v52, v64
	v_lshlrev_b32_e32 v52, 16, v53
	v_mul_f32_e32 v53, v64, v52
	ds_bpermute_b32 v64, v13, v43
	s_waitcnt lgkmcnt(1)
	v_mul_f32_e32 v53, v53, v67
	ds_bpermute_b32 v67, v13, v42
	s_waitcnt vmcnt(9)
	v_lshlrev_b32_e32 v58, 16, v58
	;; [unrolled: 12-line block ×4, first 2 shown]
	v_pk_add_f32 v[8:9], v[8:9], v[48:49]
	s_waitcnt lgkmcnt(1)
	v_sub_f32_e32 v64, v58, v64
	v_lshlrev_b32_e32 v58, 16, v59
	v_mul_f32_e32 v59, v64, v58
	ds_bpermute_b32 v64, v16, v43
	s_waitcnt lgkmcnt(1)
	v_mul_f32_e32 v59, v59, v67
	ds_bpermute_b32 v67, v16, v42
	v_pk_add_f32 v[8:9], v[8:9], v[50:51]
	ds_bpermute_b32 v48, v20, v43
	s_waitcnt lgkmcnt(2)
	v_sub_f32_e32 v64, v60, v64
	v_lshlrev_b32_e32 v60, 16, v61
	v_mul_f32_e32 v61, v64, v60
	ds_bpermute_b32 v64, v17, v43
	s_waitcnt lgkmcnt(2)
	v_mul_f32_e32 v61, v61, v67
	ds_bpermute_b32 v67, v17, v42
	v_pk_add_f32 v[8:9], v[8:9], v[52:53]
	ds_bpermute_b32 v49, v20, v42
	;; [unrolled: 10-line block ×3, first 2 shown]
	s_waitcnt lgkmcnt(2)
	v_sub_f32_e32 v65, v65, v64
	v_lshlrev_b32_e32 v64, 16, v66
	ds_bpermute_b32 v66, v19, v43
	v_mul_f32_e32 v65, v65, v64
	s_waitcnt lgkmcnt(2)
	v_mul_f32_e32 v65, v65, v67
	ds_bpermute_b32 v67, v19, v42
	v_pk_add_f32 v[8:9], v[8:9], v[56:57]
	s_waitcnt lgkmcnt(1)
	v_sub_f32_e32 v68, v68, v66
	s_waitcnt vmcnt(0)
	v_lshlrev_b32_e32 v66, 16, v69
	v_mul_f32_e32 v68, v68, v66
	s_waitcnt lgkmcnt(0)
	v_mul_f32_e32 v67, v68, v67
	global_load_ushort v68, v[44:45], off
	global_load_ushort v69, v[46:47], off
	v_lshl_add_u64 v[44:45], v[44:45], 0, s[34:35]
	global_load_ushort v70, v[44:45], off
	v_lshl_add_u64 v[46:47], v[46:47], 0, s[34:35]
	;; [unrolled: 2-line block ×14, first 2 shown]
	global_load_ushort v83, v[46:47], off
	v_pk_add_f32 v[8:9], v[8:9], v[58:59]
	v_lshl_add_u64 v[44:45], v[44:45], 0, s[34:35]
	v_pk_add_f32 v[8:9], v[8:9], v[60:61]
	v_lshl_add_u64 v[46:47], v[46:47], 0, s[34:35]
	v_pk_add_f32 v[8:9], v[8:9], v[62:63]
	ds_bpermute_b32 v53, v22, v42
	v_pk_add_f32 v[8:9], v[8:9], v[64:65]
	global_load_ushort v64, v[44:45], off
	global_load_ushort v65, v[46:47], off
	v_lshl_add_u64 v[44:45], v[44:45], 0, s[34:35]
	v_pk_add_f32 v[8:9], v[8:9], v[66:67]
	global_load_ushort v66, v[44:45], off
	v_lshl_add_u64 v[46:47], v[46:47], 0, s[34:35]
	global_load_ushort v67, v[46:47], off
	ds_bpermute_b32 v55, v23, v42
	ds_bpermute_b32 v57, v24, v42
	;; [unrolled: 1-line block ×5, first 2 shown]
	v_lshl_add_u64 v[44:45], v[44:45], 0, s[34:35]
	v_lshl_add_u64 v[46:47], v[46:47], 0, s[34:35]
	s_waitcnt vmcnt(19)
	v_lshlrev_b32_e32 v50, 16, v68
	v_sub_f32_e32 v50, v50, v48
	s_waitcnt vmcnt(18)
	v_lshlrev_b32_e32 v48, 16, v69
	v_mul_f32_e32 v50, v50, v48
	v_mul_f32_e32 v49, v50, v49
	ds_bpermute_b32 v50, v21, v43
	s_waitcnt vmcnt(17)
	v_lshlrev_b32_e32 v52, 16, v70
	s_waitcnt vmcnt(15)
	v_lshlrev_b32_e32 v54, 16, v72
	ds_bpermute_b32 v69, v28, v42
	v_pk_add_f32 v[8:9], v[8:9], v[48:49]
	s_waitcnt lgkmcnt(1)
	v_sub_f32_e32 v52, v52, v50
	v_lshlrev_b32_e32 v50, 16, v71
	v_mul_f32_e32 v52, v52, v50
	v_mul_f32_e32 v51, v52, v51
	ds_bpermute_b32 v52, v22, v43
	s_waitcnt vmcnt(13)
	v_lshlrev_b32_e32 v56, 16, v74
	s_waitcnt vmcnt(11)
	v_lshlrev_b32_e32 v58, 16, v76
	v_pk_add_f32 v[8:9], v[8:9], v[50:51]
	ds_bpermute_b32 v70, v30, v42
	s_waitcnt lgkmcnt(1)
	v_sub_f32_e32 v54, v54, v52
	v_lshlrev_b32_e32 v52, 16, v73
	v_mul_f32_e32 v54, v54, v52
	v_mul_f32_e32 v53, v54, v53
	ds_bpermute_b32 v54, v23, v43
	s_waitcnt vmcnt(9)
	v_lshlrev_b32_e32 v60, 16, v78
	s_waitcnt vmcnt(7)
	v_lshlrev_b32_e32 v62, 16, v80
	v_pk_add_f32 v[8:9], v[8:9], v[52:53]
	s_waitcnt vmcnt(5)
	v_lshlrev_b32_e32 v68, 16, v82
	s_waitcnt lgkmcnt(0)
	v_sub_f32_e32 v56, v56, v54
	v_lshlrev_b32_e32 v54, 16, v75
	v_mul_f32_e32 v56, v56, v54
	v_mul_f32_e32 v55, v56, v55
	ds_bpermute_b32 v56, v24, v43
	v_pk_add_f32 v[8:9], v[8:9], v[54:55]
	s_waitcnt lgkmcnt(0)
	v_sub_f32_e32 v58, v58, v56
	v_lshlrev_b32_e32 v56, 16, v77
	v_mul_f32_e32 v58, v58, v56
	v_mul_f32_e32 v57, v58, v57
	ds_bpermute_b32 v58, v25, v43
	s_waitcnt vmcnt(3)
	v_lshlrev_b32_e32 v64, 16, v64
	s_waitcnt vmcnt(1)
	v_lshlrev_b32_e32 v66, 16, v66
	v_pk_add_f32 v[8:9], v[8:9], v[56:57]
	s_waitcnt lgkmcnt(0)
	v_sub_f32_e32 v60, v60, v58
	v_lshlrev_b32_e32 v58, 16, v79
	v_mul_f32_e32 v60, v60, v58
	v_mul_f32_e32 v59, v60, v59
	ds_bpermute_b32 v60, v26, v43
	v_pk_add_f32 v[8:9], v[8:9], v[58:59]
	s_waitcnt lgkmcnt(0)
	v_sub_f32_e32 v62, v62, v60
	v_lshlrev_b32_e32 v60, 16, v81
	v_mul_f32_e32 v62, v62, v60
	v_mul_f32_e32 v61, v62, v61
	ds_bpermute_b32 v62, v27, v43
	;; [unrolled: 7-line block ×3, first 2 shown]
	v_pk_add_f32 v[8:9], v[8:9], v[62:63]
	s_waitcnt lgkmcnt(0)
	v_sub_f32_e32 v68, v64, v68
	v_lshlrev_b32_e32 v64, 16, v65
	v_mul_f32_e32 v65, v68, v64
	ds_bpermute_b32 v68, v29, v43
	v_mul_f32_e32 v65, v65, v69
	ds_bpermute_b32 v69, v29, v42
	v_pk_add_f32 v[8:9], v[8:9], v[64:65]
	s_waitcnt lgkmcnt(1)
	v_sub_f32_e32 v68, v66, v68
	s_waitcnt vmcnt(0)
	v_lshlrev_b32_e32 v66, 16, v67
	v_mul_f32_e32 v67, v68, v66
	global_load_ushort v68, v[44:45], off
	s_waitcnt lgkmcnt(0)
	v_mul_f32_e32 v67, v67, v69
	ds_bpermute_b32 v69, v30, v43
	v_lshl_add_u64 v[44:45], v[44:45], 0, s[34:35]
	global_load_ushort v48, v[44:45], off
	v_lshl_add_u64 v[44:45], v[44:45], 0, s[34:35]
	global_load_ushort v50, v[44:45], off
	;; [unrolled: 2-line block ×9, first 2 shown]
	v_lshl_add_u64 v[44:45], v[44:45], 0, s[34:35]
	v_pk_add_f32 v[8:9], v[8:9], v[66:67]
	global_load_ushort v66, v[44:45], off
	v_lshl_add_u64 v[44:45], v[44:45], 0, s[34:35]
	global_load_ushort v71, v[44:45], off
	ds_bpermute_b32 v44, v31, v43
	ds_bpermute_b32 v45, v31, v42
	s_waitcnt vmcnt(11)
	v_lshlrev_b32_e32 v68, 16, v68
	s_waitcnt lgkmcnt(2)
	v_sub_f32_e32 v69, v68, v69
	global_load_ushort v68, v[46:47], off
	v_lshl_add_u64 v[46:47], v[46:47], 0, s[34:35]
	global_load_ushort v49, v[46:47], off
	v_lshl_add_u64 v[46:47], v[46:47], 0, s[34:35]
	;; [unrolled: 2-line block ×11, first 2 shown]
	s_waitcnt vmcnt(10)
	v_lshlrev_b32_e32 v68, 16, v68
	v_mul_f32_e32 v69, v69, v68
	v_mul_f32_e32 v69, v69, v70
	global_load_ushort v70, v[46:47], off
	ds_bpermute_b32 v47, v32, v43
	v_lshlrev_b32_e32 v46, 16, v48
	s_waitcnt lgkmcnt(2)
	v_sub_f32_e32 v46, v46, v44
	s_waitcnt vmcnt(10)
	v_lshlrev_b32_e32 v44, 16, v49
	ds_bpermute_b32 v48, v32, v42
	v_mul_f32_e32 v46, v46, v44
	ds_bpermute_b32 v49, v33, v43
	s_waitcnt lgkmcnt(3)
	v_mul_f32_e32 v45, v46, v45
	v_lshlrev_b32_e32 v46, 16, v50
	s_waitcnt lgkmcnt(2)
	v_sub_f32_e32 v47, v46, v47
	s_waitcnt vmcnt(9)
	v_lshlrev_b32_e32 v46, 16, v51
	ds_bpermute_b32 v50, v33, v42
	v_mul_f32_e32 v47, v47, v46
	ds_bpermute_b32 v51, v34, v43
	s_waitcnt lgkmcnt(3)
	v_mul_f32_e32 v47, v47, v48
	;; [unrolled: 10-line block ×6, first 2 shown]
	v_lshlrev_b32_e32 v56, 16, v60
	s_waitcnt lgkmcnt(2)
	v_sub_f32_e32 v57, v56, v57
	s_waitcnt vmcnt(4)
	v_lshlrev_b32_e32 v56, 16, v61
	ds_bpermute_b32 v60, v38, v42
	v_mul_f32_e32 v57, v57, v56
	ds_bpermute_b32 v61, v39, v43
	v_pk_add_f32 v[8:9], v[8:9], v[68:69]
	s_waitcnt lgkmcnt(3)
	v_mul_f32_e32 v57, v57, v58
	v_lshlrev_b32_e32 v58, 16, v62
	s_waitcnt lgkmcnt(2)
	v_sub_f32_e32 v59, v58, v59
	s_waitcnt vmcnt(3)
	v_lshlrev_b32_e32 v58, 16, v63
	ds_bpermute_b32 v62, v39, v42
	v_pk_add_f32 v[8:9], v[8:9], v[44:45]
	v_mul_f32_e32 v59, v59, v58
	ds_bpermute_b32 v63, v40, v43
	v_pk_add_f32 v[8:9], v[8:9], v[46:47]
	ds_bpermute_b32 v43, v41, v43
	s_waitcnt lgkmcnt(4)
	v_mul_f32_e32 v59, v59, v60
	v_lshlrev_b32_e32 v60, 16, v64
	v_pk_add_f32 v[8:9], v[8:9], v[48:49]
	s_waitcnt lgkmcnt(3)
	v_sub_f32_e32 v61, v60, v61
	s_waitcnt vmcnt(2)
	v_lshlrev_b32_e32 v60, 16, v65
	ds_bpermute_b32 v64, v40, v42
	v_pk_add_f32 v[8:9], v[8:9], v[50:51]
	ds_bpermute_b32 v42, v41, v42
	v_mul_f32_e32 v61, v61, v60
	v_pk_add_f32 v[8:9], v[8:9], v[52:53]
	s_waitcnt lgkmcnt(4)
	v_mul_f32_e32 v61, v61, v62
	v_lshlrev_b32_e32 v62, 16, v66
	v_pk_add_f32 v[8:9], v[8:9], v[54:55]
	v_lshlrev_b32_e32 v45, 16, v71
	s_waitcnt lgkmcnt(3)
	v_sub_f32_e32 v63, v62, v63
	s_waitcnt vmcnt(1)
	v_lshlrev_b32_e32 v62, 16, v67
	v_pk_add_f32 v[8:9], v[8:9], v[56:57]
	s_waitcnt lgkmcnt(2)
	v_sub_f32_e32 v43, v45, v43
	v_mul_f32_e32 v63, v63, v62
	s_waitcnt vmcnt(0)
	v_lshlrev_b32_e32 v44, 16, v70
	v_pk_add_f32 v[8:9], v[8:9], v[58:59]
	v_mul_f32_e32 v43, v43, v44
	s_waitcnt lgkmcnt(1)
	v_mul_f32_e32 v63, v63, v64
	v_pk_add_f32 v[8:9], v[8:9], v[60:61]
	s_waitcnt lgkmcnt(0)
	v_mul_f32_e32 v45, v43, v42
	v_mov_b64_e32 v[42:43], s[16:17]
	v_pk_add_f32 v[8:9], v[8:9], v[62:63]
	v_cmp_lt_i64_e32 vcc, s[6:7], v[42:43]
	v_pk_add_f32 v[8:9], v[8:9], v[44:45]
	s_cbranch_vccz .LBB96_10
.LBB96_7:                               ; =>This Inner Loop Header: Depth=1
	v_mov_b32_e32 v42, 0
	v_mov_b32_e32 v43, 0
	s_and_saveexec_b64 s[36:37], s[0:1]
	s_cbranch_execz .LBB96_6
; %bb.8:                                ;   in Loop: Header=BB96_7 Depth=1
	v_cmp_gt_i64_e32 vcc, s[16:17], v[2:3]
	v_mov_b32_e32 v43, 0
	v_mov_b32_e32 v42, 0
	s_and_saveexec_b64 s[38:39], vcc
	s_cbranch_execz .LBB96_5
; %bb.9:                                ;   in Loop: Header=BB96_7 Depth=1
	v_lshl_add_u64 v[46:47], s[12:13], 0, v[4:5]
	v_lshl_add_u64 v[44:45], s[14:15], 0, v[4:5]
	global_load_dword v43, v[46:47], off
	global_load_dword v42, v[44:45], off
	s_branch .LBB96_5
.LBB96_10:
	v_mov_b32_e32 v2, v1
.LBB96_11:
	s_load_dword s5, s[24:25], 0xc
	s_mov_b32 s3, 0
	v_mov_b32_e32 v1, 0
	s_lshl_b64 s[0:1], s[2:3], 6
	v_lshl_add_u64 v[4:5], s[0:1], 0, v[0:1]
	s_waitcnt lgkmcnt(0)
	s_lshr_b32 s0, s5, 16
	v_mov_b32_e32 v3, v1
	v_mov_b32_e32 v0, s4
	v_mad_u64_u32 v[0:1], s[0:1], s0, v0, v[2:3]
	s_cmp_eq_u64 s[20:21], 0
	v_mul_lo_u32 v1, v1, s18
	v_mul_lo_u32 v2, v0, s19
	s_cbranch_scc1 .LBB96_13
; %bb.12:
	v_bfe_u32 v3, v9, 16, 1
	s_movk_i32 s0, 0x7fff
	v_add3_u32 v3, v9, v3, s0
	v_cmp_o_f32_e32 vcc, v9, v9
	v_mov_b32_e32 v6, 0x7fc0
	s_nop 0
	v_cndmask_b32_sdwa v3, v6, v3, vcc dst_sel:DWORD dst_unused:UNUSED_PAD src0_sel:DWORD src1_sel:WORD_1
	v_mad_u64_u32 v[6:7], s[0:1], v0, s18, 0
	v_add3_u32 v7, v7, v2, v1
	v_lshl_add_u64 v[6:7], v[6:7], 1, s[20:21]
	v_lshl_add_u64 v[6:7], v[4:5], 1, v[6:7]
	global_store_short v[6:7], v3, off
.LBB96_13:
	s_cmp_eq_u64 s[22:23], 0
	s_cbranch_scc1 .LBB96_15
; %bb.14:
	v_bfe_u32 v3, v8, 16, 1
	s_movk_i32 s0, 0x7fff
	v_add3_u32 v3, v8, v3, s0
	v_cmp_o_f32_e32 vcc, v8, v8
	v_mov_b32_e32 v6, 0x7fc0
	s_nop 0
	v_cndmask_b32_sdwa v3, v6, v3, vcc dst_sel:DWORD dst_unused:UNUSED_PAD src0_sel:DWORD src1_sel:WORD_1
	v_mad_u64_u32 v[6:7], s[0:1], v0, s18, 0
	v_add3_u32 v7, v7, v2, v1
	v_lshl_add_u64 v[0:1], v[6:7], 1, s[22:23]
	v_lshl_add_u64 v[0:1], v[4:5], 1, v[0:1]
	global_store_short v[0:1], v3, off
.LBB96_15:
	s_endpgm
	.section	.rodata,"a",@progbits
	.p2align	6, 0x0
	.amdhsa_kernel _ZN2at6native12_GLOBAL__N_135GammaBetaBackwardCUDAKernelTemplateIN3c108BFloat16EfLj64ELj1ELj32ELb1ELb1ELb0EEEvllPKT_S7_PKT0_SA_PS5_SB_
		.amdhsa_group_segment_fixed_size 0
		.amdhsa_private_segment_fixed_size 0
		.amdhsa_kernarg_size 320
		.amdhsa_user_sgpr_count 2
		.amdhsa_user_sgpr_dispatch_ptr 0
		.amdhsa_user_sgpr_queue_ptr 0
		.amdhsa_user_sgpr_kernarg_segment_ptr 1
		.amdhsa_user_sgpr_dispatch_id 0
		.amdhsa_user_sgpr_kernarg_preload_length 0
		.amdhsa_user_sgpr_kernarg_preload_offset 0
		.amdhsa_user_sgpr_private_segment_size 0
		.amdhsa_uses_dynamic_stack 0
		.amdhsa_enable_private_segment 0
		.amdhsa_system_sgpr_workgroup_id_x 1
		.amdhsa_system_sgpr_workgroup_id_y 1
		.amdhsa_system_sgpr_workgroup_id_z 0
		.amdhsa_system_sgpr_workgroup_info 0
		.amdhsa_system_vgpr_workitem_id 1
		.amdhsa_next_free_vgpr 84
		.amdhsa_next_free_sgpr 40
		.amdhsa_accum_offset 84
		.amdhsa_reserve_vcc 1
		.amdhsa_float_round_mode_32 0
		.amdhsa_float_round_mode_16_64 0
		.amdhsa_float_denorm_mode_32 3
		.amdhsa_float_denorm_mode_16_64 3
		.amdhsa_dx10_clamp 1
		.amdhsa_ieee_mode 1
		.amdhsa_fp16_overflow 0
		.amdhsa_tg_split 0
		.amdhsa_exception_fp_ieee_invalid_op 0
		.amdhsa_exception_fp_denorm_src 0
		.amdhsa_exception_fp_ieee_div_zero 0
		.amdhsa_exception_fp_ieee_overflow 0
		.amdhsa_exception_fp_ieee_underflow 0
		.amdhsa_exception_fp_ieee_inexact 0
		.amdhsa_exception_int_div_zero 0
	.end_amdhsa_kernel
	.section	.text._ZN2at6native12_GLOBAL__N_135GammaBetaBackwardCUDAKernelTemplateIN3c108BFloat16EfLj64ELj1ELj32ELb1ELb1ELb0EEEvllPKT_S7_PKT0_SA_PS5_SB_,"axG",@progbits,_ZN2at6native12_GLOBAL__N_135GammaBetaBackwardCUDAKernelTemplateIN3c108BFloat16EfLj64ELj1ELj32ELb1ELb1ELb0EEEvllPKT_S7_PKT0_SA_PS5_SB_,comdat
.Lfunc_end96:
	.size	_ZN2at6native12_GLOBAL__N_135GammaBetaBackwardCUDAKernelTemplateIN3c108BFloat16EfLj64ELj1ELj32ELb1ELb1ELb0EEEvllPKT_S7_PKT0_SA_PS5_SB_, .Lfunc_end96-_ZN2at6native12_GLOBAL__N_135GammaBetaBackwardCUDAKernelTemplateIN3c108BFloat16EfLj64ELj1ELj32ELb1ELb1ELb0EEEvllPKT_S7_PKT0_SA_PS5_SB_
                                        ; -- End function
	.set _ZN2at6native12_GLOBAL__N_135GammaBetaBackwardCUDAKernelTemplateIN3c108BFloat16EfLj64ELj1ELj32ELb1ELb1ELb0EEEvllPKT_S7_PKT0_SA_PS5_SB_.num_vgpr, 84
	.set _ZN2at6native12_GLOBAL__N_135GammaBetaBackwardCUDAKernelTemplateIN3c108BFloat16EfLj64ELj1ELj32ELb1ELb1ELb0EEEvllPKT_S7_PKT0_SA_PS5_SB_.num_agpr, 0
	.set _ZN2at6native12_GLOBAL__N_135GammaBetaBackwardCUDAKernelTemplateIN3c108BFloat16EfLj64ELj1ELj32ELb1ELb1ELb0EEEvllPKT_S7_PKT0_SA_PS5_SB_.numbered_sgpr, 40
	.set _ZN2at6native12_GLOBAL__N_135GammaBetaBackwardCUDAKernelTemplateIN3c108BFloat16EfLj64ELj1ELj32ELb1ELb1ELb0EEEvllPKT_S7_PKT0_SA_PS5_SB_.num_named_barrier, 0
	.set _ZN2at6native12_GLOBAL__N_135GammaBetaBackwardCUDAKernelTemplateIN3c108BFloat16EfLj64ELj1ELj32ELb1ELb1ELb0EEEvllPKT_S7_PKT0_SA_PS5_SB_.private_seg_size, 0
	.set _ZN2at6native12_GLOBAL__N_135GammaBetaBackwardCUDAKernelTemplateIN3c108BFloat16EfLj64ELj1ELj32ELb1ELb1ELb0EEEvllPKT_S7_PKT0_SA_PS5_SB_.uses_vcc, 1
	.set _ZN2at6native12_GLOBAL__N_135GammaBetaBackwardCUDAKernelTemplateIN3c108BFloat16EfLj64ELj1ELj32ELb1ELb1ELb0EEEvllPKT_S7_PKT0_SA_PS5_SB_.uses_flat_scratch, 0
	.set _ZN2at6native12_GLOBAL__N_135GammaBetaBackwardCUDAKernelTemplateIN3c108BFloat16EfLj64ELj1ELj32ELb1ELb1ELb0EEEvllPKT_S7_PKT0_SA_PS5_SB_.has_dyn_sized_stack, 0
	.set _ZN2at6native12_GLOBAL__N_135GammaBetaBackwardCUDAKernelTemplateIN3c108BFloat16EfLj64ELj1ELj32ELb1ELb1ELb0EEEvllPKT_S7_PKT0_SA_PS5_SB_.has_recursion, 0
	.set _ZN2at6native12_GLOBAL__N_135GammaBetaBackwardCUDAKernelTemplateIN3c108BFloat16EfLj64ELj1ELj32ELb1ELb1ELb0EEEvllPKT_S7_PKT0_SA_PS5_SB_.has_indirect_call, 0
	.section	.AMDGPU.csdata,"",@progbits
; Kernel info:
; codeLenInByte = 3704
; TotalNumSgprs: 46
; NumVgprs: 84
; NumAgprs: 0
; TotalNumVgprs: 84
; ScratchSize: 0
; MemoryBound: 0
; FloatMode: 240
; IeeeMode: 1
; LDSByteSize: 0 bytes/workgroup (compile time only)
; SGPRBlocks: 5
; VGPRBlocks: 10
; NumSGPRsForWavesPerEU: 46
; NumVGPRsForWavesPerEU: 84
; AccumOffset: 84
; Occupancy: 5
; WaveLimiterHint : 0
; COMPUTE_PGM_RSRC2:SCRATCH_EN: 0
; COMPUTE_PGM_RSRC2:USER_SGPR: 2
; COMPUTE_PGM_RSRC2:TRAP_HANDLER: 0
; COMPUTE_PGM_RSRC2:TGID_X_EN: 1
; COMPUTE_PGM_RSRC2:TGID_Y_EN: 1
; COMPUTE_PGM_RSRC2:TGID_Z_EN: 0
; COMPUTE_PGM_RSRC2:TIDIG_COMP_CNT: 1
; COMPUTE_PGM_RSRC3_GFX90A:ACCUM_OFFSET: 20
; COMPUTE_PGM_RSRC3_GFX90A:TG_SPLIT: 0
	.section	.text._ZN2at6native12_GLOBAL__N_135GammaBetaBackwardCUDAKernelTemplateIN3c108BFloat16EfLj64ELj1ELj32ELb1ELb0ELb0EEEvllPKT_S7_PKT0_SA_PS5_SB_,"axG",@progbits,_ZN2at6native12_GLOBAL__N_135GammaBetaBackwardCUDAKernelTemplateIN3c108BFloat16EfLj64ELj1ELj32ELb1ELb0ELb0EEEvllPKT_S7_PKT0_SA_PS5_SB_,comdat
	.globl	_ZN2at6native12_GLOBAL__N_135GammaBetaBackwardCUDAKernelTemplateIN3c108BFloat16EfLj64ELj1ELj32ELb1ELb0ELb0EEEvllPKT_S7_PKT0_SA_PS5_SB_ ; -- Begin function _ZN2at6native12_GLOBAL__N_135GammaBetaBackwardCUDAKernelTemplateIN3c108BFloat16EfLj64ELj1ELj32ELb1ELb0ELb0EEEvllPKT_S7_PKT0_SA_PS5_SB_
	.p2align	8
	.type	_ZN2at6native12_GLOBAL__N_135GammaBetaBackwardCUDAKernelTemplateIN3c108BFloat16EfLj64ELj1ELj32ELb1ELb0ELb0EEEvllPKT_S7_PKT0_SA_PS5_SB_,@function
_ZN2at6native12_GLOBAL__N_135GammaBetaBackwardCUDAKernelTemplateIN3c108BFloat16EfLj64ELj1ELj32ELb1ELb0ELb0EEEvllPKT_S7_PKT0_SA_PS5_SB_: ; @_ZN2at6native12_GLOBAL__N_135GammaBetaBackwardCUDAKernelTemplateIN3c108BFloat16EfLj64ELj1ELj32ELb1ELb0ELb0EEEvllPKT_S7_PKT0_SA_PS5_SB_
; %bb.0:
	s_load_dwordx8 s[12:19], s[0:1], 0x0
	s_load_dwordx4 s[20:23], s[0:1], 0x20
	s_mov_b32 s8, s3
	s_lshl_b32 s3, s2, 6
	s_or_b32 s4, s3, 63
	s_mov_b32 s11, 0
	v_mov_b32_e32 v2, s4
	v_mov_b32_e32 v3, 0
	s_lshl_b32 s10, s8, 5
	s_waitcnt lgkmcnt(0)
	v_cmp_le_i64_e32 vcc, s[14:15], v[2:3]
	v_mov_b64_e32 v[2:3], s[10:11]
	v_cmp_gt_i64_e64 s[4:5], s[12:13], v[2:3]
	s_nop 1
	v_cndmask_b32_e64 v1, 0, 1, s[4:5]
	v_cmp_ne_u32_e64 s[4:5], 1, v1
	s_cbranch_vccz .LBB97_144
; %bb.1:
	s_and_b64 vcc, exec, s[4:5]
	s_cbranch_vccnz .LBB97_145
; %bb.2:
	v_and_b32_e32 v172, 0x3ff, v0
	v_mov_b32_e32 v2, 0
	v_bfe_u32 v173, v0, 10, 10
	v_add_u32_e32 v4, s3, v172
	v_mov_b32_e32 v5, v2
	v_lshlrev_b32_e32 v222, 5, v173
	v_mov_b32_e32 v223, v2
	v_cmp_gt_i64_e64 s[6:7], s[14:15], v[4:5]
	v_lshlrev_b64 v[36:37], 1, v[4:5]
	v_lshl_add_u64 v[4:5], v[222:223], 0, s[10:11]
	v_mul_lo_u32 v3, s15, v4
	v_mul_lo_u32 v8, s14, v5
	v_mad_u64_u32 v[6:7], s[28:29], s14, v4, 0
	v_add3_u32 v7, v7, v8, v3
	v_lshlrev_b64 v[6:7], 1, v[6:7]
	v_lshl_add_u64 v[38:39], s[16:17], 0, v[6:7]
	v_lshl_add_u64 v[40:41], s[18:19], 0, v[6:7]
	v_lshl_add_u64 v[6:7], v[4:5], 0, 31
	v_mul_lo_u32 v9, s15, v6
	v_mul_lo_u32 v10, s14, v7
	v_mad_u64_u32 v[6:7], s[34:35], s14, v6, 0
	v_add3_u32 v7, v7, v10, v9
	v_lshlrev_b64 v[6:7], 1, v[6:7]
	v_lshl_add_u64 v[42:43], s[16:17], 0, v[6:7]
	v_lshl_add_u64 v[44:45], s[18:19], 0, v[6:7]
	;; [unrolled: 8-line block ×30, first 2 shown]
	v_lshl_add_u64 v[6:7], v[4:5], 0, 2
	s_load_dword s9, s[0:1], 0x44
	v_mul_lo_u32 v5, s15, v6
	v_mul_lo_u32 v9, s14, v7
	v_mad_u64_u32 v[6:7], s[34:35], s14, v6, 0
	v_add3_u32 v7, v7, v9, v5
	v_lshlrev_b64 v[6:7], 1, v[6:7]
	v_lshl_add_u64 v[160:161], s[16:17], 0, v[6:7]
	v_lshl_add_u64 v[162:163], s[18:19], 0, v[6:7]
	v_mov_b64_e32 v[6:7], s[14:15]
	s_add_u32 s24, s0, 64
	v_mad_u64_u32 v[4:5], s[34:35], s14, v4, v[6:7]
	s_addc_u32 s25, s1, 0
	s_waitcnt lgkmcnt(0)
	s_lshl_b32 s26, s9, 5
	v_add3_u32 v5, v3, v5, v8
	v_mbcnt_lo_u32_b32 v3, -1, 0
	s_mul_i32 s9, s15, s26
	s_mul_hi_u32 s28, s14, s26
	v_mbcnt_hi_u32_b32 v3, -1, v3
	s_add_i32 s29, s28, s9
	s_mul_i32 s28, s14, s26
	v_lshlrev_b64 v[4:5], 1, v[4:5]
	v_lshlrev_b32_e32 v3, 2, v3
	s_mov_b32 s27, s11
	s_lshl_b64 s[28:29], s[28:29], 1
	s_mov_b64 s[30:31], 31
	v_lshl_add_u64 v[164:165], s[16:17], 0, v[4:5]
	v_lshl_add_u64 v[166:167], s[18:19], 0, v[4:5]
	v_and_b32_e32 v174, 0x100, v3
	v_mov_b32_e32 v168, 0
	v_mov_b32_e32 v169, v2
	s_mov_b64 s[34:35], s[10:11]
	s_branch .LBB97_5
.LBB97_3:                               ;   in Loop: Header=BB97_5 Depth=1
	s_or_b64 exec, exec, s[36:37]
	s_waitcnt vmcnt(1)
	ds_bpermute_b32 v204, v174, v171
	s_waitcnt vmcnt(0)
	ds_bpermute_b32 v205, v174, v170
	ds_bpermute_b32 v207, v174, v171 offset:4
	ds_bpermute_b32 v206, v174, v170 offset:4
	;; [unrolled: 1-line block ×3, first 2 shown]
	s_waitcnt lgkmcnt(4)
	v_sub_f32_e32 v175, v175, v204
	v_mul_f32_e32 v175, v4, v175
	s_waitcnt lgkmcnt(3)
	v_mul_f32_e32 v205, v175, v205
	s_waitcnt lgkmcnt(2)
	v_sub_f32_e32 v102, v102, v207
	ds_bpermute_b32 v175, v174, v170 offset:8
	v_mul_f32_e32 v102, v5, v102
	s_waitcnt lgkmcnt(2)
	v_mul_f32_e32 v207, v102, v206
	ds_bpermute_b32 v102, v174, v171 offset:12
	s_waitcnt lgkmcnt(2)
	v_sub_f32_e32 v3, v3, v208
	v_mul_f32_e32 v3, v6, v3
	s_waitcnt lgkmcnt(1)
	v_mul_f32_e32 v209, v3, v175
	ds_bpermute_b32 v3, v174, v170 offset:12
	ds_bpermute_b32 v175, v174, v171 offset:16
	s_waitcnt lgkmcnt(2)
	v_sub_f32_e32 v102, v177, v102
	ds_bpermute_b32 v177, v174, v170 offset:16
	v_mul_f32_e32 v102, v7, v102
	s_waitcnt lgkmcnt(2)
	v_mul_f32_e32 v211, v102, v3
	s_waitcnt lgkmcnt(1)
	v_sub_f32_e32 v3, v103, v175
	ds_bpermute_b32 v102, v174, v171 offset:20
	v_mul_f32_e32 v3, v8, v3
	s_waitcnt lgkmcnt(1)
	v_mul_f32_e32 v103, v3, v177
	ds_bpermute_b32 v3, v174, v170 offset:20
	ds_bpermute_b32 v175, v174, v171 offset:24
	ds_bpermute_b32 v177, v174, v170 offset:24
	s_waitcnt lgkmcnt(3)
	v_sub_f32_e32 v102, v179, v102
	v_mul_f32_e32 v102, v9, v102
	s_waitcnt lgkmcnt(2)
	v_mul_f32_e32 v179, v102, v3
	s_waitcnt lgkmcnt(1)
	v_sub_f32_e32 v3, v178, v175
	ds_bpermute_b32 v102, v174, v171 offset:28
	v_mul_f32_e32 v3, v10, v3
	s_waitcnt lgkmcnt(1)
	v_mul_f32_e32 v213, v3, v177
	ds_bpermute_b32 v3, v174, v170 offset:28
	ds_bpermute_b32 v175, v174, v171 offset:32
	ds_bpermute_b32 v177, v174, v170 offset:32
	s_waitcnt lgkmcnt(3)
	v_sub_f32_e32 v102, v181, v102
	;; [unrolled: 14-line block ×3, first 2 shown]
	v_mul_f32_e32 v102, v13, v102
	s_waitcnt lgkmcnt(2)
	v_mul_f32_e32 v217, v102, v3
	s_waitcnt lgkmcnt(1)
	v_sub_f32_e32 v3, v183, v175
	v_mul_f32_e32 v3, v14, v3
	s_waitcnt lgkmcnt(0)
	v_mul_f32_e32 v219, v3, v177
	ds_bpermute_b32 v3, v174, v171 offset:44
	v_mov_b32_e32 v208, v6
	ds_bpermute_b32 v6, v174, v170 offset:44
	v_mov_b32_e32 v102, v8
	ds_bpermute_b32 v8, v174, v171 offset:48
	s_waitcnt lgkmcnt(2)
	v_sub_f32_e32 v3, v184, v3
	v_mul_f32_e32 v3, v15, v3
	v_mov_b32_e32 v210, v7
	s_waitcnt lgkmcnt(1)
	v_mul_f32_e32 v7, v3, v6
	ds_bpermute_b32 v3, v174, v170 offset:48
	ds_bpermute_b32 v6, v174, v171 offset:52
	v_mov_b32_e32 v212, v10
	ds_bpermute_b32 v10, v174, v170 offset:52
	s_waitcnt lgkmcnt(3)
	v_sub_f32_e32 v8, v182, v8
	v_mul_f32_e32 v8, v16, v8
	v_mov_b32_e32 v178, v9
	s_waitcnt lgkmcnt(2)
	v_mul_f32_e32 v9, v8, v3
	s_waitcnt lgkmcnt(1)
	v_sub_f32_e32 v3, v187, v6
	ds_bpermute_b32 v6, v174, v171 offset:56
	v_mul_f32_e32 v3, v17, v3
	v_mov_b32_e32 v180, v11
	s_waitcnt lgkmcnt(1)
	v_mul_f32_e32 v11, v3, v10
	ds_bpermute_b32 v3, v174, v170 offset:56
	ds_bpermute_b32 v8, v174, v171 offset:60
	v_mov_b32_e32 v204, v4
	ds_bpermute_b32 v10, v174, v170 offset:60
	v_pk_add_f32 v[168:169], v[168:169], v[204:205]
	v_mov_b32_e32 v206, v5
	s_waitcnt lgkmcnt(3)
	v_sub_f32_e32 v6, v186, v6
	v_pk_add_f32 v[4:5], v[206:207], v[168:169]
	v_mul_f32_e32 v6, v18, v6
	v_pk_add_f32 v[4:5], v[208:209], v[4:5]
	v_mov_b32_e32 v216, v13
	s_waitcnt lgkmcnt(2)
	v_mul_f32_e32 v13, v6, v3
	s_waitcnt lgkmcnt(1)
	v_sub_f32_e32 v3, v189, v8
	ds_bpermute_b32 v6, v174, v171 offset:64
	v_pk_add_f32 v[4:5], v[210:211], v[4:5]
	v_mul_f32_e32 v3, v19, v3
	v_pk_add_f32 v[4:5], v[102:103], v[4:5]
	s_waitcnt lgkmcnt(1)
	v_mul_f32_e32 v103, v3, v10
	ds_bpermute_b32 v3, v174, v170 offset:64
	ds_bpermute_b32 v8, v174, v171 offset:68
	;; [unrolled: 1-line block ×3, first 2 shown]
	s_waitcnt lgkmcnt(3)
	v_sub_f32_e32 v6, v188, v6
	v_mul_f32_e32 v6, v20, v6
	s_waitcnt lgkmcnt(2)
	v_mul_f32_e32 v169, v6, v3
	s_waitcnt lgkmcnt(1)
	v_sub_f32_e32 v3, v191, v8
	ds_bpermute_b32 v6, v174, v171 offset:72
	v_mul_f32_e32 v3, v21, v3
	v_pk_add_f32 v[4:5], v[178:179], v[4:5]
	s_waitcnt lgkmcnt(1)
	v_mul_f32_e32 v179, v3, v10
	ds_bpermute_b32 v3, v174, v170 offset:72
	ds_bpermute_b32 v8, v174, v171 offset:76
	;; [unrolled: 1-line block ×3, first 2 shown]
	s_waitcnt lgkmcnt(3)
	v_sub_f32_e32 v6, v190, v6
	v_pk_add_f32 v[4:5], v[212:213], v[4:5]
	v_mul_f32_e32 v6, v22, v6
	v_pk_add_f32 v[4:5], v[180:181], v[4:5]
	s_waitcnt lgkmcnt(2)
	v_mul_f32_e32 v181, v6, v3
	s_waitcnt lgkmcnt(1)
	v_sub_f32_e32 v3, v194, v8
	ds_bpermute_b32 v6, v174, v171 offset:80
	v_mul_f32_e32 v3, v23, v3
	s_waitcnt lgkmcnt(1)
	v_mul_f32_e32 v183, v3, v10
	ds_bpermute_b32 v3, v174, v170 offset:80
	ds_bpermute_b32 v8, v174, v171 offset:84
	;; [unrolled: 1-line block ×3, first 2 shown]
	s_waitcnt lgkmcnt(3)
	v_sub_f32_e32 v6, v193, v6
	v_mov_b32_e32 v214, v12
	v_mul_f32_e32 v6, v24, v6
	v_pk_add_f32 v[4:5], v[214:215], v[4:5]
	s_waitcnt lgkmcnt(2)
	v_mul_f32_e32 v185, v6, v3
	s_waitcnt lgkmcnt(1)
	v_sub_f32_e32 v3, v197, v8
	v_pk_add_f32 v[4:5], v[216:217], v[4:5]
	v_mov_b32_e32 v218, v14
	v_mul_f32_e32 v3, v25, v3
	v_pk_add_f32 v[4:5], v[218:219], v[4:5]
	s_waitcnt lgkmcnt(0)
	v_mul_f32_e32 v187, v3, v10
	v_mov_b32_e32 v6, v15
	ds_bpermute_b32 v3, v174, v171 offset:88
	v_pk_add_f32 v[4:5], v[6:7], v[4:5]
	v_mov_b32_e32 v8, v16
	v_pk_add_f32 v[4:5], v[8:9], v[4:5]
	ds_bpermute_b32 v6, v174, v170 offset:88
	ds_bpermute_b32 v8, v174, v171 offset:92
	;; [unrolled: 1-line block ×3, first 2 shown]
	s_waitcnt lgkmcnt(3)
	v_sub_f32_e32 v3, v192, v3
	v_mul_f32_e32 v3, v26, v3
	s_waitcnt lgkmcnt(2)
	v_mul_f32_e32 v7, v3, v6
	s_waitcnt lgkmcnt(1)
	v_sub_f32_e32 v3, v196, v8
	ds_bpermute_b32 v6, v174, v171 offset:96
	v_mul_f32_e32 v3, v27, v3
	s_waitcnt lgkmcnt(1)
	v_mul_f32_e32 v9, v3, v9
	ds_bpermute_b32 v3, v174, v170 offset:96
	ds_bpermute_b32 v8, v174, v171 offset:100
	v_mov_b32_e32 v10, v17
	v_pk_add_f32 v[4:5], v[10:11], v[4:5]
	ds_bpermute_b32 v10, v174, v170 offset:100
	s_waitcnt lgkmcnt(3)
	v_sub_f32_e32 v6, v195, v6
	v_mul_f32_e32 v6, v28, v6
	s_waitcnt lgkmcnt(2)
	v_mul_f32_e32 v11, v6, v3
	s_waitcnt lgkmcnt(1)
	v_sub_f32_e32 v3, v199, v8
	ds_bpermute_b32 v6, v174, v171 offset:104
	v_mov_b32_e32 v12, v18
	v_mul_f32_e32 v3, v29, v3
	v_pk_add_f32 v[4:5], v[12:13], v[4:5]
	s_waitcnt lgkmcnt(1)
	v_mul_f32_e32 v13, v3, v10
	ds_bpermute_b32 v3, v174, v170 offset:104
	ds_bpermute_b32 v8, v174, v171 offset:108
	;; [unrolled: 1-line block ×3, first 2 shown]
	s_waitcnt lgkmcnt(3)
	v_sub_f32_e32 v6, v198, v6
	v_mul_f32_e32 v6, v30, v6
	v_mov_b32_e32 v102, v19
	s_waitcnt lgkmcnt(2)
	v_mul_f32_e32 v15, v6, v3
	s_waitcnt lgkmcnt(1)
	v_sub_f32_e32 v3, v202, v8
	ds_bpermute_b32 v6, v174, v171 offset:112
	v_pk_add_f32 v[4:5], v[102:103], v[4:5]
	v_mov_b32_e32 v168, v20
	v_mul_f32_e32 v3, v31, v3
	v_pk_add_f32 v[4:5], v[168:169], v[4:5]
	v_mov_b32_e32 v178, v21
	s_waitcnt lgkmcnt(1)
	v_mul_f32_e32 v17, v3, v10
	ds_bpermute_b32 v3, v174, v170 offset:112
	ds_bpermute_b32 v8, v174, v171 offset:116
	v_pk_add_f32 v[4:5], v[178:179], v[4:5]
	v_mov_b32_e32 v180, v22
	v_pk_add_f32 v[4:5], v[180:181], v[4:5]
	v_mov_b32_e32 v182, v23
	ds_bpermute_b32 v10, v174, v170 offset:116
	v_pk_add_f32 v[4:5], v[182:183], v[4:5]
	v_mov_b32_e32 v184, v24
	s_waitcnt lgkmcnt(3)
	v_sub_f32_e32 v6, v200, v6
	v_pk_add_f32 v[4:5], v[184:185], v[4:5]
	v_mov_b32_e32 v186, v25
	v_mul_f32_e32 v6, v32, v6
	v_pk_add_f32 v[4:5], v[186:187], v[4:5]
	s_waitcnt lgkmcnt(2)
	v_mul_f32_e32 v19, v6, v3
	s_waitcnt lgkmcnt(1)
	v_sub_f32_e32 v3, v203, v8
	v_mov_b32_e32 v6, v26
	v_mul_f32_e32 v3, v33, v3
	v_pk_add_f32 v[4:5], v[6:7], v[4:5]
	v_mov_b32_e32 v8, v27
	s_waitcnt lgkmcnt(0)
	v_mul_f32_e32 v21, v3, v10
	v_pk_add_f32 v[4:5], v[8:9], v[4:5]
	v_mov_b32_e32 v10, v28
	v_pk_add_f32 v[4:5], v[10:11], v[4:5]
	v_mov_b32_e32 v12, v29
	;; [unrolled: 2-line block ×4, first 2 shown]
	ds_bpermute_b32 v3, v174, v171 offset:120
	v_pk_add_f32 v[4:5], v[16:17], v[4:5]
	v_mov_b32_e32 v18, v32
	v_pk_add_f32 v[4:5], v[18:19], v[4:5]
	v_mov_b32_e32 v20, v33
	v_pk_add_f32 v[6:7], v[20:21], v[4:5]
	ds_bpermute_b32 v5, v174, v170 offset:120
	s_waitcnt lgkmcnt(1)
	v_sub_f32_e32 v8, v201, v3
	ds_bpermute_b32 v3, v174, v170 offset:124
	ds_bpermute_b32 v4, v174, v171 offset:124
	v_mul_f32_e32 v8, v34, v8
	s_waitcnt lgkmcnt(2)
	v_mul_f32_e32 v9, v8, v5
	v_mov_b32_e32 v8, v34
	v_pk_add_f32 v[170:171], v[8:9], v[6:7]
.LBB97_4:                               ;   in Loop: Header=BB97_5 Depth=1
	s_waitcnt lgkmcnt(0)
	v_sub_f32_e32 v4, v176, v4
	v_mul_f32_e32 v4, v35, v4
	v_mul_f32_e32 v5, v4, v3
	v_mov_b32_e32 v4, v35
	s_add_u32 s34, s34, s26
	v_pk_add_f32 v[168:169], v[170:171], v[4:5]
	s_addc_u32 s35, s35, 0
	v_mov_b64_e32 v[4:5], s[12:13]
	s_add_u32 s30, s30, s26
	v_cmp_lt_i64_e32 vcc, s[34:35], v[4:5]
	v_lshl_add_u64 v[38:39], v[38:39], 0, s[28:29]
	v_lshl_add_u64 v[40:41], v[40:41], 0, s[28:29]
	;; [unrolled: 1-line block ×65, first 2 shown]
	s_addc_u32 s31, 0, s31
	s_cbranch_vccz .LBB97_146
.LBB97_5:                               ; =>This Inner Loop Header: Depth=1
	s_add_u32 s36, s10, s30
	s_addc_u32 s37, 0, s31
	v_mov_b64_e32 v[4:5], s[12:13]
	v_cmp_ge_i64_e32 vcc, s[36:37], v[4:5]
	v_lshl_add_u64 v[102:103], s[10:11], 0, v[222:223]
	s_mov_b64 s[36:37], -1
	s_and_b64 vcc, exec, vcc
                                        ; implicit-def: $vgpr4_vgpr5_vgpr6_vgpr7_vgpr8_vgpr9_vgpr10_vgpr11_vgpr12_vgpr13_vgpr14_vgpr15_vgpr16_vgpr17_vgpr18_vgpr19_vgpr20_vgpr21_vgpr22_vgpr23_vgpr24_vgpr25_vgpr26_vgpr27_vgpr28_vgpr29_vgpr30_vgpr31_vgpr32_vgpr33_vgpr34_vgpr35
                                        ; implicit-def: $vgpr170_vgpr171
                                        ; implicit-def: $vgpr3
                                        ; implicit-def: $vgpr176
                                        ; implicit-def: $vgpr4
	s_cbranch_vccz .LBB97_75
; %bb.6:                                ;   in Loop: Header=BB97_5 Depth=1
	s_load_dword s9, s[24:25], 0xc
	v_mov_b32_e32 v175, 0
	v_mov_b32_e32 v170, 0
	;; [unrolled: 1-line block ×3, first 2 shown]
	s_waitcnt lgkmcnt(0)
	s_and_b32 s9, s9, 0xffff
	v_mad_u32_u24 v3, v173, s9, v172
	v_and_b32_e32 v4, 63, v3
	v_cmp_gt_u32_e32 vcc, 32, v4
	s_and_saveexec_b64 s[36:37], vcc
	s_cbranch_execz .LBB97_10
; %bb.7:                                ;   in Loop: Header=BB97_5 Depth=1
	v_mov_b32_e32 v5, v2
	v_lshl_add_u64 v[4:5], v[102:103], 0, v[4:5]
	v_cmp_gt_i64_e32 vcc, s[12:13], v[4:5]
	v_mov_b32_e32 v171, 0
	v_mov_b32_e32 v170, 0
	s_and_saveexec_b64 s[38:39], vcc
	s_cbranch_execz .LBB97_9
; %bb.8:                                ;   in Loop: Header=BB97_5 Depth=1
	v_lshlrev_b64 v[4:5], 2, v[4:5]
	v_lshl_add_u64 v[6:7], s[22:23], 0, v[4:5]
	v_lshl_add_u64 v[4:5], s[20:21], 0, v[4:5]
	global_load_dword v171, v[4:5], off
	global_load_dword v170, v[6:7], off
.LBB97_9:                               ;   in Loop: Header=BB97_5 Depth=1
	s_or_b64 exec, exec, s[38:39]
.LBB97_10:                              ;   in Loop: Header=BB97_5 Depth=1
	s_or_b64 exec, exec, s[36:37]
	v_mov_b32_e32 v4, v2
	v_mov_b32_e32 v5, v2
	;; [unrolled: 1-line block ×30, first 2 shown]
	v_cmp_gt_i64_e32 vcc, s[12:13], v[102:103]
	v_mov_b32_e32 v3, v2
	v_mov_b64_e32 v[34:35], v[32:33]
	s_and_b64 s[38:39], s[6:7], vcc
	v_mov_b64_e32 v[32:33], v[30:31]
	v_mov_b64_e32 v[30:31], v[28:29]
	;; [unrolled: 1-line block ×15, first 2 shown]
	s_and_saveexec_b64 s[36:37], s[38:39]
	s_cbranch_execz .LBB97_12
; %bb.11:                               ;   in Loop: Header=BB97_5 Depth=1
	v_lshl_add_u64 v[4:5], v[38:39], 0, v[36:37]
	global_load_ushort v3, v[4:5], off
	v_lshl_add_u64 v[4:5], v[40:41], 0, v[36:37]
	global_load_ushort v175, v[4:5], off
	v_mov_b32_e32 v5, v2
	v_mov_b32_e32 v6, v2
	;; [unrolled: 1-line block ×31, first 2 shown]
	s_waitcnt vmcnt(1)
	v_lshlrev_b32_e32 v4, 16, v3
	s_waitcnt vmcnt(0)
	v_lshlrev_b32_e32 v175, 16, v175
.LBB97_12:                              ;   in Loop: Header=BB97_5 Depth=1
	s_or_b64 exec, exec, s[36:37]
	v_lshl_add_u64 v[176:177], v[102:103], 0, 1
	v_cmp_gt_i64_e32 vcc, s[12:13], v[176:177]
	s_and_b64 s[38:39], s[6:7], vcc
	v_mov_b32_e32 v3, 0
	v_mov_b32_e32 v177, 0
	s_and_saveexec_b64 s[36:37], s[38:39]
	s_cbranch_execz .LBB97_14
; %bb.13:                               ;   in Loop: Header=BB97_5 Depth=1
	v_lshl_add_u64 v[176:177], v[164:165], 0, v[36:37]
	global_load_ushort v5, v[176:177], off
	v_lshl_add_u64 v[176:177], v[166:167], 0, v[36:37]
	global_load_ushort v176, v[176:177], off
	s_waitcnt vmcnt(1)
	v_lshlrev_b32_e32 v5, 16, v5
	s_waitcnt vmcnt(0)
	v_lshlrev_b32_e32 v177, 16, v176
.LBB97_14:                              ;   in Loop: Header=BB97_5 Depth=1
	s_or_b64 exec, exec, s[36:37]
	v_lshl_add_u64 v[178:179], v[102:103], 0, 2
	v_cmp_gt_i64_e32 vcc, s[12:13], v[178:179]
	s_and_b64 s[38:39], s[6:7], vcc
	s_and_saveexec_b64 s[36:37], s[38:39]
	s_cbranch_execz .LBB97_16
; %bb.15:                               ;   in Loop: Header=BB97_5 Depth=1
	v_lshl_add_u64 v[178:179], v[160:161], 0, v[36:37]
	global_load_ushort v3, v[178:179], off
	v_lshl_add_u64 v[178:179], v[162:163], 0, v[36:37]
	global_load_ushort v176, v[178:179], off
	s_waitcnt vmcnt(1)
	v_lshlrev_b32_e32 v6, 16, v3
	s_waitcnt vmcnt(0)
	v_lshlrev_b32_e32 v3, 16, v176
.LBB97_16:                              ;   in Loop: Header=BB97_5 Depth=1
	s_or_b64 exec, exec, s[36:37]
	v_lshl_add_u64 v[178:179], v[102:103], 0, 3
	v_cmp_gt_i64_e32 vcc, s[12:13], v[178:179]
	s_and_b64 s[38:39], s[6:7], vcc
	v_mov_b32_e32 v178, 0
	v_mov_b32_e32 v179, 0
	s_and_saveexec_b64 s[36:37], s[38:39]
	s_cbranch_execz .LBB97_18
; %bb.17:                               ;   in Loop: Header=BB97_5 Depth=1
	v_lshl_add_u64 v[180:181], v[156:157], 0, v[36:37]
	global_load_ushort v7, v[180:181], off
	v_lshl_add_u64 v[180:181], v[158:159], 0, v[36:37]
	global_load_ushort v176, v[180:181], off
	s_waitcnt vmcnt(1)
	v_lshlrev_b32_e32 v7, 16, v7
	s_waitcnt vmcnt(0)
	v_lshlrev_b32_e32 v179, 16, v176
.LBB97_18:                              ;   in Loop: Header=BB97_5 Depth=1
	s_or_b64 exec, exec, s[36:37]
	v_lshl_add_u64 v[180:181], v[102:103], 0, 4
	v_cmp_gt_i64_e32 vcc, s[12:13], v[180:181]
	s_and_b64 s[38:39], s[6:7], vcc
	s_and_saveexec_b64 s[36:37], s[38:39]
	s_cbranch_execz .LBB97_20
; %bb.19:                               ;   in Loop: Header=BB97_5 Depth=1
	v_lshl_add_u64 v[180:181], v[152:153], 0, v[36:37]
	global_load_ushort v8, v[180:181], off
	v_lshl_add_u64 v[180:181], v[154:155], 0, v[36:37]
	global_load_ushort v176, v[180:181], off
	s_waitcnt vmcnt(1)
	v_lshlrev_b32_e32 v8, 16, v8
	s_waitcnt vmcnt(0)
	v_lshlrev_b32_e32 v178, 16, v176
.LBB97_20:                              ;   in Loop: Header=BB97_5 Depth=1
	;; [unrolled: 34-line block ×15, first 2 shown]
	s_or_b64 exec, exec, s[36:37]
	v_lshl_add_u64 v[206:207], v[102:103], 0, 31
	v_cmp_gt_i64_e32 vcc, s[12:13], v[206:207]
	s_and_b64 s[38:39], s[6:7], vcc
	v_mov_b32_e32 v176, 0
	s_and_saveexec_b64 s[36:37], s[38:39]
	s_cbranch_execz .LBB97_74
; %bb.73:                               ;   in Loop: Header=BB97_5 Depth=1
	v_lshl_add_u64 v[206:207], v[42:43], 0, v[36:37]
	global_load_ushort v35, v[206:207], off
	v_lshl_add_u64 v[206:207], v[44:45], 0, v[36:37]
	global_load_ushort v176, v[206:207], off
	s_waitcnt vmcnt(1)
	v_lshlrev_b32_e32 v35, 16, v35
	s_waitcnt vmcnt(0)
	v_lshlrev_b32_e32 v176, 16, v176
.LBB97_74:                              ;   in Loop: Header=BB97_5 Depth=1
	s_or_b64 exec, exec, s[36:37]
	s_waitcnt vmcnt(1)
	ds_bpermute_b32 v206, v174, v171
	s_waitcnt vmcnt(0)
	ds_bpermute_b32 v207, v174, v170
	ds_bpermute_b32 v209, v174, v171 offset:4
	ds_bpermute_b32 v208, v174, v170 offset:4
	ds_bpermute_b32 v210, v174, v171 offset:8
	s_waitcnt lgkmcnt(4)
	v_sub_f32_e32 v175, v175, v206
	v_mul_f32_e32 v175, v4, v175
	s_waitcnt lgkmcnt(3)
	v_mul_f32_e32 v207, v175, v207
	s_waitcnt lgkmcnt(2)
	v_sub_f32_e32 v175, v177, v209
	ds_bpermute_b32 v177, v174, v170 offset:8
	v_mul_f32_e32 v175, v5, v175
	s_waitcnt lgkmcnt(2)
	v_mul_f32_e32 v209, v175, v208
	s_waitcnt lgkmcnt(1)
	v_sub_f32_e32 v3, v3, v210
	ds_bpermute_b32 v175, v174, v171 offset:12
	v_mul_f32_e32 v3, v6, v3
	s_waitcnt lgkmcnt(1)
	v_mul_f32_e32 v211, v3, v177
	ds_bpermute_b32 v3, v174, v170 offset:12
	ds_bpermute_b32 v177, v174, v171 offset:16
	ds_bpermute_b32 v206, v174, v170 offset:16
	s_waitcnt lgkmcnt(3)
	v_sub_f32_e32 v175, v179, v175
	v_mul_f32_e32 v175, v7, v175
	s_waitcnt lgkmcnt(2)
	v_mul_f32_e32 v179, v175, v3
	s_waitcnt lgkmcnt(1)
	v_sub_f32_e32 v3, v178, v177
	ds_bpermute_b32 v175, v174, v171 offset:20
	v_mul_f32_e32 v3, v8, v3
	s_waitcnt lgkmcnt(1)
	v_mul_f32_e32 v213, v3, v206
	ds_bpermute_b32 v3, v174, v170 offset:20
	ds_bpermute_b32 v177, v174, v171 offset:24
	ds_bpermute_b32 v178, v174, v170 offset:24
	s_waitcnt lgkmcnt(3)
	v_sub_f32_e32 v175, v181, v175
	;; [unrolled: 14-line block ×4, first 2 shown]
	v_mul_f32_e32 v175, v13, v175
	s_waitcnt lgkmcnt(2)
	v_mul_f32_e32 v219, v175, v3
	s_waitcnt lgkmcnt(1)
	v_sub_f32_e32 v3, v185, v177
	v_mul_f32_e32 v3, v14, v3
	s_waitcnt lgkmcnt(0)
	v_mul_f32_e32 v221, v3, v178
	ds_bpermute_b32 v3, v174, v171 offset:44
	v_mov_b32_e32 v210, v6
	ds_bpermute_b32 v6, v174, v170 offset:44
	v_mov_b32_e32 v212, v8
	ds_bpermute_b32 v8, v174, v171 offset:48
	s_waitcnt lgkmcnt(2)
	v_sub_f32_e32 v3, v187, v3
	v_mul_f32_e32 v3, v15, v3
	v_mov_b32_e32 v178, v7
	s_waitcnt lgkmcnt(1)
	v_mul_f32_e32 v7, v3, v6
	ds_bpermute_b32 v3, v174, v170 offset:48
	ds_bpermute_b32 v6, v174, v171 offset:52
	v_mov_b32_e32 v214, v10
	ds_bpermute_b32 v10, v174, v170 offset:52
	s_waitcnt lgkmcnt(3)
	v_sub_f32_e32 v8, v184, v8
	v_mul_f32_e32 v8, v16, v8
	v_mov_b32_e32 v180, v9
	s_waitcnt lgkmcnt(2)
	v_mul_f32_e32 v9, v8, v3
	s_waitcnt lgkmcnt(1)
	v_sub_f32_e32 v3, v189, v6
	ds_bpermute_b32 v6, v174, v171 offset:56
	v_mul_f32_e32 v3, v17, v3
	v_mov_b32_e32 v182, v11
	s_waitcnt lgkmcnt(1)
	v_mul_f32_e32 v11, v3, v10
	ds_bpermute_b32 v3, v174, v170 offset:56
	ds_bpermute_b32 v8, v174, v171 offset:60
	;; [unrolled: 1-line block ×3, first 2 shown]
	v_mov_b32_e32 v206, v4
	s_waitcnt lgkmcnt(3)
	v_sub_f32_e32 v6, v188, v6
	v_pk_add_f32 v[206:207], v[168:169], v[206:207]
	v_mov_b32_e32 v208, v5
	v_mul_f32_e32 v6, v18, v6
	v_pk_add_f32 v[4:5], v[208:209], v[206:207]
	v_mov_b32_e32 v218, v13
	s_waitcnt lgkmcnt(2)
	v_mul_f32_e32 v13, v6, v3
	s_waitcnt lgkmcnt(1)
	v_sub_f32_e32 v3, v191, v8
	ds_bpermute_b32 v6, v174, v171 offset:64
	v_pk_add_f32 v[4:5], v[210:211], v[4:5]
	v_mul_f32_e32 v3, v19, v3
	v_pk_add_f32 v[4:5], v[178:179], v[4:5]
	s_waitcnt lgkmcnt(1)
	v_mul_f32_e32 v179, v3, v10
	ds_bpermute_b32 v3, v174, v170 offset:64
	ds_bpermute_b32 v8, v174, v171 offset:68
	;; [unrolled: 1-line block ×3, first 2 shown]
	s_waitcnt lgkmcnt(3)
	v_sub_f32_e32 v6, v190, v6
	v_pk_add_f32 v[4:5], v[212:213], v[4:5]
	v_mul_f32_e32 v6, v20, v6
	v_pk_add_f32 v[4:5], v[180:181], v[4:5]
	s_waitcnt lgkmcnt(2)
	v_mul_f32_e32 v181, v6, v3
	s_waitcnt lgkmcnt(1)
	v_sub_f32_e32 v3, v193, v8
	ds_bpermute_b32 v6, v174, v171 offset:72
	v_pk_add_f32 v[4:5], v[214:215], v[4:5]
	v_mul_f32_e32 v3, v21, v3
	v_pk_add_f32 v[4:5], v[182:183], v[4:5]
	s_waitcnt lgkmcnt(1)
	v_mul_f32_e32 v183, v3, v10
	ds_bpermute_b32 v3, v174, v170 offset:72
	ds_bpermute_b32 v8, v174, v171 offset:76
	;; [unrolled: 1-line block ×3, first 2 shown]
	s_waitcnt lgkmcnt(3)
	v_sub_f32_e32 v6, v192, v6
	v_mul_f32_e32 v6, v22, v6
	s_waitcnt lgkmcnt(2)
	v_mul_f32_e32 v185, v6, v3
	s_waitcnt lgkmcnt(1)
	v_sub_f32_e32 v3, v196, v8
	ds_bpermute_b32 v6, v174, v171 offset:80
	v_mul_f32_e32 v3, v23, v3
	s_waitcnt lgkmcnt(1)
	v_mul_f32_e32 v187, v3, v10
	ds_bpermute_b32 v3, v174, v170 offset:80
	ds_bpermute_b32 v8, v174, v171 offset:84
	;; [unrolled: 1-line block ×3, first 2 shown]
	s_waitcnt lgkmcnt(3)
	v_sub_f32_e32 v6, v194, v6
	v_mov_b32_e32 v216, v12
	v_mul_f32_e32 v6, v24, v6
	v_pk_add_f32 v[4:5], v[216:217], v[4:5]
	s_waitcnt lgkmcnt(2)
	v_mul_f32_e32 v189, v6, v3
	s_waitcnt lgkmcnt(1)
	v_sub_f32_e32 v3, v198, v8
	v_pk_add_f32 v[4:5], v[218:219], v[4:5]
	v_mov_b32_e32 v220, v14
	v_mul_f32_e32 v3, v25, v3
	v_pk_add_f32 v[4:5], v[220:221], v[4:5]
	s_waitcnt lgkmcnt(0)
	v_mul_f32_e32 v191, v3, v10
	v_mov_b32_e32 v6, v15
	ds_bpermute_b32 v3, v174, v171 offset:88
	v_pk_add_f32 v[4:5], v[6:7], v[4:5]
	v_mov_b32_e32 v8, v16
	v_pk_add_f32 v[4:5], v[8:9], v[4:5]
	ds_bpermute_b32 v6, v174, v170 offset:88
	ds_bpermute_b32 v8, v174, v171 offset:92
	;; [unrolled: 1-line block ×3, first 2 shown]
	s_waitcnt lgkmcnt(3)
	v_sub_f32_e32 v3, v195, v3
	v_mul_f32_e32 v3, v26, v3
	s_waitcnt lgkmcnt(2)
	v_mul_f32_e32 v7, v3, v6
	s_waitcnt lgkmcnt(1)
	v_sub_f32_e32 v3, v199, v8
	ds_bpermute_b32 v6, v174, v171 offset:96
	v_mul_f32_e32 v3, v27, v3
	s_waitcnt lgkmcnt(1)
	v_mul_f32_e32 v9, v3, v9
	ds_bpermute_b32 v3, v174, v170 offset:96
	ds_bpermute_b32 v8, v174, v171 offset:100
	v_mov_b32_e32 v10, v17
	v_pk_add_f32 v[4:5], v[10:11], v[4:5]
	ds_bpermute_b32 v10, v174, v170 offset:100
	s_waitcnt lgkmcnt(3)
	v_sub_f32_e32 v6, v197, v6
	v_mul_f32_e32 v6, v28, v6
	s_waitcnt lgkmcnt(2)
	v_mul_f32_e32 v11, v6, v3
	s_waitcnt lgkmcnt(1)
	v_sub_f32_e32 v3, v201, v8
	ds_bpermute_b32 v6, v174, v171 offset:104
	v_mov_b32_e32 v12, v18
	v_mul_f32_e32 v3, v29, v3
	v_pk_add_f32 v[4:5], v[12:13], v[4:5]
	s_waitcnt lgkmcnt(1)
	v_mul_f32_e32 v13, v3, v10
	ds_bpermute_b32 v3, v174, v170 offset:104
	ds_bpermute_b32 v8, v174, v171 offset:108
	;; [unrolled: 1-line block ×3, first 2 shown]
	s_waitcnt lgkmcnt(3)
	v_sub_f32_e32 v6, v200, v6
	v_mul_f32_e32 v6, v30, v6
	v_mov_b32_e32 v178, v19
	s_waitcnt lgkmcnt(2)
	v_mul_f32_e32 v15, v6, v3
	s_waitcnt lgkmcnt(1)
	v_sub_f32_e32 v3, v203, v8
	ds_bpermute_b32 v6, v174, v171 offset:112
	v_pk_add_f32 v[4:5], v[178:179], v[4:5]
	v_mov_b32_e32 v180, v20
	v_mul_f32_e32 v3, v31, v3
	v_pk_add_f32 v[4:5], v[180:181], v[4:5]
	v_mov_b32_e32 v182, v21
	s_waitcnt lgkmcnt(1)
	v_mul_f32_e32 v17, v3, v10
	ds_bpermute_b32 v3, v174, v170 offset:112
	ds_bpermute_b32 v8, v174, v171 offset:116
	v_pk_add_f32 v[4:5], v[182:183], v[4:5]
	v_mov_b32_e32 v184, v22
	v_pk_add_f32 v[4:5], v[184:185], v[4:5]
	v_mov_b32_e32 v186, v23
	ds_bpermute_b32 v10, v174, v170 offset:116
	v_pk_add_f32 v[4:5], v[186:187], v[4:5]
	v_mov_b32_e32 v188, v24
	s_waitcnt lgkmcnt(3)
	v_sub_f32_e32 v6, v202, v6
	v_pk_add_f32 v[4:5], v[188:189], v[4:5]
	v_mov_b32_e32 v190, v25
	v_mul_f32_e32 v6, v32, v6
	v_pk_add_f32 v[4:5], v[190:191], v[4:5]
	s_waitcnt lgkmcnt(2)
	v_mul_f32_e32 v19, v6, v3
	s_waitcnt lgkmcnt(1)
	v_sub_f32_e32 v3, v205, v8
	v_mov_b32_e32 v6, v26
	v_mul_f32_e32 v3, v33, v3
	v_pk_add_f32 v[4:5], v[6:7], v[4:5]
	v_mov_b32_e32 v8, v27
	s_waitcnt lgkmcnt(0)
	v_mul_f32_e32 v21, v3, v10
	v_pk_add_f32 v[4:5], v[8:9], v[4:5]
	v_mov_b32_e32 v10, v28
	v_pk_add_f32 v[4:5], v[10:11], v[4:5]
	v_mov_b32_e32 v12, v29
	;; [unrolled: 2-line block ×3, first 2 shown]
	ds_bpermute_b32 v3, v174, v171 offset:120
	v_pk_add_f32 v[4:5], v[14:15], v[4:5]
	v_mov_b32_e32 v16, v31
	v_pk_add_f32 v[4:5], v[16:17], v[4:5]
	v_mov_b32_e32 v18, v32
	;; [unrolled: 2-line block ×3, first 2 shown]
	v_pk_add_f32 v[6:7], v[20:21], v[4:5]
	ds_bpermute_b32 v5, v174, v170 offset:120
	s_waitcnt lgkmcnt(1)
	v_sub_f32_e32 v3, v204, v3
	v_mul_f32_e32 v8, v34, v3
	ds_bpermute_b32 v3, v174, v170 offset:124
	ds_bpermute_b32 v4, v174, v171 offset:124
	s_waitcnt lgkmcnt(2)
	v_mul_f32_e32 v9, v8, v5
	v_mov_b32_e32 v8, v34
	v_pk_add_f32 v[170:171], v[8:9], v[6:7]
	s_mov_b64 s[36:37], 0
.LBB97_75:                              ;   in Loop: Header=BB97_5 Depth=1
	s_and_b64 vcc, exec, s[36:37]
	s_cbranch_vccz .LBB97_4
; %bb.76:                               ;   in Loop: Header=BB97_5 Depth=1
	s_load_dword s9, s[24:25], 0x0
	v_mov_b32_e32 v175, 0
	v_mov_b32_e32 v170, 0
	;; [unrolled: 1-line block ×3, first 2 shown]
	s_waitcnt lgkmcnt(0)
	s_cmp_lt_u32 s2, s9
	s_cselect_b32 s9, 12, 18
	s_add_u32 s36, s24, s9
	s_addc_u32 s37, s25, 0
	global_load_ushort v3, v2, s[36:37]
	s_waitcnt vmcnt(0)
	v_mad_u32_u24 v3, v173, v3, v172
	v_and_b32_e32 v4, 63, v3
	v_cmp_gt_u32_e32 vcc, 32, v4
	s_and_saveexec_b64 s[36:37], vcc
	s_cbranch_execz .LBB97_80
; %bb.77:                               ;   in Loop: Header=BB97_5 Depth=1
	v_mov_b32_e32 v5, v2
	v_lshl_add_u64 v[4:5], v[102:103], 0, v[4:5]
	v_cmp_gt_i64_e32 vcc, s[12:13], v[4:5]
	v_mov_b32_e32 v171, 0
	v_mov_b32_e32 v170, 0
	s_and_saveexec_b64 s[38:39], vcc
	s_cbranch_execz .LBB97_79
; %bb.78:                               ;   in Loop: Header=BB97_5 Depth=1
	v_lshlrev_b64 v[4:5], 2, v[4:5]
	v_lshl_add_u64 v[6:7], s[22:23], 0, v[4:5]
	v_lshl_add_u64 v[4:5], s[20:21], 0, v[4:5]
	global_load_dword v171, v[4:5], off
	global_load_dword v170, v[6:7], off
.LBB97_79:                              ;   in Loop: Header=BB97_5 Depth=1
	s_or_b64 exec, exec, s[38:39]
.LBB97_80:                              ;   in Loop: Header=BB97_5 Depth=1
	s_or_b64 exec, exec, s[36:37]
	v_mov_b32_e32 v4, v2
	v_mov_b32_e32 v5, v2
	;; [unrolled: 1-line block ×31, first 2 shown]
	v_mov_b64_e32 v[34:35], v[32:33]
	v_mov_b64_e32 v[32:33], v[30:31]
	;; [unrolled: 1-line block ×16, first 2 shown]
	s_and_saveexec_b64 s[36:37], s[6:7]
	s_cbranch_execz .LBB97_82
; %bb.81:                               ;   in Loop: Header=BB97_5 Depth=1
	v_lshl_add_u64 v[4:5], v[38:39], 0, v[36:37]
	global_load_ushort v3, v[4:5], off
	v_lshl_add_u64 v[4:5], v[40:41], 0, v[36:37]
	global_load_ushort v102, v[4:5], off
	v_mov_b32_e32 v5, v2
	v_mov_b32_e32 v6, v2
	;; [unrolled: 1-line block ×31, first 2 shown]
	s_waitcnt vmcnt(1)
	v_lshlrev_b32_e32 v4, 16, v3
	s_waitcnt vmcnt(0)
	v_lshlrev_b32_e32 v175, 16, v102
.LBB97_82:                              ;   in Loop: Header=BB97_5 Depth=1
	s_or_b64 exec, exec, s[36:37]
	v_mov_b32_e32 v3, 0
	v_mov_b32_e32 v102, 0
	s_and_saveexec_b64 s[36:37], s[6:7]
	s_cbranch_execz .LBB97_84
; %bb.83:                               ;   in Loop: Header=BB97_5 Depth=1
	v_lshl_add_u64 v[102:103], v[164:165], 0, v[36:37]
	global_load_ushort v5, v[102:103], off
	v_lshl_add_u64 v[102:103], v[166:167], 0, v[36:37]
	global_load_ushort v102, v[102:103], off
	s_waitcnt vmcnt(1)
	v_lshlrev_b32_e32 v5, 16, v5
	s_waitcnt vmcnt(0)
	v_lshlrev_b32_e32 v102, 16, v102
.LBB97_84:                              ;   in Loop: Header=BB97_5 Depth=1
	s_or_b64 exec, exec, s[36:37]
	s_and_saveexec_b64 s[36:37], s[6:7]
	s_cbranch_execz .LBB97_86
; %bb.85:                               ;   in Loop: Header=BB97_5 Depth=1
	v_lshl_add_u64 v[176:177], v[160:161], 0, v[36:37]
	global_load_ushort v3, v[176:177], off
	v_lshl_add_u64 v[176:177], v[162:163], 0, v[36:37]
	global_load_ushort v103, v[176:177], off
	s_waitcnt vmcnt(1)
	v_lshlrev_b32_e32 v6, 16, v3
	s_waitcnt vmcnt(0)
	v_lshlrev_b32_e32 v3, 16, v103
.LBB97_86:                              ;   in Loop: Header=BB97_5 Depth=1
	s_or_b64 exec, exec, s[36:37]
	v_mov_b32_e32 v103, 0
	v_mov_b32_e32 v177, 0
	s_and_saveexec_b64 s[36:37], s[6:7]
	s_cbranch_execz .LBB97_88
; %bb.87:                               ;   in Loop: Header=BB97_5 Depth=1
	v_lshl_add_u64 v[176:177], v[156:157], 0, v[36:37]
	global_load_ushort v7, v[176:177], off
	v_lshl_add_u64 v[176:177], v[158:159], 0, v[36:37]
	global_load_ushort v176, v[176:177], off
	s_waitcnt vmcnt(1)
	v_lshlrev_b32_e32 v7, 16, v7
	s_waitcnt vmcnt(0)
	v_lshlrev_b32_e32 v177, 16, v176
.LBB97_88:                              ;   in Loop: Header=BB97_5 Depth=1
	s_or_b64 exec, exec, s[36:37]
	s_and_saveexec_b64 s[36:37], s[6:7]
	s_cbranch_execz .LBB97_90
; %bb.89:                               ;   in Loop: Header=BB97_5 Depth=1
	v_lshl_add_u64 v[178:179], v[152:153], 0, v[36:37]
	global_load_ushort v8, v[178:179], off
	v_lshl_add_u64 v[178:179], v[154:155], 0, v[36:37]
	global_load_ushort v103, v[178:179], off
	s_waitcnt vmcnt(1)
	v_lshlrev_b32_e32 v8, 16, v8
	s_waitcnt vmcnt(0)
	v_lshlrev_b32_e32 v103, 16, v103
.LBB97_90:                              ;   in Loop: Header=BB97_5 Depth=1
	;; [unrolled: 28-line block ×4, first 2 shown]
	s_or_b64 exec, exec, s[36:37]
	v_mov_b32_e32 v183, 0
	v_mov_b32_e32 v185, 0
	s_and_saveexec_b64 s[36:37], s[6:7]
	s_cbranch_execz .LBB97_100
; %bb.99:                               ;   in Loop: Header=BB97_5 Depth=1
	v_lshl_add_u64 v[184:185], v[132:133], 0, v[36:37]
	global_load_ushort v13, v[184:185], off
	v_lshl_add_u64 v[184:185], v[134:135], 0, v[36:37]
	global_load_ushort v176, v[184:185], off
	s_waitcnt vmcnt(1)
	v_lshlrev_b32_e32 v13, 16, v13
	s_waitcnt vmcnt(0)
	v_lshlrev_b32_e32 v185, 16, v176
.LBB97_100:                             ;   in Loop: Header=BB97_5 Depth=1
	s_or_b64 exec, exec, s[36:37]
	s_and_saveexec_b64 s[36:37], s[6:7]
	s_cbranch_execz .LBB97_102
; %bb.101:                              ;   in Loop: Header=BB97_5 Depth=1
	v_lshl_add_u64 v[182:183], v[128:129], 0, v[36:37]
	global_load_ushort v14, v[182:183], off
	v_lshl_add_u64 v[182:183], v[130:131], 0, v[36:37]
	global_load_ushort v176, v[182:183], off
	s_waitcnt vmcnt(1)
	v_lshlrev_b32_e32 v14, 16, v14
	s_waitcnt vmcnt(0)
	v_lshlrev_b32_e32 v183, 16, v176
.LBB97_102:                             ;   in Loop: Header=BB97_5 Depth=1
	s_or_b64 exec, exec, s[36:37]
	v_mov_b32_e32 v182, 0
	v_mov_b32_e32 v184, 0
	s_and_saveexec_b64 s[36:37], s[6:7]
	s_cbranch_execz .LBB97_104
; %bb.103:                              ;   in Loop: Header=BB97_5 Depth=1
	v_lshl_add_u64 v[186:187], v[124:125], 0, v[36:37]
	global_load_ushort v15, v[186:187], off
	v_lshl_add_u64 v[186:187], v[126:127], 0, v[36:37]
	global_load_ushort v176, v[186:187], off
	s_waitcnt vmcnt(1)
	v_lshlrev_b32_e32 v15, 16, v15
	s_waitcnt vmcnt(0)
	v_lshlrev_b32_e32 v184, 16, v176
.LBB97_104:                             ;   in Loop: Header=BB97_5 Depth=1
	s_or_b64 exec, exec, s[36:37]
	s_and_saveexec_b64 s[36:37], s[6:7]
	s_cbranch_execz .LBB97_106
; %bb.105:                              ;   in Loop: Header=BB97_5 Depth=1
	v_lshl_add_u64 v[186:187], v[120:121], 0, v[36:37]
	global_load_ushort v16, v[186:187], off
	v_lshl_add_u64 v[186:187], v[122:123], 0, v[36:37]
	global_load_ushort v176, v[186:187], off
	s_waitcnt vmcnt(1)
	v_lshlrev_b32_e32 v16, 16, v16
	s_waitcnt vmcnt(0)
	v_lshlrev_b32_e32 v182, 16, v176
.LBB97_106:                             ;   in Loop: Header=BB97_5 Depth=1
	s_or_b64 exec, exec, s[36:37]
	v_mov_b32_e32 v186, 0
	v_mov_b32_e32 v187, 0
	s_and_saveexec_b64 s[36:37], s[6:7]
	s_cbranch_execz .LBB97_108
; %bb.107:                              ;   in Loop: Header=BB97_5 Depth=1
	v_lshl_add_u64 v[188:189], v[116:117], 0, v[36:37]
	global_load_ushort v17, v[188:189], off
	v_lshl_add_u64 v[188:189], v[118:119], 0, v[36:37]
	global_load_ushort v176, v[188:189], off
	s_waitcnt vmcnt(1)
	v_lshlrev_b32_e32 v17, 16, v17
	s_waitcnt vmcnt(0)
	v_lshlrev_b32_e32 v187, 16, v176
.LBB97_108:                             ;   in Loop: Header=BB97_5 Depth=1
	;; [unrolled: 28-line block ×9, first 2 shown]
	s_or_b64 exec, exec, s[36:37]
	s_and_saveexec_b64 s[36:37], s[6:7]
	s_cbranch_execz .LBB97_138
; %bb.137:                              ;   in Loop: Header=BB97_5 Depth=1
	v_lshl_add_u64 v[200:201], v[54:55], 0, v[36:37]
	global_load_ushort v32, v[200:201], off
	v_lshl_add_u64 v[200:201], v[56:57], 0, v[36:37]
	global_load_ushort v176, v[200:201], off
	s_waitcnt vmcnt(1)
	v_lshlrev_b32_e32 v32, 16, v32
	s_waitcnt vmcnt(0)
	v_lshlrev_b32_e32 v200, 16, v176
.LBB97_138:                             ;   in Loop: Header=BB97_5 Depth=1
	s_or_b64 exec, exec, s[36:37]
	v_mov_b32_e32 v201, 0
	v_mov_b32_e32 v203, 0
	s_and_saveexec_b64 s[36:37], s[6:7]
	s_cbranch_execnz .LBB97_141
; %bb.139:                              ;   in Loop: Header=BB97_5 Depth=1
	s_or_b64 exec, exec, s[36:37]
	s_and_saveexec_b64 s[36:37], s[6:7]
	s_cbranch_execnz .LBB97_142
.LBB97_140:                             ;   in Loop: Header=BB97_5 Depth=1
	s_or_b64 exec, exec, s[36:37]
	v_mov_b32_e32 v176, 0
	s_and_saveexec_b64 s[36:37], s[6:7]
	s_cbranch_execz .LBB97_3
	s_branch .LBB97_143
.LBB97_141:                             ;   in Loop: Header=BB97_5 Depth=1
	v_lshl_add_u64 v[204:205], v[50:51], 0, v[36:37]
	global_load_ushort v33, v[204:205], off
	v_lshl_add_u64 v[204:205], v[52:53], 0, v[36:37]
	global_load_ushort v176, v[204:205], off
	s_waitcnt vmcnt(1)
	v_lshlrev_b32_e32 v33, 16, v33
	s_waitcnt vmcnt(0)
	v_lshlrev_b32_e32 v203, 16, v176
	s_or_b64 exec, exec, s[36:37]
	s_and_saveexec_b64 s[36:37], s[6:7]
	s_cbranch_execz .LBB97_140
.LBB97_142:                             ;   in Loop: Header=BB97_5 Depth=1
	v_lshl_add_u64 v[204:205], v[46:47], 0, v[36:37]
	global_load_ushort v34, v[204:205], off
	v_lshl_add_u64 v[204:205], v[48:49], 0, v[36:37]
	global_load_ushort v176, v[204:205], off
	s_waitcnt vmcnt(1)
	v_lshlrev_b32_e32 v34, 16, v34
	s_waitcnt vmcnt(0)
	v_lshlrev_b32_e32 v201, 16, v176
	s_or_b64 exec, exec, s[36:37]
	v_mov_b32_e32 v176, 0
	s_and_saveexec_b64 s[36:37], s[6:7]
	s_cbranch_execz .LBB97_3
.LBB97_143:                             ;   in Loop: Header=BB97_5 Depth=1
	v_lshl_add_u64 v[204:205], v[42:43], 0, v[36:37]
	global_load_ushort v35, v[204:205], off
	v_lshl_add_u64 v[204:205], v[44:45], 0, v[36:37]
	global_load_ushort v176, v[204:205], off
	s_waitcnt vmcnt(1)
	v_lshlrev_b32_e32 v35, 16, v35
	s_waitcnt vmcnt(0)
	v_lshlrev_b32_e32 v176, 16, v176
	s_branch .LBB97_3
.LBB97_144:
                                        ; implicit-def: $vgpr168_vgpr169
	s_branch .LBB97_147
.LBB97_145:
	v_mov_b32_e32 v168, 0
	v_mov_b32_e32 v169, v168
.LBB97_146:
	s_cbranch_execnz .LBB97_228
.LBB97_147:
	s_and_b64 vcc, exec, s[4:5]
	s_mov_b32 s5, 0
	s_cbranch_vccnz .LBB97_226
; %bb.148:
	v_mov_b32_e32 v2, 0
	v_bfe_u32 v6, v0, 10, 10
	v_and_b32_e32 v1, 0x3ff, v0
	v_lshlrev_b32_e32 v104, 5, v6
	v_mov_b32_e32 v105, v2
	v_accvgpr_write_b32 a1, v1
	v_add_u32_e32 v4, s3, v1
	v_mov_b32_e32 v5, v2
	v_accvgpr_write_b32 a0, v0
	v_lshl_add_u64 v[0:1], v[104:105], 0, s[10:11]
	v_lshlrev_b64 v[38:39], 1, v[4:5]
	v_mul_lo_u32 v3, s15, v0
	v_mul_lo_u32 v70, s14, v1
	v_mad_u64_u32 v[4:5], s[24:25], s14, v0, 0
	v_add3_u32 v5, v5, v70, v3
	v_lshlrev_b64 v[4:5], 1, v[4:5]
	v_lshl_add_u64 v[8:9], s[16:17], 0, v[4:5]
	v_lshl_add_u64 v[4:5], s[18:19], 0, v[4:5]
	v_accvgpr_write_b32 a9, v5
	v_accvgpr_write_b32 a8, v4
	v_lshlrev_b32_e32 v4, 6, v6
	v_mov_b32_e32 v5, v2
	v_lshl_add_u64 v[4:5], s[10:11], 1, v[4:5]
	v_lshl_add_u64 v[58:59], v[4:5], 0, 2
	v_mov_b64_e32 v[68:69], s[16:17]
	v_accvgpr_write_b32 a2, v6
	v_mad_u64_u32 v[6:7], s[26:27], s14, v58, v[68:69]
	v_mul_lo_u32 v59, s14, v59
	v_mul_lo_u32 v71, s15, v58
	v_add3_u32 v7, v71, v7, v59
	v_accvgpr_write_b32 a11, v7
	v_lshl_add_u64 v[62:63], v[4:5], 0, 4
	v_accvgpr_write_b32 a10, v6
	v_mad_u64_u32 v[6:7], s[26:27], s14, v62, v[68:69]
	v_mul_lo_u32 v63, s14, v63
	v_mul_lo_u32 v72, s15, v62
	v_add3_u32 v7, v72, v7, v63
	v_accvgpr_write_b32 a13, v7
	v_lshl_add_u64 v[64:65], v[4:5], 0, 6
	;; [unrolled: 7-line block ×27, first 2 shown]
	v_accvgpr_write_b32 a62, v6
	v_mad_u64_u32 v[6:7], s[26:27], s14, v10, v[68:69]
	v_mul_lo_u32 v11, s14, v11
	v_mul_lo_u32 v98, s15, v10
	v_accvgpr_write_b32 a6, v8
	v_add3_u32 v7, v98, v7, v11
	v_accvgpr_write_b32 a7, v9
	v_accvgpr_write_b32 a65, v7
	v_lshl_add_u64 v[8:9], v[4:5], 0, 58
	v_accvgpr_write_b32 a64, v6
	v_mad_u64_u32 v[6:7], s[26:27], s14, v8, v[68:69]
	v_mul_lo_u32 v9, s14, v9
	v_mul_lo_u32 v99, s15, v8
	v_add3_u32 v7, v99, v7, v9
	v_accvgpr_write_b32 a67, v7
	v_accvgpr_write_b32 a66, v6
	v_lshl_add_u64 v[6:7], v[4:5], 0, 60
	v_lshl_add_u64 v[4:5], v[4:5], 0, 62
	v_mad_u64_u32 v[102:103], s[26:27], s14, v6, v[68:69]
	v_mul_lo_u32 v100, s14, v7
	v_mad_u64_u32 v[68:69], s[26:27], s14, v4, v[68:69]
	v_mul_lo_u32 v5, s14, v5
	v_mul_lo_u32 v7, s15, v4
	v_add3_u32 v69, v7, v69, v5
	v_accvgpr_write_b32 a71, v69
	v_accvgpr_write_b32 a70, v68
	v_mov_b64_e32 v[68:69], s[18:19]
	v_mad_u64_u32 v[166:167], s[26:27], s14, v4, v[68:69]
	v_add3_u32 v167, v7, v167, v5
	v_lshl_add_u64 v[4:5], v[0:1], 0, 31
	v_mul_lo_u32 v101, s15, v6
	v_mad_u64_u32 v[164:165], s[26:27], s14, v6, v[68:69]
	v_mul_lo_u32 v6, s15, v4
	v_mul_lo_u32 v7, s14, v5
	v_mad_u64_u32 v[4:5], s[28:29], s14, v4, 0
	v_add3_u32 v5, v5, v7, v6
	v_mad_u64_u32 v[124:125], s[26:27], s14, v48, v[68:69]
	v_mad_u64_u32 v[126:127], s[26:27], s14, v46, v[68:69]
	v_lshlrev_b64 v[4:5], 1, v[4:5]
	v_add3_u32 v125, v80, v125, v49
	v_add3_u32 v127, v81, v127, v47
	v_lshl_add_u64 v[80:81], s[16:17], 0, v[4:5]
	v_lshl_add_u64 v[170:171], s[18:19], 0, v[4:5]
	v_lshl_add_u64 v[4:5], v[0:1], 0, 30
	v_mul_lo_u32 v6, s15, v4
	v_mul_lo_u32 v7, s14, v5
	v_mad_u64_u32 v[4:5], s[28:29], s14, v4, 0
	v_add3_u32 v5, v5, v7, v6
	v_lshlrev_b64 v[4:5], 1, v[4:5]
	v_lshl_add_u64 v[172:173], s[16:17], 0, v[4:5]
	v_lshl_add_u64 v[174:175], s[18:19], 0, v[4:5]
	v_lshl_add_u64 v[4:5], v[0:1], 0, 29
	v_mul_lo_u32 v6, s15, v4
	v_mul_lo_u32 v7, s14, v5
	v_mad_u64_u32 v[4:5], s[28:29], s14, v4, 0
	v_add3_u32 v5, v5, v7, v6
	v_lshlrev_b64 v[4:5], 1, v[4:5]
	;; [unrolled: 8-line block ×8, first 2 shown]
	v_lshl_add_u64 v[200:201], s[16:17], 0, v[4:5]
	v_lshl_add_u64 v[202:203], s[18:19], 0, v[4:5]
	;; [unrolled: 1-line block ×3, first 2 shown]
	v_mul_lo_u32 v6, s15, v4
	v_mul_lo_u32 v7, s14, v5
	v_mad_u64_u32 v[4:5], s[28:29], s14, v4, 0
	v_mad_u64_u32 v[162:163], s[26:27], s14, v8, v[68:69]
	v_add3_u32 v5, v5, v7, v6
	v_lshl_add_u64 v[6:7], v[0:1], 0, 21
	v_add3_u32 v163, v99, v163, v9
	v_mul_lo_u32 v8, s15, v6
	v_mul_lo_u32 v9, s14, v7
	v_mad_u64_u32 v[6:7], s[28:29], s14, v6, 0
	v_mad_u64_u32 v[160:161], s[26:27], s14, v10, v[68:69]
	v_add3_u32 v7, v7, v9, v8
	v_lshl_add_u64 v[8:9], v[0:1], 0, 20
	v_add3_u32 v161, v98, v161, v11
	;; [unrolled: 7-line block ×14, first 2 shown]
	v_mul_lo_u32 v34, s15, v32
	v_mul_lo_u32 v35, s14, v33
	v_mad_u64_u32 v[32:33], s[28:29], s14, v32, 0
	v_add3_u32 v103, v101, v103, v100
	v_accvgpr_write_b32 a68, v102
	v_mad_u64_u32 v[134:135], s[26:27], s14, v36, v[68:69]
	v_add3_u32 v33, v33, v35, v34
	v_lshl_add_u64 v[34:35], v[0:1], 0, 7
	v_accvgpr_write_b32 a69, v103
	v_mad_u64_u32 v[102:103], s[26:27], s14, v58, v[68:69]
	v_add3_u32 v135, v85, v135, v37
	v_mul_lo_u32 v36, s15, v34
	v_mul_lo_u32 v37, s14, v35
	v_mad_u64_u32 v[34:35], s[28:29], s14, v34, 0
	v_add3_u32 v103, v71, v103, v59
	v_mad_u64_u32 v[58:59], s[26:27], s14, v62, v[68:69]
	v_mad_u64_u32 v[132:133], s[26:27], s14, v40, v[68:69]
	v_add3_u32 v35, v35, v37, v36
	v_lshl_add_u64 v[36:37], v[0:1], 0, 6
	v_add3_u32 v59, v72, v59, v63
	v_add3_u32 v133, v84, v133, v41
	v_mul_lo_u32 v40, s15, v36
	v_mul_lo_u32 v41, s14, v37
	v_mad_u64_u32 v[36:37], s[28:29], s14, v36, 0
	v_accvgpr_write_b32 a75, v59
	v_mad_u64_u32 v[130:131], s[26:27], s14, v42, v[68:69]
	v_add3_u32 v37, v37, v41, v40
	v_lshl_add_u64 v[40:41], v[0:1], 0, 5
	v_accvgpr_write_b32 a74, v58
	v_mad_u64_u32 v[58:59], s[26:27], s14, v64, v[68:69]
	v_add3_u32 v131, v83, v131, v43
	v_mul_lo_u32 v42, s15, v40
	v_mul_lo_u32 v43, s14, v41
	v_mad_u64_u32 v[40:41], s[28:29], s14, v40, 0
	v_add3_u32 v59, v73, v59, v65
	v_mad_u64_u32 v[128:129], s[26:27], s14, v44, v[68:69]
	v_add3_u32 v41, v41, v43, v42
	v_lshl_add_u64 v[42:43], v[0:1], 0, 4
	v_accvgpr_write_b32 a77, v59
	v_add3_u32 v129, v82, v129, v45
	v_mul_lo_u32 v44, s15, v42
	v_mul_lo_u32 v45, s14, v43
	v_mad_u64_u32 v[42:43], s[28:29], s14, v42, 0
	v_accvgpr_write_b32 a76, v58
	v_mad_u64_u32 v[58:59], s[26:27], s14, v66, v[68:69]
	v_add3_u32 v43, v43, v45, v44
	v_lshl_add_u64 v[44:45], v[0:1], 0, 3
	v_add3_u32 v59, v74, v59, v67
	v_mul_lo_u32 v46, s15, v44
	v_mul_lo_u32 v45, s14, v45
	v_mad_u64_u32 v[66:67], s[28:29], s14, v44, 0
	v_add3_u32 v67, v67, v45, v46
	v_lshl_add_u64 v[44:45], v[0:1], 0, 2
	v_accvgpr_write_b32 a79, v59
	v_mul_lo_u32 v1, s15, v44
	v_mul_lo_u32 v45, s14, v45
	v_mad_u64_u32 v[72:73], s[28:29], s14, v44, 0
	v_accvgpr_write_b32 a78, v58
	v_mad_u64_u32 v[58:59], s[26:27], s14, v60, v[68:69]
	v_add3_u32 v73, v73, v45, v1
	v_mov_b64_e32 v[44:45], s[14:15]
	v_add3_u32 v59, v75, v59, v61
	v_mad_u64_u32 v[74:75], s[28:29], s14, v0, v[44:45]
	v_lshlrev_b64 v[0:1], 1, v[6:7]
	v_lshl_add_u64 v[208:209], s[16:17], 0, v[0:1]
	v_lshl_add_u64 v[210:211], s[18:19], 0, v[0:1]
	v_lshlrev_b64 v[0:1], 1, v[8:9]
	v_accvgpr_write_b32 a81, v59
	v_lshl_add_u64 v[212:213], s[16:17], 0, v[0:1]
	v_lshl_add_u64 v[214:215], s[18:19], 0, v[0:1]
	v_lshlrev_b64 v[0:1], 1, v[10:11]
	v_accvgpr_write_b32 a80, v58
	v_mad_u64_u32 v[58:59], s[26:27], s14, v56, v[68:69]
	v_lshl_add_u64 v[216:217], s[16:17], 0, v[0:1]
	v_lshl_add_u64 v[218:219], s[18:19], 0, v[0:1]
	v_lshlrev_b64 v[0:1], 1, v[12:13]
	v_add3_u32 v59, v76, v59, v57
	v_mad_u64_u32 v[56:57], s[26:27], s14, v54, v[68:69]
	v_lshlrev_b64 v[4:5], 1, v[4:5]
	v_lshl_add_u64 v[220:221], s[16:17], 0, v[0:1]
	v_lshl_add_u64 v[222:223], s[18:19], 0, v[0:1]
	v_lshlrev_b64 v[0:1], 1, v[14:15]
	s_load_dword s3, s[0:1], 0x44
	v_add3_u32 v57, v77, v57, v55
	v_mad_u64_u32 v[54:55], s[26:27], s14, v52, v[68:69]
	v_lshl_add_u64 v[204:205], s[16:17], 0, v[4:5]
	v_lshl_add_u64 v[206:207], s[18:19], 0, v[4:5]
	;; [unrolled: 1-line block ×4, first 2 shown]
	v_lshlrev_b64 v[0:1], 1, v[16:17]
	v_lshlrev_b64 v[4:5], 1, v[32:33]
	v_add3_u32 v55, v78, v55, v53
	v_mad_u64_u32 v[122:123], s[26:27], s14, v50, v[68:69]
	v_lshl_add_u64 v[228:229], s[16:17], 0, v[0:1]
	v_lshl_add_u64 v[230:231], s[18:19], 0, v[0:1]
	v_lshlrev_b64 v[0:1], 1, v[18:19]
	v_lshl_add_u64 v[46:47], s[16:17], 0, v[4:5]
	v_lshl_add_u64 v[48:49], s[18:19], 0, v[4:5]
	v_lshlrev_b64 v[4:5], 1, v[34:35]
	v_accvgpr_write_b32 a85, v57
	v_accvgpr_write_b32 a87, v55
	v_add3_u32 v123, v79, v123, v51
	v_lshl_add_u64 v[232:233], s[16:17], 0, v[0:1]
	v_lshl_add_u64 v[234:235], s[18:19], 0, v[0:1]
	v_lshlrev_b64 v[0:1], 1, v[20:21]
	v_lshl_add_u64 v[50:51], s[16:17], 0, v[4:5]
	v_lshl_add_u64 v[52:53], s[18:19], 0, v[4:5]
	v_lshlrev_b64 v[4:5], 1, v[36:37]
	v_accvgpr_write_b32 a83, v59
	v_accvgpr_write_b32 a84, v56
	;; [unrolled: 1-line block ×3, first 2 shown]
	v_lshl_add_u64 v[236:237], s[16:17], 0, v[0:1]
	v_lshl_add_u64 v[238:239], s[18:19], 0, v[0:1]
	v_lshlrev_b64 v[0:1], 1, v[22:23]
	v_lshl_add_u64 v[54:55], s[16:17], 0, v[4:5]
	v_lshl_add_u64 v[56:57], s[18:19], 0, v[4:5]
	v_lshlrev_b64 v[4:5], 1, v[40:41]
	s_add_u32 s6, s0, 64
	v_accvgpr_write_b32 a82, v58
	v_lshl_add_u64 v[240:241], s[16:17], 0, v[0:1]
	v_lshl_add_u64 v[242:243], s[18:19], 0, v[0:1]
	v_lshlrev_b64 v[0:1], 1, v[24:25]
	v_lshl_add_u64 v[58:59], s[16:17], 0, v[4:5]
	v_lshl_add_u64 v[60:61], s[18:19], 0, v[4:5]
	v_lshlrev_b64 v[4:5], 1, v[42:43]
	s_addc_u32 s7, s1, 0
	s_waitcnt lgkmcnt(0)
	s_lshl_b32 s4, s3, 5
	v_add3_u32 v75, v3, v75, v70
	v_lshl_add_u64 v[244:245], s[16:17], 0, v[0:1]
	v_lshl_add_u64 v[246:247], s[18:19], 0, v[0:1]
	v_lshlrev_b64 v[0:1], 1, v[26:27]
	v_lshl_add_u64 v[62:63], s[16:17], 0, v[4:5]
	v_lshl_add_u64 v[64:65], s[18:19], 0, v[4:5]
	v_lshlrev_b64 v[4:5], 1, v[66:67]
	v_mbcnt_lo_u32_b32 v3, -1, 0
	s_mul_i32 s3, s15, s4
	s_mul_hi_u32 s9, s14, s4
	v_lshl_add_u64 v[248:249], s[16:17], 0, v[0:1]
	v_lshl_add_u64 v[250:251], s[18:19], 0, v[0:1]
	v_lshlrev_b64 v[0:1], 1, v[28:29]
	v_lshl_add_u64 v[66:67], s[16:17], 0, v[4:5]
	v_lshl_add_u64 v[68:69], s[18:19], 0, v[4:5]
	v_lshlrev_b64 v[4:5], 1, v[72:73]
	v_mbcnt_hi_u32_b32 v3, -1, v3
	s_add_i32 s25, s9, s3
	s_mul_i32 s24, s14, s4
	v_accvgpr_write_b32 a72, v102
	v_lshl_add_u64 v[252:253], s[16:17], 0, v[0:1]
	v_lshl_add_u64 v[254:255], s[18:19], 0, v[0:1]
	v_lshlrev_b64 v[0:1], 1, v[30:31]
	v_lshl_add_u64 v[70:71], s[16:17], 0, v[4:5]
	v_lshl_add_u64 v[72:73], s[18:19], 0, v[4:5]
	v_lshlrev_b64 v[4:5], 1, v[74:75]
	v_lshlrev_b32_e32 v3, 2, v3
	s_lshl_b64 s[24:25], s[24:25], 1
	v_accvgpr_write_b32 a73, v103
	v_add3_u32 v165, v101, v165, v100
	s_mov_b64 s[26:27], 31
	v_lshl_add_u64 v[44:45], s[16:17], 0, v[0:1]
	v_lshl_add_u64 v[0:1], s[18:19], 0, v[0:1]
	;; [unrolled: 1-line block ×4, first 2 shown]
	v_and_b32_e32 v106, 0x100, v3
	v_mov_b32_e32 v102, 0
	v_mov_b32_e32 v103, v2
	s_mov_b64 s[16:17], s[10:11]
	s_branch .LBB97_152
.LBB97_149:                             ;   in Loop: Header=BB97_152 Depth=1
	s_or_b64 exec, exec, s[28:29]
.LBB97_150:                             ;   in Loop: Header=BB97_152 Depth=1
	s_or_b64 exec, exec, s[18:19]
	v_accvgpr_read_b32 v4, a6
	v_accvgpr_read_b32 v5, a7
	v_lshl_add_u64 v[4:5], v[4:5], 0, v[38:39]
	global_load_ushort v4, v[4:5], off
	v_lshl_add_u64 v[6:7], v[148:149], 0, v[38:39]
	v_lshl_add_u64 v[8:9], v[150:151], 0, v[38:39]
	;; [unrolled: 1-line block ×9, first 2 shown]
	s_waitcnt vmcnt(0)
	v_lshlrev_b32_e32 v42, 16, v4
	v_accvgpr_read_b32 v4, a8
	v_accvgpr_read_b32 v5, a9
	v_lshl_add_u64 v[4:5], v[4:5], 0, v[38:39]
	global_load_ushort v4, v[4:5], off
	s_waitcnt vmcnt(0)
	v_lshlrev_b32_e32 v43, 16, v4
	v_accvgpr_read_b32 v4, a10
	v_accvgpr_read_b32 v5, a11
	v_lshl_add_u64 v[4:5], v[4:5], 0, v[38:39]
	global_load_ushort v4, v[4:5], off
	;; [unrolled: 6-line block ×18, first 2 shown]
	s_waitcnt vmcnt(0)
	v_lshlrev_b32_e32 v104, 16, v4
	v_lshl_add_u64 v[4:5], v[122:123], 0, v[38:39]
	global_load_ushort v4, v[4:5], off
	s_waitcnt vmcnt(0)
	v_lshlrev_b32_e32 v105, 16, v4
	v_accvgpr_read_b32 v4, a28
	v_accvgpr_read_b32 v5, a29
	v_lshl_add_u64 v[4:5], v[4:5], 0, v[38:39]
	global_load_ushort v4, v[4:5], off
	s_waitcnt vmcnt(0)
	v_lshlrev_b32_e32 v36, 16, v4
	v_lshl_add_u64 v[4:5], v[124:125], 0, v[38:39]
	global_load_ushort v4, v[4:5], off
	s_waitcnt vmcnt(0)
	v_lshlrev_b32_e32 v37, 16, v4
	v_accvgpr_read_b32 v4, a30
	v_accvgpr_read_b32 v5, a31
	v_lshl_add_u64 v[4:5], v[4:5], 0, v[38:39]
	global_load_ushort v4, v[4:5], off
	;; [unrolled: 10-line block ×13, first 2 shown]
	s_waitcnt vmcnt(0)
	v_lshlrev_b32_e32 v4, 16, v4
	global_load_ushort v5, v[6:7], off
	v_accvgpr_read_b32 v6, a54
	v_accvgpr_read_b32 v7, a55
	v_lshl_add_u64 v[6:7], v[6:7], 0, v[38:39]
	global_load_ushort v6, v[6:7], off
	s_waitcnt vmcnt(1)
	v_lshlrev_b32_e32 v5, 16, v5
	global_load_ushort v7, v[8:9], off
	v_accvgpr_read_b32 v8, a56
	v_accvgpr_read_b32 v9, a57
	v_lshl_add_u64 v[8:9], v[8:9], 0, v[38:39]
	global_load_ushort v8, v[8:9], off
	s_waitcnt vmcnt(2)
	v_lshlrev_b32_e32 v6, 16, v6
	global_load_ushort v9, v[10:11], off
	v_accvgpr_read_b32 v10, a58
	v_accvgpr_read_b32 v11, a59
	v_lshl_add_u64 v[10:11], v[10:11], 0, v[38:39]
	global_load_ushort v10, v[10:11], off
	s_waitcnt vmcnt(3)
	v_lshlrev_b32_e32 v7, 16, v7
	global_load_ushort v11, v[12:13], off
	v_accvgpr_read_b32 v12, a60
	v_accvgpr_read_b32 v13, a61
	v_lshl_add_u64 v[12:13], v[12:13], 0, v[38:39]
	global_load_ushort v12, v[12:13], off
	s_waitcnt vmcnt(3)
	v_lshlrev_b32_e32 v9, 16, v9
	global_load_ushort v13, v[14:15], off
	v_accvgpr_read_b32 v14, a62
	v_accvgpr_read_b32 v15, a63
	v_lshl_add_u64 v[14:15], v[14:15], 0, v[38:39]
	global_load_ushort v14, v[14:15], off
	v_lshlrev_b32_e32 v8, 16, v8
	global_load_ushort v15, v[18:19], off
	v_accvgpr_read_b32 v18, a64
	v_accvgpr_read_b32 v19, a65
	v_lshl_add_u64 v[18:19], v[18:19], 0, v[38:39]
	global_load_ushort v16, v[18:19], off
	s_waitcnt vmcnt(6)
	v_lshlrev_b32_e32 v10, 16, v10
	s_waitcnt vmcnt(5)
	v_lshlrev_b32_e32 v11, 16, v11
	;; [unrolled: 2-line block ×7, first 2 shown]
	global_load_ushort v16, v[20:21], off
	v_accvgpr_read_b32 v20, a66
	v_accvgpr_read_b32 v21, a67
	v_lshl_add_u64 v[20:21], v[20:21], 0, v[38:39]
	s_waitcnt vmcnt(0)
	v_lshlrev_b32_e32 v19, 16, v16
	global_load_ushort v16, v[20:21], off
	s_waitcnt vmcnt(0)
	v_lshlrev_b32_e32 v20, 16, v16
	global_load_ushort v16, v[22:23], off
	v_accvgpr_read_b32 v22, a68
	v_accvgpr_read_b32 v23, a69
	v_lshl_add_u64 v[22:23], v[22:23], 0, v[38:39]
	s_waitcnt vmcnt(0)
	v_lshlrev_b32_e32 v21, 16, v16
	global_load_ushort v16, v[22:23], off
	s_waitcnt vmcnt(0)
	v_lshlrev_b32_e32 v22, 16, v16
	global_load_ushort v16, v[108:109], off
	v_accvgpr_read_b32 v109, a71
	v_accvgpr_read_b32 v108, a70
	v_lshl_add_u64 v[108:109], v[108:109], 0, v[38:39]
	s_waitcnt vmcnt(0)
	v_lshlrev_b32_e32 v23, 16, v16
	global_load_ushort v16, v[108:109], off
	v_lshl_add_u64 v[108:109], v[166:167], 0, v[38:39]
	global_load_ushort v107, v[108:109], off
	ds_bpermute_b32 v109, v106, v3
	ds_bpermute_b32 v108, v106, v17
	s_waitcnt lgkmcnt(1)
	v_sub_f32_e32 v43, v43, v109
	ds_bpermute_b32 v109, v106, v3 offset:4
	v_mul_f32_e32 v43, v43, v42
	s_waitcnt lgkmcnt(1)
	v_mul_f32_e32 v43, v43, v108
	ds_bpermute_b32 v108, v106, v17 offset:4
	v_pk_add_f32 v[42:43], v[102:103], v[42:43]
	s_waitcnt lgkmcnt(1)
	v_sub_f32_e32 v89, v89, v109
	ds_bpermute_b32 v109, v106, v3 offset:8
	v_mul_f32_e32 v89, v89, v88
	s_waitcnt lgkmcnt(1)
	v_mul_f32_e32 v89, v89, v108
	ds_bpermute_b32 v108, v106, v17 offset:8
	v_pk_add_f32 v[42:43], v[42:43], v[88:89]
	;; [unrolled: 8-line block ×10, first 2 shown]
	s_waitcnt lgkmcnt(1)
	v_sub_f32_e32 v37, v37, v109
	v_mul_f32_e32 v37, v37, v36
	s_waitcnt lgkmcnt(0)
	v_mul_f32_e32 v37, v37, v108
	v_pk_add_f32 v[36:37], v[42:43], v[36:37]
	ds_bpermute_b32 v43, v106, v3 offset:44
	ds_bpermute_b32 v42, v106, v17 offset:44
	s_waitcnt lgkmcnt(1)
	v_sub_f32_e32 v25, v25, v43
	ds_bpermute_b32 v43, v106, v3 offset:48
	v_mul_f32_e32 v25, v25, v24
	s_waitcnt lgkmcnt(1)
	v_mul_f32_e32 v25, v25, v42
	ds_bpermute_b32 v42, v106, v17 offset:48
	v_pk_add_f32 v[24:25], v[36:37], v[24:25]
	s_waitcnt lgkmcnt(1)
	v_sub_f32_e32 v27, v27, v43
	ds_bpermute_b32 v43, v106, v3 offset:52
	v_mul_f32_e32 v27, v27, v26
	s_waitcnt lgkmcnt(1)
	v_mul_f32_e32 v27, v27, v42
	ds_bpermute_b32 v42, v106, v17 offset:52
	v_pk_add_f32 v[24:25], v[24:25], v[26:27]
	s_waitcnt lgkmcnt(1)
	v_sub_f32_e32 v29, v29, v43
	ds_bpermute_b32 v43, v106, v3 offset:56
	v_mul_f32_e32 v29, v29, v28
	s_waitcnt lgkmcnt(1)
	v_mul_f32_e32 v29, v29, v42
	ds_bpermute_b32 v42, v106, v17 offset:56
	ds_bpermute_b32 v27, v106, v3 offset:88
	s_waitcnt lgkmcnt(2)
	v_sub_f32_e32 v31, v31, v43
	ds_bpermute_b32 v43, v106, v3 offset:60
	v_mul_f32_e32 v31, v31, v30
	s_waitcnt lgkmcnt(2)
	v_mul_f32_e32 v31, v31, v42
	ds_bpermute_b32 v42, v106, v17 offset:60
	ds_bpermute_b32 v26, v106, v17 offset:88
	s_waitcnt lgkmcnt(2)
	v_sub_f32_e32 v33, v33, v43
	ds_bpermute_b32 v43, v106, v3 offset:64
	v_mul_f32_e32 v33, v33, v32
	s_waitcnt lgkmcnt(2)
	v_mul_f32_e32 v33, v33, v42
	ds_bpermute_b32 v42, v106, v17 offset:64
	v_sub_f32_e32 v5, v5, v27
	s_waitcnt lgkmcnt(1)
	v_sub_f32_e32 v35, v35, v43
	ds_bpermute_b32 v43, v106, v3 offset:68
	ds_bpermute_b32 v27, v106, v3 offset:92
	v_mul_f32_e32 v35, v35, v34
	v_mul_f32_e32 v5, v5, v4
	s_waitcnt lgkmcnt(2)
	v_mul_f32_e32 v35, v35, v42
	ds_bpermute_b32 v42, v106, v17 offset:68
	v_mul_f32_e32 v5, v5, v26
	ds_bpermute_b32 v26, v106, v17 offset:92
	s_waitcnt lgkmcnt(3)
	v_sub_f32_e32 v43, v83, v43
	s_waitcnt lgkmcnt(2)
	v_sub_f32_e32 v7, v7, v27
	ds_bpermute_b32 v27, v106, v3 offset:96
	v_mul_f32_e32 v43, v43, v82
	v_mul_f32_e32 v7, v7, v6
	s_waitcnt lgkmcnt(2)
	v_mul_f32_e32 v83, v43, v42
	ds_bpermute_b32 v43, v106, v3 offset:72
	s_waitcnt lgkmcnt(2)
	v_mul_f32_e32 v7, v7, v26
	ds_bpermute_b32 v26, v106, v17 offset:96
	ds_bpermute_b32 v42, v106, v17 offset:72
	s_waitcnt lgkmcnt(3)
	v_sub_f32_e32 v9, v9, v27
	ds_bpermute_b32 v27, v106, v3 offset:100
	v_mul_f32_e32 v9, v9, v8
	s_waitcnt lgkmcnt(3)
	v_sub_f32_e32 v43, v169, v43
	s_waitcnt lgkmcnt(2)
	v_mul_f32_e32 v9, v9, v26
	ds_bpermute_b32 v26, v106, v17 offset:100
	v_mul_f32_e32 v43, v43, v168
	s_waitcnt lgkmcnt(2)
	v_mul_f32_e32 v169, v43, v42
	ds_bpermute_b32 v43, v106, v3 offset:76
	s_waitcnt lgkmcnt(2)
	v_sub_f32_e32 v11, v11, v27
	ds_bpermute_b32 v27, v106, v3 offset:104
	ds_bpermute_b32 v42, v106, v17 offset:76
	v_mul_f32_e32 v11, v11, v10
	s_waitcnt lgkmcnt(3)
	v_mul_f32_e32 v11, v11, v26
	ds_bpermute_b32 v26, v106, v17 offset:104
	s_waitcnt lgkmcnt(3)
	v_sub_f32_e32 v43, v85, v43
	v_mul_f32_e32 v43, v43, v84
	s_waitcnt lgkmcnt(2)
	v_sub_f32_e32 v13, v13, v27
	ds_bpermute_b32 v27, v106, v3 offset:108
	s_waitcnt lgkmcnt(2)
	v_mul_f32_e32 v85, v43, v42
	ds_bpermute_b32 v43, v106, v3 offset:80
	v_mul_f32_e32 v13, v13, v12
	s_waitcnt lgkmcnt(2)
	v_mul_f32_e32 v13, v13, v26
	ds_bpermute_b32 v26, v106, v17 offset:108
	ds_bpermute_b32 v42, v106, v17 offset:80
	s_waitcnt lgkmcnt(3)
	v_sub_f32_e32 v15, v15, v27
	ds_bpermute_b32 v27, v106, v3 offset:112
	s_waitcnt lgkmcnt(3)
	v_sub_f32_e32 v41, v41, v43
	ds_bpermute_b32 v43, v106, v3 offset:84
	v_pk_add_f32 v[24:25], v[24:25], v[28:29]
	v_mul_f32_e32 v15, v15, v14
	v_mul_f32_e32 v41, v41, v40
	v_pk_add_f32 v[24:25], v[24:25], v[30:31]
	s_waitcnt lgkmcnt(3)
	v_mul_f32_e32 v15, v15, v26
	ds_bpermute_b32 v26, v106, v17 offset:112
	s_waitcnt lgkmcnt(3)
	v_mul_f32_e32 v41, v41, v42
	ds_bpermute_b32 v42, v106, v17 offset:84
	v_pk_add_f32 v[24:25], v[24:25], v[32:33]
	s_waitcnt lgkmcnt(3)
	v_sub_f32_e32 v19, v19, v27
	v_pk_add_f32 v[24:25], v[24:25], v[34:35]
	ds_bpermute_b32 v27, v106, v3 offset:116
	v_pk_add_f32 v[24:25], v[24:25], v[82:83]
	s_waitcnt lgkmcnt(3)
	v_sub_f32_e32 v43, v87, v43
	v_pk_add_f32 v[24:25], v[24:25], v[168:169]
	v_mul_f32_e32 v19, v19, v18
	v_mul_f32_e32 v43, v43, v86
	v_pk_add_f32 v[24:25], v[24:25], v[84:85]
	s_waitcnt lgkmcnt(2)
	v_mul_f32_e32 v19, v19, v26
	ds_bpermute_b32 v26, v106, v17 offset:116
	s_waitcnt lgkmcnt(2)
	v_mul_f32_e32 v87, v43, v42
	v_pk_add_f32 v[24:25], v[24:25], v[40:41]
	s_waitcnt lgkmcnt(1)
	v_sub_f32_e32 v21, v21, v27
	v_pk_add_f32 v[24:25], v[24:25], v[86:87]
	ds_bpermute_b32 v27, v106, v3 offset:120
	v_pk_add_f32 v[4:5], v[24:25], v[4:5]
	v_mul_f32_e32 v21, v21, v20
	v_pk_add_f32 v[4:5], v[4:5], v[6:7]
	ds_bpermute_b32 v3, v106, v3 offset:124
	s_waitcnt lgkmcnt(2)
	v_mul_f32_e32 v21, v21, v26
	ds_bpermute_b32 v26, v106, v17 offset:120
	v_pk_add_f32 v[4:5], v[4:5], v[8:9]
	ds_bpermute_b32 v6, v106, v17 offset:124
	v_pk_add_f32 v[4:5], v[4:5], v[10:11]
	s_waitcnt vmcnt(0)
	v_lshlrev_b32_e32 v107, 16, v107
	v_pk_add_f32 v[4:5], v[4:5], v[12:13]
	s_waitcnt lgkmcnt(3)
	v_sub_f32_e32 v23, v23, v27
	v_pk_add_f32 v[4:5], v[4:5], v[14:15]
	v_lshlrev_b32_e32 v16, 16, v16
	v_mul_f32_e32 v23, v23, v22
	v_pk_add_f32 v[4:5], v[4:5], v[18:19]
	s_waitcnt lgkmcnt(2)
	v_sub_f32_e32 v3, v107, v3
	s_waitcnt lgkmcnt(1)
	v_mul_f32_e32 v23, v23, v26
	v_pk_add_f32 v[4:5], v[4:5], v[20:21]
	v_mul_f32_e32 v3, v3, v16
	v_pk_add_f32 v[4:5], v[4:5], v[22:23]
	s_waitcnt lgkmcnt(0)
	v_mul_f32_e32 v17, v3, v6
	v_pk_add_f32 v[168:169], v[4:5], v[16:17]
.LBB97_151:                             ;   in Loop: Header=BB97_152 Depth=1
	s_add_u32 s16, s16, s4
	s_addc_u32 s17, s17, 0
	v_mov_b64_e32 v[4:5], s[12:13]
	v_cmp_ge_i64_e32 vcc, s[16:17], v[4:5]
	v_accvgpr_read_b32 v4, a6
	v_accvgpr_read_b32 v5, a7
	v_lshl_add_u64 v[4:5], v[4:5], 0, s[24:25]
	v_accvgpr_write_b32 a7, v5
	v_accvgpr_write_b32 a6, v4
	v_accvgpr_read_b32 v4, a8
	v_accvgpr_read_b32 v5, a9
	v_lshl_add_u64 v[4:5], v[4:5], 0, s[24:25]
	v_accvgpr_write_b32 a9, v5
	v_accvgpr_write_b32 a8, v4
	;; [unrolled: 5-line block ×40, first 2 shown]
	v_accvgpr_read_b32 v4, a86
	v_accvgpr_read_b32 v5, a87
	;; [unrolled: 1-line block ×3, first 2 shown]
	v_lshl_add_u64 v[4:5], v[4:5], 0, s[24:25]
	v_accvgpr_read_b32 v104, a4
	v_accvgpr_write_b32 a87, v5
	s_add_u32 s26, s26, s4
	v_lshl_add_u64 v[104:105], v[104:105], 0, s[4:5]
	v_accvgpr_write_b32 a86, v4
	v_lshl_add_u64 v[122:123], v[122:123], 0, s[24:25]
	v_lshl_add_u64 v[124:125], v[124:125], 0, s[24:25]
	;; [unrolled: 1-line block ×85, first 2 shown]
	s_addc_u32 s27, 0, s27
	v_mov_b32_e32 v102, v168
	v_mov_b32_e32 v103, v169
	s_cbranch_vccnz .LBB97_227
.LBB97_152:                             ; =>This Inner Loop Header: Depth=1
	s_add_u32 s18, s10, s26
	s_addc_u32 s19, 0, s27
	v_mov_b64_e32 v[4:5], s[12:13]
	v_cmp_ge_i64_e32 vcc, s[18:19], v[4:5]
	v_accvgpr_write_b32 a4, v104
	v_accvgpr_write_b32 a5, v105
	v_lshl_add_u64 v[82:83], s[10:11], 0, v[104:105]
	s_mov_b64 s[18:19], -1
                                        ; implicit-def: $vgpr168_vgpr169
	s_cbranch_vccz .LBB97_222
; %bb.153:                              ;   in Loop: Header=BB97_152 Depth=1
	s_load_dword s3, s[6:7], 0xc
	v_accvgpr_read_b32 v3, a1
	v_accvgpr_read_b32 v4, a2
	v_mov_b32_e32 v36, 0
	v_mov_b32_e32 v43, 0
	s_waitcnt lgkmcnt(0)
	s_and_b32 s3, s3, 0xffff
	v_mad_u32_u24 v3, v4, s3, v3
	v_and_b32_e32 v4, 63, v3
	v_cmp_gt_u32_e32 vcc, 32, v4
	v_mov_b32_e32 v42, 0
	s_and_saveexec_b64 s[18:19], vcc
	s_cbranch_execz .LBB97_157
; %bb.154:                              ;   in Loop: Header=BB97_152 Depth=1
	v_mov_b32_e32 v5, v2
	v_lshl_add_u64 v[4:5], v[82:83], 0, v[4:5]
	v_cmp_gt_i64_e32 vcc, s[12:13], v[4:5]
	v_mov_b32_e32 v42, 0
	v_mov_b32_e32 v43, 0
	s_and_saveexec_b64 s[28:29], vcc
	s_cbranch_execz .LBB97_156
; %bb.155:                              ;   in Loop: Header=BB97_152 Depth=1
	v_lshlrev_b64 v[4:5], 2, v[4:5]
	v_lshl_add_u64 v[6:7], s[22:23], 0, v[4:5]
	v_lshl_add_u64 v[4:5], s[20:21], 0, v[4:5]
	global_load_dword v42, v[4:5], off
	global_load_dword v43, v[6:7], off
.LBB97_156:                             ;   in Loop: Header=BB97_152 Depth=1
	s_or_b64 exec, exec, s[28:29]
.LBB97_157:                             ;   in Loop: Header=BB97_152 Depth=1
	s_or_b64 exec, exec, s[18:19]
	v_mov_b32_e32 v4, v2
	v_mov_b32_e32 v5, v2
	;; [unrolled: 1-line block ×31, first 2 shown]
	v_mov_b64_e32 v[34:35], v[32:33]
	v_cmp_gt_i64_e32 vcc, s[12:13], v[82:83]
	v_mov_b64_e32 v[32:33], v[30:31]
	v_mov_b64_e32 v[30:31], v[28:29]
	v_mov_b64_e32 v[28:29], v[26:27]
	v_mov_b64_e32 v[26:27], v[24:25]
	v_mov_b64_e32 v[24:25], v[22:23]
	v_mov_b64_e32 v[22:23], v[20:21]
	v_mov_b64_e32 v[20:21], v[18:19]
	v_mov_b64_e32 v[18:19], v[16:17]
	v_mov_b64_e32 v[16:17], v[14:15]
	v_mov_b64_e32 v[14:15], v[12:13]
	v_mov_b64_e32 v[12:13], v[10:11]
	v_mov_b64_e32 v[10:11], v[8:9]
	v_mov_b64_e32 v[8:9], v[6:7]
	v_mov_b64_e32 v[6:7], v[4:5]
	v_mov_b64_e32 v[4:5], v[2:3]
	s_and_saveexec_b64 s[18:19], vcc
	s_cbranch_execz .LBB97_159
; %bb.158:                              ;   in Loop: Header=BB97_152 Depth=1
	v_accvgpr_read_b32 v4, a6
	v_accvgpr_read_b32 v5, a7
	v_lshl_add_u64 v[4:5], v[4:5], 0, v[38:39]
	global_load_ushort v3, v[4:5], off
	v_accvgpr_read_b32 v4, a8
	v_accvgpr_read_b32 v5, a9
	v_lshl_add_u64 v[4:5], v[4:5], 0, v[38:39]
	global_load_ushort v36, v[4:5], off
	v_mov_b32_e32 v5, v2
	v_mov_b32_e32 v6, v2
	;; [unrolled: 1-line block ×31, first 2 shown]
	s_waitcnt vmcnt(1)
	v_lshlrev_b32_e32 v4, 16, v3
	s_waitcnt vmcnt(0)
	v_lshlrev_b32_e32 v36, 16, v36
.LBB97_159:                             ;   in Loop: Header=BB97_152 Depth=1
	s_or_b64 exec, exec, s[18:19]
	v_lshl_add_u64 v[40:41], v[82:83], 0, 1
	v_cmp_gt_i64_e32 vcc, s[12:13], v[40:41]
	v_mov_b32_e32 v168, 0
	v_mov_b32_e32 v41, 0
	s_and_saveexec_b64 s[18:19], vcc
	s_cbranch_execz .LBB97_161
; %bb.160:                              ;   in Loop: Header=BB97_152 Depth=1
	v_lshl_add_u64 v[40:41], v[74:75], 0, v[38:39]
	global_load_ushort v3, v[40:41], off
	v_lshl_add_u64 v[40:41], v[76:77], 0, v[38:39]
	global_load_ushort v37, v[40:41], off
	s_waitcnt vmcnt(1)
	v_lshlrev_b32_e32 v5, 16, v3
	s_waitcnt vmcnt(0)
	v_lshlrev_b32_e32 v41, 16, v37
.LBB97_161:                             ;   in Loop: Header=BB97_152 Depth=1
	s_or_b64 exec, exec, s[18:19]
	v_lshl_add_u64 v[78:79], v[82:83], 0, 2
	v_cmp_gt_i64_e32 vcc, s[12:13], v[78:79]
	s_and_saveexec_b64 s[18:19], vcc
	s_cbranch_execz .LBB97_163
; %bb.162:                              ;   in Loop: Header=BB97_152 Depth=1
	v_lshl_add_u64 v[78:79], v[70:71], 0, v[38:39]
	global_load_ushort v3, v[78:79], off
	v_lshl_add_u64 v[78:79], v[72:73], 0, v[38:39]
	global_load_ushort v37, v[78:79], off
	s_waitcnt vmcnt(1)
	v_lshlrev_b32_e32 v6, 16, v3
	s_waitcnt vmcnt(0)
	v_lshlrev_b32_e32 v168, 16, v37
.LBB97_163:                             ;   in Loop: Header=BB97_152 Depth=1
	s_or_b64 exec, exec, s[18:19]
	v_lshl_add_u64 v[78:79], v[82:83], 0, 3
	v_cmp_gt_i64_e32 vcc, s[12:13], v[78:79]
	v_mov_b32_e32 v107, 0
	v_mov_b32_e32 v110, 0
	s_and_saveexec_b64 s[18:19], vcc
	s_cbranch_execz .LBB97_165
; %bb.164:                              ;   in Loop: Header=BB97_152 Depth=1
	v_lshl_add_u64 v[78:79], v[66:67], 0, v[38:39]
	global_load_ushort v3, v[78:79], off
	v_lshl_add_u64 v[78:79], v[68:69], 0, v[38:39]
	global_load_ushort v37, v[78:79], off
	s_waitcnt vmcnt(1)
	v_lshlrev_b32_e32 v7, 16, v3
	s_waitcnt vmcnt(0)
	v_lshlrev_b32_e32 v110, 16, v37
.LBB97_165:                             ;   in Loop: Header=BB97_152 Depth=1
	s_or_b64 exec, exec, s[18:19]
	v_lshl_add_u64 v[78:79], v[82:83], 0, 4
	v_cmp_gt_i64_e32 vcc, s[12:13], v[78:79]
	s_and_saveexec_b64 s[18:19], vcc
	s_cbranch_execz .LBB97_167
; %bb.166:                              ;   in Loop: Header=BB97_152 Depth=1
	v_lshl_add_u64 v[78:79], v[62:63], 0, v[38:39]
	global_load_ushort v3, v[78:79], off
	v_lshl_add_u64 v[78:79], v[64:65], 0, v[38:39]
	global_load_ushort v37, v[78:79], off
	s_waitcnt vmcnt(1)
	v_lshlrev_b32_e32 v8, 16, v3
	s_waitcnt vmcnt(0)
	v_lshlrev_b32_e32 v107, 16, v37
.LBB97_167:                             ;   in Loop: Header=BB97_152 Depth=1
	;; [unrolled: 32-line block ×15, first 2 shown]
	s_or_b64 exec, exec, s[18:19]
	v_lshl_add_u64 v[112:113], v[82:83], 0, 31
	v_cmp_gt_i64_e32 vcc, s[12:13], v[112:113]
	v_mov_b32_e32 v3, 0
	s_and_saveexec_b64 s[18:19], vcc
	s_cbranch_execz .LBB97_221
; %bb.220:                              ;   in Loop: Header=BB97_152 Depth=1
	v_lshl_add_u64 v[112:113], v[80:81], 0, v[38:39]
	global_load_ushort v3, v[112:113], off
	v_lshl_add_u64 v[112:113], v[170:171], 0, v[38:39]
	global_load_ushort v37, v[112:113], off
	s_waitcnt vmcnt(1)
	v_lshlrev_b32_e32 v35, 16, v3
	s_waitcnt vmcnt(0)
	v_lshlrev_b32_e32 v3, 16, v37
.LBB97_221:                             ;   in Loop: Header=BB97_152 Depth=1
	s_or_b64 exec, exec, s[18:19]
	s_waitcnt vmcnt(1)
	ds_bpermute_b32 v111, v106, v42
	s_waitcnt vmcnt(0)
	ds_bpermute_b32 v37, v106, v43
	ds_bpermute_b32 v112, v106, v42 offset:12
	v_mov_b32_e32 v114, v8
	v_mov_b32_e32 v116, v11
	s_waitcnt lgkmcnt(2)
	v_sub_f32_e32 v36, v36, v111
	ds_bpermute_b32 v111, v106, v42 offset:4
	v_mul_f32_e32 v36, v4, v36
	s_waitcnt lgkmcnt(2)
	v_mul_f32_e32 v37, v36, v37
	ds_bpermute_b32 v36, v106, v43 offset:4
	s_waitcnt lgkmcnt(2)
	v_sub_f32_e32 v110, v110, v112
	s_waitcnt lgkmcnt(1)
	v_sub_f32_e32 v41, v41, v111
	ds_bpermute_b32 v111, v106, v42 offset:8
	v_mul_f32_e32 v41, v5, v41
	s_waitcnt lgkmcnt(1)
	v_mul_f32_e32 v41, v41, v36
	ds_bpermute_b32 v36, v106, v43 offset:8
	v_mul_f32_e32 v110, v7, v110
	s_waitcnt lgkmcnt(1)
	v_sub_f32_e32 v111, v168, v111
	v_mul_f32_e32 v111, v6, v111
	v_mov_b32_e32 v112, v7
	s_waitcnt lgkmcnt(0)
	v_mul_f32_e32 v111, v111, v36
	ds_bpermute_b32 v36, v106, v43 offset:12
	ds_bpermute_b32 v7, v106, v42 offset:44
	v_mov_b32_e32 v168, v13
	v_mov_b32_e32 v118, v12
	;; [unrolled: 1-line block ×3, first 2 shown]
	s_waitcnt lgkmcnt(1)
	v_mul_f32_e32 v113, v110, v36
	ds_bpermute_b32 v110, v106, v42 offset:16
	ds_bpermute_b32 v36, v106, v43 offset:16
	s_waitcnt lgkmcnt(2)
	v_sub_f32_e32 v7, v101, v7
	v_mul_f32_e32 v7, v15, v7
	s_mov_b64 s[18:19], 0
	s_waitcnt lgkmcnt(1)
	v_sub_f32_e32 v107, v107, v110
	v_mul_f32_e32 v107, v8, v107
	s_waitcnt lgkmcnt(0)
	v_mul_f32_e32 v115, v107, v36
	ds_bpermute_b32 v107, v106, v42 offset:20
	ds_bpermute_b32 v36, v106, v43 offset:20
	v_mov_b32_e32 v110, v6
	ds_bpermute_b32 v6, v106, v43 offset:44
	ds_bpermute_b32 v8, v106, v42 offset:48
	s_waitcnt lgkmcnt(3)
	v_sub_f32_e32 v107, v109, v107
	v_mul_f32_e32 v107, v9, v107
	s_waitcnt lgkmcnt(2)
	v_mul_f32_e32 v109, v107, v36
	ds_bpermute_b32 v107, v106, v42 offset:24
	ds_bpermute_b32 v36, v106, v43 offset:24
	s_waitcnt lgkmcnt(3)
	v_mul_f32_e32 v7, v7, v6
	ds_bpermute_b32 v6, v106, v43 offset:48
	s_waitcnt lgkmcnt(3)
	v_sub_f32_e32 v8, v95, v8
	s_waitcnt lgkmcnt(2)
	v_sub_f32_e32 v105, v105, v107
	ds_bpermute_b32 v107, v106, v42 offset:28
	v_mul_f32_e32 v105, v10, v105
	s_waitcnt lgkmcnt(2)
	v_mul_f32_e32 v105, v105, v36
	ds_bpermute_b32 v36, v106, v43 offset:28
	v_mul_f32_e32 v8, v16, v8
	s_waitcnt lgkmcnt(1)
	v_sub_f32_e32 v107, v108, v107
	v_mul_f32_e32 v107, v11, v107
	v_mov_b32_e32 v108, v9
	s_waitcnt lgkmcnt(0)
	v_mul_f32_e32 v117, v107, v36
	ds_bpermute_b32 v107, v106, v42 offset:32
	ds_bpermute_b32 v36, v106, v43 offset:32
	v_mul_f32_e32 v9, v8, v6
	ds_bpermute_b32 v8, v106, v42 offset:52
	ds_bpermute_b32 v6, v106, v43 offset:52
	s_waitcnt lgkmcnt(3)
	v_sub_f32_e32 v104, v104, v107
	v_mul_f32_e32 v104, v12, v104
	s_waitcnt lgkmcnt(2)
	v_mul_f32_e32 v119, v104, v36
	ds_bpermute_b32 v104, v106, v42 offset:36
	s_waitcnt lgkmcnt(2)
	v_sub_f32_e32 v8, v100, v8
	v_mul_f32_e32 v8, v17, v8
	ds_bpermute_b32 v36, v106, v43 offset:36
	s_waitcnt lgkmcnt(2)
	v_mul_f32_e32 v11, v8, v6
	ds_bpermute_b32 v8, v106, v42 offset:56
	ds_bpermute_b32 v6, v106, v43 offset:56
	s_waitcnt lgkmcnt(3)
	v_sub_f32_e32 v104, v169, v104
	v_mul_f32_e32 v104, v13, v104
	s_waitcnt lgkmcnt(2)
	v_mul_f32_e32 v169, v104, v36
	ds_bpermute_b32 v104, v106, v42 offset:40
	s_waitcnt lgkmcnt(2)
	v_sub_f32_e32 v8, v94, v8
	v_mul_f32_e32 v8, v18, v8
	ds_bpermute_b32 v36, v106, v43 offset:40
	s_waitcnt lgkmcnt(2)
	v_mul_f32_e32 v13, v8, v6
	ds_bpermute_b32 v8, v106, v42 offset:60
	ds_bpermute_b32 v6, v106, v43 offset:60
	s_waitcnt lgkmcnt(3)
	v_sub_f32_e32 v40, v40, v104
	v_mul_f32_e32 v40, v14, v40
	s_waitcnt lgkmcnt(2)
	v_mul_f32_e32 v121, v40, v36
	v_mov_b32_e32 v36, v4
	s_waitcnt lgkmcnt(1)
	v_sub_f32_e32 v8, v99, v8
	v_pk_add_f32 v[36:37], v[102:103], v[36:37]
	v_mov_b32_e32 v40, v5
	v_mul_f32_e32 v8, v19, v8
	v_pk_add_f32 v[4:5], v[40:41], v[36:37]
	s_waitcnt lgkmcnt(0)
	v_mul_f32_e32 v37, v8, v6
	ds_bpermute_b32 v8, v106, v42 offset:64
	ds_bpermute_b32 v6, v106, v43 offset:64
	v_pk_add_f32 v[4:5], v[110:111], v[4:5]
	v_mov_b32_e32 v104, v10
	v_pk_add_f32 v[4:5], v[112:113], v[4:5]
	s_waitcnt lgkmcnt(1)
	v_sub_f32_e32 v8, v93, v8
	v_mul_f32_e32 v8, v20, v8
	s_waitcnt lgkmcnt(0)
	v_mul_f32_e32 v41, v8, v6
	ds_bpermute_b32 v8, v106, v42 offset:68
	ds_bpermute_b32 v6, v106, v43 offset:68
	v_pk_add_f32 v[4:5], v[114:115], v[4:5]
	v_mov_b32_e32 v10, v17
	v_pk_add_f32 v[4:5], v[108:109], v[4:5]
	s_waitcnt lgkmcnt(1)
	v_sub_f32_e32 v8, v98, v8
	v_mul_f32_e32 v8, v21, v8
	;; [unrolled: 10-line block ×4, first 2 shown]
	s_waitcnt lgkmcnt(0)
	v_mul_f32_e32 v97, v8, v6
	ds_bpermute_b32 v8, v106, v42 offset:80
	ds_bpermute_b32 v6, v106, v43 offset:80
	v_pk_add_f32 v[4:5], v[120:121], v[4:5]
	v_mov_b32_e32 v92, v21
	v_mov_b32_e32 v40, v20
	s_waitcnt lgkmcnt(1)
	v_sub_f32_e32 v8, v91, v8
	v_mul_f32_e32 v8, v24, v8
	s_waitcnt lgkmcnt(0)
	v_mul_f32_e32 v99, v8, v6
	ds_bpermute_b32 v8, v106, v42 offset:84
	ds_bpermute_b32 v6, v106, v43 offset:84
	v_mov_b32_e32 v94, v22
	v_mov_b32_e32 v98, v24
	;; [unrolled: 1-line block ×3, first 2 shown]
	s_waitcnt lgkmcnt(1)
	v_sub_f32_e32 v8, v96, v8
	v_mul_f32_e32 v8, v25, v8
	s_waitcnt lgkmcnt(0)
	v_mul_f32_e32 v101, v8, v6
	v_mov_b32_e32 v6, v15
	v_pk_add_f32 v[4:5], v[6:7], v[4:5]
	ds_bpermute_b32 v7, v106, v42 offset:88
	ds_bpermute_b32 v6, v106, v43 offset:88
	v_mov_b32_e32 v8, v16
	v_pk_add_f32 v[4:5], v[8:9], v[4:5]
	ds_bpermute_b32 v8, v106, v42 offset:92
	s_waitcnt lgkmcnt(2)
	v_sub_f32_e32 v7, v86, v7
	v_mul_f32_e32 v7, v26, v7
	s_waitcnt lgkmcnt(1)
	v_mul_f32_e32 v7, v7, v6
	ds_bpermute_b32 v6, v106, v43 offset:92
	s_waitcnt lgkmcnt(1)
	v_sub_f32_e32 v8, v90, v8
	v_mul_f32_e32 v8, v27, v8
	v_pk_add_f32 v[4:5], v[10:11], v[4:5]
	v_mov_b32_e32 v96, v23
	s_waitcnt lgkmcnt(0)
	v_mul_f32_e32 v9, v8, v6
	ds_bpermute_b32 v8, v106, v42 offset:96
	ds_bpermute_b32 v6, v106, v43 offset:96
	v_pk_add_f32 v[4:5], v[12:13], v[4:5]
	v_mov_b32_e32 v10, v28
	v_pk_add_f32 v[4:5], v[36:37], v[4:5]
	s_waitcnt lgkmcnt(1)
	v_sub_f32_e32 v8, v85, v8
	v_mul_f32_e32 v8, v28, v8
	s_waitcnt lgkmcnt(0)
	v_mul_f32_e32 v11, v8, v6
	ds_bpermute_b32 v8, v106, v42 offset:100
	ds_bpermute_b32 v6, v106, v43 offset:100
	v_pk_add_f32 v[4:5], v[40:41], v[4:5]
	v_mov_b32_e32 v12, v29
	v_pk_add_f32 v[4:5], v[92:93], v[4:5]
	s_waitcnt lgkmcnt(1)
	v_sub_f32_e32 v8, v89, v8
	v_mul_f32_e32 v8, v29, v8
	;; [unrolled: 10-line block ×4, first 2 shown]
	s_waitcnt lgkmcnt(0)
	v_mul_f32_e32 v17, v8, v6
	ds_bpermute_b32 v8, v106, v42 offset:112
	ds_bpermute_b32 v6, v106, v43 offset:112
	v_mov_b32_e32 v18, v32
	v_mov_b32_e32 v20, v33
	v_mov_b32_e32 v22, v34
	s_waitcnt lgkmcnt(1)
	v_sub_f32_e32 v8, v79, v8
	v_mul_f32_e32 v8, v32, v8
	s_waitcnt lgkmcnt(0)
	v_mul_f32_e32 v19, v8, v6
	ds_bpermute_b32 v8, v106, v42 offset:116
	ds_bpermute_b32 v6, v106, v43 offset:116
	s_waitcnt lgkmcnt(1)
	v_sub_f32_e32 v8, v87, v8
	v_mul_f32_e32 v8, v33, v8
	s_waitcnt lgkmcnt(0)
	v_mul_f32_e32 v21, v8, v6
	ds_bpermute_b32 v8, v106, v42 offset:120
	ds_bpermute_b32 v6, v106, v43 offset:120
	s_waitcnt lgkmcnt(1)
	v_sub_f32_e32 v8, v78, v8
	v_mul_f32_e32 v8, v34, v8
	s_waitcnt lgkmcnt(0)
	v_mul_f32_e32 v23, v8, v6
	v_mov_b32_e32 v6, v26
	v_pk_add_f32 v[4:5], v[6:7], v[4:5]
	v_mov_b32_e32 v8, v27
	v_pk_add_f32 v[4:5], v[8:9], v[4:5]
	ds_bpermute_b32 v7, v106, v42 offset:124
	v_pk_add_f32 v[4:5], v[10:11], v[4:5]
	ds_bpermute_b32 v6, v106, v43 offset:124
	v_pk_add_f32 v[4:5], v[12:13], v[4:5]
	s_waitcnt lgkmcnt(1)
	v_sub_f32_e32 v3, v3, v7
	v_pk_add_f32 v[4:5], v[14:15], v[4:5]
	v_mul_f32_e32 v3, v35, v3
	v_pk_add_f32 v[4:5], v[16:17], v[4:5]
	s_waitcnt lgkmcnt(0)
	v_mul_f32_e32 v7, v3, v6
	v_pk_add_f32 v[4:5], v[18:19], v[4:5]
	v_mov_b32_e32 v6, v35
	v_pk_add_f32 v[4:5], v[20:21], v[4:5]
	s_nop 0
	v_pk_add_f32 v[4:5], v[22:23], v[4:5]
	s_nop 0
	v_pk_add_f32 v[168:169], v[6:7], v[4:5]
.LBB97_222:                             ;   in Loop: Header=BB97_152 Depth=1
	s_and_b64 vcc, exec, s[18:19]
	s_cbranch_vccz .LBB97_151
; %bb.223:                              ;   in Loop: Header=BB97_152 Depth=1
	s_load_dword s3, s[6:7], 0x0
	v_accvgpr_read_b32 v4, a1
	v_accvgpr_read_b32 v5, a2
	v_mov_b32_e32 v17, 0
	s_waitcnt lgkmcnt(0)
	s_cmp_lt_u32 s2, s3
	s_cselect_b32 s3, 12, 18
	s_add_u32 s18, s6, s3
	s_addc_u32 s19, s7, 0
	global_load_ushort v3, v2, s[18:19]
	s_waitcnt vmcnt(0)
	v_mad_u32_u24 v3, v5, v3, v4
	v_and_b32_e32 v4, 63, v3
	v_cmp_gt_u32_e32 vcc, 32, v4
	v_mov_b32_e32 v3, 0
	s_and_saveexec_b64 s[18:19], vcc
	s_cbranch_execz .LBB97_150
; %bb.224:                              ;   in Loop: Header=BB97_152 Depth=1
	v_mov_b32_e32 v5, v2
	v_lshl_add_u64 v[4:5], v[82:83], 0, v[4:5]
	v_cmp_gt_i64_e32 vcc, s[12:13], v[4:5]
	v_mov_b32_e32 v3, 0
	v_mov_b32_e32 v17, 0
	s_and_saveexec_b64 s[28:29], vcc
	s_cbranch_execz .LBB97_149
; %bb.225:                              ;   in Loop: Header=BB97_152 Depth=1
	v_lshlrev_b64 v[4:5], 2, v[4:5]
	v_lshl_add_u64 v[6:7], s[22:23], 0, v[4:5]
	v_lshl_add_u64 v[4:5], s[20:21], 0, v[4:5]
	global_load_dword v3, v[4:5], off
	global_load_dword v17, v[6:7], off
	s_branch .LBB97_149
.LBB97_226:
	v_mov_b32_e32 v168, 0
	v_mov_b32_e32 v169, v168
	s_branch .LBB97_228
.LBB97_227:
	v_accvgpr_read_b32 v0, a0
.LBB97_228:
	s_mov_b32 s3, 0
	s_lshl_b64 s[2:3], s[2:3], 6
	v_and_b32_e32 v1, 0x3ff, v0
	v_or_b32_e32 v8, s2, v1
	v_mov_b32_e32 v9, s3
	v_cmp_gt_i64_e32 vcc, s[14:15], v[8:9]
	s_and_saveexec_b64 s[2:3], vcc
	s_cbranch_execz .LBB97_233
; %bb.229:
	s_load_dword s2, s[0:1], 0x4c
	s_load_dwordx4 s[4:7], s[0:1], 0x30
	v_bfe_u32 v2, v0, 10, 10
	v_mov_b32_e32 v3, 0
	v_mov_b32_e32 v4, s8
	s_waitcnt lgkmcnt(0)
	s_lshr_b32 s0, s2, 16
	v_mad_u64_u32 v[2:3], s[0:1], s0, v4, v[2:3]
	s_cmp_eq_u64 s[4:5], 0
	v_mul_lo_u32 v3, v3, s14
	v_mul_lo_u32 v4, v2, s15
	s_cbranch_scc1 .LBB97_231
; %bb.230:
	v_bfe_u32 v5, v169, 16, 1
	s_movk_i32 s0, 0x7fff
	v_add3_u32 v5, v169, v5, s0
	v_cmp_o_f32_e32 vcc, v169, v169
	v_mov_b32_e32 v6, 0x7fc0
	s_nop 0
	v_cndmask_b32_sdwa v5, v6, v5, vcc dst_sel:DWORD dst_unused:UNUSED_PAD src0_sel:DWORD src1_sel:WORD_1
	v_mad_u64_u32 v[6:7], s[0:1], v2, s14, 0
	v_add3_u32 v7, v7, v4, v3
	v_lshl_add_u64 v[6:7], v[6:7], 1, s[4:5]
	v_lshl_add_u64 v[6:7], v[8:9], 1, v[6:7]
	global_store_short v[6:7], v5, off
.LBB97_231:
	s_cmp_eq_u64 s[6:7], 0
	s_cbranch_scc1 .LBB97_233
; %bb.232:
	v_bfe_u32 v5, v168, 16, 1
	s_movk_i32 s0, 0x7fff
	v_add3_u32 v5, v168, v5, s0
	v_cmp_o_f32_e32 vcc, v168, v168
	v_mov_b32_e32 v6, 0x7fc0
	s_nop 0
	v_cndmask_b32_sdwa v5, v6, v5, vcc dst_sel:DWORD dst_unused:UNUSED_PAD src0_sel:DWORD src1_sel:WORD_1
	v_mad_u64_u32 v[6:7], s[0:1], v2, s14, 0
	v_add3_u32 v7, v7, v4, v3
	v_lshl_add_u64 v[2:3], v[6:7], 1, s[6:7]
	v_lshl_add_u64 v[0:1], v[8:9], 1, v[2:3]
	global_store_short v[0:1], v5, off
.LBB97_233:
	s_endpgm
	.section	.rodata,"a",@progbits
	.p2align	6, 0x0
	.amdhsa_kernel _ZN2at6native12_GLOBAL__N_135GammaBetaBackwardCUDAKernelTemplateIN3c108BFloat16EfLj64ELj1ELj32ELb1ELb0ELb0EEEvllPKT_S7_PKT0_SA_PS5_SB_
		.amdhsa_group_segment_fixed_size 0
		.amdhsa_private_segment_fixed_size 0
		.amdhsa_kernarg_size 320
		.amdhsa_user_sgpr_count 2
		.amdhsa_user_sgpr_dispatch_ptr 0
		.amdhsa_user_sgpr_queue_ptr 0
		.amdhsa_user_sgpr_kernarg_segment_ptr 1
		.amdhsa_user_sgpr_dispatch_id 0
		.amdhsa_user_sgpr_kernarg_preload_length 0
		.amdhsa_user_sgpr_kernarg_preload_offset 0
		.amdhsa_user_sgpr_private_segment_size 0
		.amdhsa_uses_dynamic_stack 0
		.amdhsa_enable_private_segment 0
		.amdhsa_system_sgpr_workgroup_id_x 1
		.amdhsa_system_sgpr_workgroup_id_y 1
		.amdhsa_system_sgpr_workgroup_id_z 0
		.amdhsa_system_sgpr_workgroup_info 0
		.amdhsa_system_vgpr_workitem_id 1
		.amdhsa_next_free_vgpr 344
		.amdhsa_next_free_sgpr 40
		.amdhsa_accum_offset 256
		.amdhsa_reserve_vcc 1
		.amdhsa_float_round_mode_32 0
		.amdhsa_float_round_mode_16_64 0
		.amdhsa_float_denorm_mode_32 3
		.amdhsa_float_denorm_mode_16_64 3
		.amdhsa_dx10_clamp 1
		.amdhsa_ieee_mode 1
		.amdhsa_fp16_overflow 0
		.amdhsa_tg_split 0
		.amdhsa_exception_fp_ieee_invalid_op 0
		.amdhsa_exception_fp_denorm_src 0
		.amdhsa_exception_fp_ieee_div_zero 0
		.amdhsa_exception_fp_ieee_overflow 0
		.amdhsa_exception_fp_ieee_underflow 0
		.amdhsa_exception_fp_ieee_inexact 0
		.amdhsa_exception_int_div_zero 0
	.end_amdhsa_kernel
	.section	.text._ZN2at6native12_GLOBAL__N_135GammaBetaBackwardCUDAKernelTemplateIN3c108BFloat16EfLj64ELj1ELj32ELb1ELb0ELb0EEEvllPKT_S7_PKT0_SA_PS5_SB_,"axG",@progbits,_ZN2at6native12_GLOBAL__N_135GammaBetaBackwardCUDAKernelTemplateIN3c108BFloat16EfLj64ELj1ELj32ELb1ELb0ELb0EEEvllPKT_S7_PKT0_SA_PS5_SB_,comdat
.Lfunc_end97:
	.size	_ZN2at6native12_GLOBAL__N_135GammaBetaBackwardCUDAKernelTemplateIN3c108BFloat16EfLj64ELj1ELj32ELb1ELb0ELb0EEEvllPKT_S7_PKT0_SA_PS5_SB_, .Lfunc_end97-_ZN2at6native12_GLOBAL__N_135GammaBetaBackwardCUDAKernelTemplateIN3c108BFloat16EfLj64ELj1ELj32ELb1ELb0ELb0EEEvllPKT_S7_PKT0_SA_PS5_SB_
                                        ; -- End function
	.set _ZN2at6native12_GLOBAL__N_135GammaBetaBackwardCUDAKernelTemplateIN3c108BFloat16EfLj64ELj1ELj32ELb1ELb0ELb0EEEvllPKT_S7_PKT0_SA_PS5_SB_.num_vgpr, 256
	.set _ZN2at6native12_GLOBAL__N_135GammaBetaBackwardCUDAKernelTemplateIN3c108BFloat16EfLj64ELj1ELj32ELb1ELb0ELb0EEEvllPKT_S7_PKT0_SA_PS5_SB_.num_agpr, 88
	.set _ZN2at6native12_GLOBAL__N_135GammaBetaBackwardCUDAKernelTemplateIN3c108BFloat16EfLj64ELj1ELj32ELb1ELb0ELb0EEEvllPKT_S7_PKT0_SA_PS5_SB_.numbered_sgpr, 40
	.set _ZN2at6native12_GLOBAL__N_135GammaBetaBackwardCUDAKernelTemplateIN3c108BFloat16EfLj64ELj1ELj32ELb1ELb0ELb0EEEvllPKT_S7_PKT0_SA_PS5_SB_.num_named_barrier, 0
	.set _ZN2at6native12_GLOBAL__N_135GammaBetaBackwardCUDAKernelTemplateIN3c108BFloat16EfLj64ELj1ELj32ELb1ELb0ELb0EEEvllPKT_S7_PKT0_SA_PS5_SB_.private_seg_size, 0
	.set _ZN2at6native12_GLOBAL__N_135GammaBetaBackwardCUDAKernelTemplateIN3c108BFloat16EfLj64ELj1ELj32ELb1ELb0ELb0EEEvllPKT_S7_PKT0_SA_PS5_SB_.uses_vcc, 1
	.set _ZN2at6native12_GLOBAL__N_135GammaBetaBackwardCUDAKernelTemplateIN3c108BFloat16EfLj64ELj1ELj32ELb1ELb0ELb0EEEvllPKT_S7_PKT0_SA_PS5_SB_.uses_flat_scratch, 0
	.set _ZN2at6native12_GLOBAL__N_135GammaBetaBackwardCUDAKernelTemplateIN3c108BFloat16EfLj64ELj1ELj32ELb1ELb0ELb0EEEvllPKT_S7_PKT0_SA_PS5_SB_.has_dyn_sized_stack, 0
	.set _ZN2at6native12_GLOBAL__N_135GammaBetaBackwardCUDAKernelTemplateIN3c108BFloat16EfLj64ELj1ELj32ELb1ELb0ELb0EEEvllPKT_S7_PKT0_SA_PS5_SB_.has_recursion, 0
	.set _ZN2at6native12_GLOBAL__N_135GammaBetaBackwardCUDAKernelTemplateIN3c108BFloat16EfLj64ELj1ELj32ELb1ELb0ELb0EEEvllPKT_S7_PKT0_SA_PS5_SB_.has_indirect_call, 0
	.section	.AMDGPU.csdata,"",@progbits
; Kernel info:
; codeLenInByte = 27064
; TotalNumSgprs: 46
; NumVgprs: 256
; NumAgprs: 88
; TotalNumVgprs: 344
; ScratchSize: 0
; MemoryBound: 0
; FloatMode: 240
; IeeeMode: 1
; LDSByteSize: 0 bytes/workgroup (compile time only)
; SGPRBlocks: 5
; VGPRBlocks: 42
; NumSGPRsForWavesPerEU: 46
; NumVGPRsForWavesPerEU: 344
; AccumOffset: 256
; Occupancy: 1
; WaveLimiterHint : 0
; COMPUTE_PGM_RSRC2:SCRATCH_EN: 0
; COMPUTE_PGM_RSRC2:USER_SGPR: 2
; COMPUTE_PGM_RSRC2:TRAP_HANDLER: 0
; COMPUTE_PGM_RSRC2:TGID_X_EN: 1
; COMPUTE_PGM_RSRC2:TGID_Y_EN: 1
; COMPUTE_PGM_RSRC2:TGID_Z_EN: 0
; COMPUTE_PGM_RSRC2:TIDIG_COMP_CNT: 1
; COMPUTE_PGM_RSRC3_GFX90A:ACCUM_OFFSET: 63
; COMPUTE_PGM_RSRC3_GFX90A:TG_SPLIT: 0
	.section	.text._ZN2at6native12_GLOBAL__N_135GammaBetaBackwardCUDAKernelTemplateIN3c108BFloat16EfLj64ELj1ELj8ELb1ELb1ELb0EEEvllPKT_S7_PKT0_SA_PS5_SB_,"axG",@progbits,_ZN2at6native12_GLOBAL__N_135GammaBetaBackwardCUDAKernelTemplateIN3c108BFloat16EfLj64ELj1ELj8ELb1ELb1ELb0EEEvllPKT_S7_PKT0_SA_PS5_SB_,comdat
	.globl	_ZN2at6native12_GLOBAL__N_135GammaBetaBackwardCUDAKernelTemplateIN3c108BFloat16EfLj64ELj1ELj8ELb1ELb1ELb0EEEvllPKT_S7_PKT0_SA_PS5_SB_ ; -- Begin function _ZN2at6native12_GLOBAL__N_135GammaBetaBackwardCUDAKernelTemplateIN3c108BFloat16EfLj64ELj1ELj8ELb1ELb1ELb0EEEvllPKT_S7_PKT0_SA_PS5_SB_
	.p2align	8
	.type	_ZN2at6native12_GLOBAL__N_135GammaBetaBackwardCUDAKernelTemplateIN3c108BFloat16EfLj64ELj1ELj8ELb1ELb1ELb0EEEvllPKT_S7_PKT0_SA_PS5_SB_,@function
_ZN2at6native12_GLOBAL__N_135GammaBetaBackwardCUDAKernelTemplateIN3c108BFloat16EfLj64ELj1ELj8ELb1ELb1ELb0EEEvllPKT_S7_PKT0_SA_PS5_SB_: ; @_ZN2at6native12_GLOBAL__N_135GammaBetaBackwardCUDAKernelTemplateIN3c108BFloat16EfLj64ELj1ELj8ELb1ELb1ELb0EEEvllPKT_S7_PKT0_SA_PS5_SB_
; %bb.0:
	s_load_dwordx4 s[16:19], s[0:1], 0x0
	s_lshl_b32 s6, s3, 3
	s_mov_b32 s7, 0
	v_mov_b64_e32 v[2:3], s[6:7]
	s_mov_b32 s4, s3
	s_waitcnt lgkmcnt(0)
	v_cmp_gt_i64_e32 vcc, s[16:17], v[2:3]
	v_bfe_u32 v1, v0, 10, 10
	s_cbranch_vccnz .LBB98_2
; %bb.1:
	s_add_u32 s24, s0, 64
	s_addc_u32 s25, s1, 0
	s_mov_b64 s[8:9], 0
	v_bfe_u32 v4, v0, 10, 10
	s_branch .LBB98_3
.LBB98_2:
	s_mov_b64 s[8:9], -1
                                        ; implicit-def: $sgpr24_sgpr25
                                        ; implicit-def: $vgpr4
.LBB98_3:
	s_load_dwordx4 s[20:23], s[0:1], 0x30
	v_mov_b32_e32 v3, 0
	v_and_b32_e32 v0, 0x3ff, v0
	s_andn2_b64 vcc, exec, s[8:9]
	v_mov_b32_e32 v2, v3
	s_cbranch_vccnz .LBB98_11
; %bb.4:
	s_load_dword s3, s[0:1], 0x4c
	s_load_dword s5, s[0:1], 0x44
	s_load_dwordx8 s[8:15], s[0:1], 0x10
	s_add_u32 s24, s0, 64
	s_addc_u32 s25, s1, 0
	s_waitcnt lgkmcnt(0)
	s_and_b32 s0, s3, 0xffff
	v_mad_u32_u24 v2, v1, s0, v0
	v_and_b32_e32 v4, 63, v2
	v_lshlrev_b32_e32 v2, 3, v1
	v_mov_b32_e32 v3, 0
	v_mbcnt_lo_u32_b32 v6, -1, 0
	v_mov_b32_e32 v5, v3
	v_mbcnt_hi_u32_b32 v6, -1, v6
	s_lshl_b32 s26, s5, 3
	v_lshl_add_u64 v[10:11], v[2:3], 0, s[6:7]
	v_cmp_gt_u32_e64 s[0:1], 8, v4
	v_lshl_add_u32 v8, s2, 6, v0
	v_mov_b32_e32 v9, v3
	v_lshlrev_b32_e32 v6, 2, v6
	v_lshl_add_u64 v[4:5], v[10:11], 0, v[4:5]
	v_mul_lo_u32 v2, s19, v10
	v_mul_lo_u32 v20, s18, v11
	v_mad_u64_u32 v[10:11], s[30:31], s18, v10, 0
	s_mul_i32 s3, s19, s26
	s_mul_hi_u32 s5, s18, s26
	s_mov_b32 s27, 0
	v_and_b32_e32 v12, 0x100, v6
	v_add3_u32 v11, v11, v20, v2
	v_lshlrev_b64 v[8:9], 1, v[8:9]
	s_add_i32 s31, s5, s3
	s_mul_i32 s30, s18, s26
	v_or_b32_e32 v13, 4, v12
	v_or_b32_e32 v14, 8, v12
	;; [unrolled: 1-line block ×7, first 2 shown]
	v_lshlrev_b64 v[6:7], 2, v[4:5]
	s_lshl_b64 s[28:29], s[26:27], 2
	v_lshl_add_u64 v[8:9], v[10:11], 1, v[8:9]
	s_lshl_b64 s[30:31], s[30:31], 1
	s_lshl_b64 s[34:35], s[18:19], 1
	v_mov_b64_e32 v[10:11], s[16:17]
	v_mov_b32_e32 v2, v3
	s_branch .LBB98_7
.LBB98_5:                               ;   in Loop: Header=BB98_7 Depth=1
	s_or_b64 exec, exec, s[38:39]
.LBB98_6:                               ;   in Loop: Header=BB98_7 Depth=1
	s_or_b64 exec, exec, s[36:37]
	v_lshl_add_u64 v[24:25], s[10:11], 0, v[8:9]
	v_lshl_add_u64 v[22:23], s[8:9], 0, v[8:9]
	global_load_ushort v27, v[24:25], off
	v_lshl_add_u64 v[24:25], v[24:25], 0, s[34:35]
	global_load_ushort v26, v[22:23], off
	;; [unrolled: 2-line block ×11, first 2 shown]
	global_load_ushort v36, v[22:23], off
	v_lshl_add_u64 v[22:23], v[22:23], 0, s[34:35]
	v_lshl_add_u64 v[24:25], v[24:25], 0, s[34:35]
	global_load_ushort v38, v[22:23], off
	global_load_ushort v39, v[24:25], off
	v_lshl_add_u64 v[22:23], v[22:23], 0, s[34:35]
	v_lshl_add_u64 v[24:25], v[24:25], 0, s[34:35]
	global_load_ushort v40, v[22:23], off
	global_load_ushort v41, v[24:25], off
	s_waitcnt vmcnt(17)
	ds_bpermute_b32 v24, v12, v20
	ds_bpermute_b32 v42, v13, v20
	s_waitcnt vmcnt(16)
	ds_bpermute_b32 v23, v12, v21
	ds_bpermute_b32 v44, v14, v20
	;; [unrolled: 1-line block ×14, first 2 shown]
	s_add_u32 s6, s6, s26
	s_addc_u32 s7, s7, 0
	v_cmp_lt_i64_e32 vcc, s[6:7], v[10:11]
	v_lshl_add_u64 v[6:7], v[6:7], 0, s[28:29]
	v_lshl_add_u64 v[4:5], v[4:5], 0, s[26:27]
	;; [unrolled: 1-line block ×3, first 2 shown]
	s_and_b64 vcc, exec, vcc
	s_waitcnt vmcnt(15)
	v_lshlrev_b32_e32 v21, 16, v27
	s_waitcnt lgkmcnt(14)
	v_sub_f32_e32 v21, v21, v24
	s_waitcnt vmcnt(14)
	v_lshlrev_b32_e32 v20, 16, v26
	v_mul_f32_e32 v21, v21, v20
	s_waitcnt vmcnt(13)
	v_lshlrev_b32_e32 v26, 16, v29
	s_waitcnt lgkmcnt(13)
	v_mul_f32_e32 v21, v21, v23
	s_waitcnt vmcnt(12)
	v_lshlrev_b32_e32 v22, 16, v28
	v_sub_f32_e32 v28, v26, v42
	s_waitcnt vmcnt(11)
	v_lshlrev_b32_e32 v27, 16, v31
	v_mul_f32_e32 v23, v28, v22
	s_waitcnt vmcnt(10)
	v_lshlrev_b32_e32 v24, 16, v30
	s_waitcnt lgkmcnt(12)
	v_sub_f32_e32 v27, v27, v44
	s_waitcnt vmcnt(9)
	v_lshlrev_b32_e32 v29, 16, v33
	s_waitcnt lgkmcnt(11)
	v_mul_f32_e32 v23, v23, v25
	s_waitcnt vmcnt(8)
	v_lshlrev_b32_e32 v26, 16, v32
	v_mul_f32_e32 v25, v27, v24
	s_waitcnt vmcnt(7)
	v_lshlrev_b32_e32 v30, 16, v35
	s_waitcnt lgkmcnt(10)
	v_sub_f32_e32 v27, v29, v46
	v_pk_add_f32 v[2:3], v[2:3], v[20:21]
	s_waitcnt vmcnt(6)
	v_lshlrev_b32_e32 v28, 16, v34
	s_waitcnt vmcnt(5)
	v_lshlrev_b32_e32 v21, 16, v37
	s_waitcnt lgkmcnt(9)
	v_mul_f32_e32 v25, v25, v43
	v_mul_f32_e32 v27, v27, v26
	s_waitcnt lgkmcnt(6)
	v_sub_f32_e32 v29, v30, v48
	v_pk_add_f32 v[2:3], v[2:3], v[22:23]
	s_waitcnt vmcnt(4)
	v_lshlrev_b32_e32 v20, 16, v36
	v_mul_f32_e32 v27, v27, v45
	v_mul_f32_e32 v29, v29, v28
	s_waitcnt lgkmcnt(2)
	v_sub_f32_e32 v21, v21, v50
	v_pk_add_f32 v[2:3], v[2:3], v[24:25]
	s_waitcnt vmcnt(2)
	v_lshlrev_b32_e32 v23, 16, v39
	v_mul_f32_e32 v29, v29, v47
	v_mul_f32_e32 v21, v21, v20
	v_pk_add_f32 v[2:3], v[2:3], v[26:27]
	v_lshlrev_b32_e32 v22, 16, v38
	s_waitcnt vmcnt(0)
	v_lshlrev_b32_e32 v25, 16, v41
	s_waitcnt lgkmcnt(1)
	v_sub_f32_e32 v23, v23, v52
	v_mul_f32_e32 v21, v21, v49
	v_pk_add_f32 v[2:3], v[2:3], v[28:29]
	v_lshlrev_b32_e32 v24, 16, v40
	v_mul_f32_e32 v23, v23, v22
	v_pk_add_f32 v[2:3], v[2:3], v[20:21]
	s_waitcnt lgkmcnt(0)
	v_sub_f32_e32 v20, v25, v54
	v_mul_f32_e32 v23, v23, v51
	v_mul_f32_e32 v20, v20, v24
	v_pk_add_f32 v[2:3], v[2:3], v[22:23]
	v_mul_f32_e32 v25, v20, v53
	v_pk_add_f32 v[2:3], v[2:3], v[24:25]
	s_cbranch_vccz .LBB98_10
.LBB98_7:                               ; =>This Inner Loop Header: Depth=1
	v_mov_b32_e32 v21, 0
	v_mov_b32_e32 v20, 0
	s_and_saveexec_b64 s[36:37], s[0:1]
	s_cbranch_execz .LBB98_6
; %bb.8:                                ;   in Loop: Header=BB98_7 Depth=1
	v_cmp_gt_i64_e32 vcc, s[16:17], v[4:5]
	v_mov_b32_e32 v20, 0
	v_mov_b32_e32 v21, 0
	s_and_saveexec_b64 s[38:39], vcc
	s_cbranch_execz .LBB98_5
; %bb.9:                                ;   in Loop: Header=BB98_7 Depth=1
	v_lshl_add_u64 v[24:25], s[12:13], 0, v[6:7]
	v_lshl_add_u64 v[22:23], s[14:15], 0, v[6:7]
	global_load_dword v20, v[24:25], off
	global_load_dword v21, v[22:23], off
	s_branch .LBB98_5
.LBB98_10:
	v_mov_b32_e32 v4, v1
.LBB98_11:
	s_load_dword s5, s[24:25], 0xc
	s_mov_b32 s3, 0
	v_mov_b32_e32 v1, 0
	s_lshl_b64 s[0:1], s[2:3], 6
	v_lshl_add_u64 v[6:7], s[0:1], 0, v[0:1]
	s_waitcnt lgkmcnt(0)
	s_lshr_b32 s0, s5, 16
	v_mov_b32_e32 v5, v1
	v_mov_b32_e32 v0, s4
	v_mad_u64_u32 v[0:1], s[0:1], s0, v0, v[4:5]
	s_cmp_eq_u64 s[20:21], 0
	v_mul_lo_u32 v1, v1, s18
	v_mul_lo_u32 v4, v0, s19
	s_cbranch_scc1 .LBB98_13
; %bb.12:
	v_bfe_u32 v5, v3, 16, 1
	s_movk_i32 s0, 0x7fff
	v_add3_u32 v5, v3, v5, s0
	v_mad_u64_u32 v[8:9], s[0:1], v0, s18, 0
	v_add3_u32 v9, v9, v4, v1
	v_cmp_o_f32_e32 vcc, v3, v3
	v_mov_b32_e32 v3, 0x7fc0
	v_lshl_add_u64 v[8:9], v[8:9], 1, s[20:21]
	v_cndmask_b32_sdwa v3, v3, v5, vcc dst_sel:DWORD dst_unused:UNUSED_PAD src0_sel:DWORD src1_sel:WORD_1
	v_lshl_add_u64 v[8:9], v[6:7], 1, v[8:9]
	global_store_short v[8:9], v3, off
.LBB98_13:
	s_cmp_eq_u64 s[22:23], 0
	s_cbranch_scc1 .LBB98_15
; %bb.14:
	v_bfe_u32 v3, v2, 16, 1
	s_movk_i32 s0, 0x7fff
	v_add3_u32 v3, v2, v3, s0
	v_cmp_o_f32_e32 vcc, v2, v2
	v_mov_b32_e32 v2, 0x7fc0
	s_nop 0
	v_cndmask_b32_sdwa v5, v2, v3, vcc dst_sel:DWORD dst_unused:UNUSED_PAD src0_sel:DWORD src1_sel:WORD_1
	v_mad_u64_u32 v[2:3], s[0:1], v0, s18, 0
	v_add3_u32 v3, v3, v4, v1
	v_lshl_add_u64 v[0:1], v[2:3], 1, s[22:23]
	v_lshl_add_u64 v[0:1], v[6:7], 1, v[0:1]
	global_store_short v[0:1], v5, off
.LBB98_15:
	s_endpgm
	.section	.rodata,"a",@progbits
	.p2align	6, 0x0
	.amdhsa_kernel _ZN2at6native12_GLOBAL__N_135GammaBetaBackwardCUDAKernelTemplateIN3c108BFloat16EfLj64ELj1ELj8ELb1ELb1ELb0EEEvllPKT_S7_PKT0_SA_PS5_SB_
		.amdhsa_group_segment_fixed_size 0
		.amdhsa_private_segment_fixed_size 0
		.amdhsa_kernarg_size 320
		.amdhsa_user_sgpr_count 2
		.amdhsa_user_sgpr_dispatch_ptr 0
		.amdhsa_user_sgpr_queue_ptr 0
		.amdhsa_user_sgpr_kernarg_segment_ptr 1
		.amdhsa_user_sgpr_dispatch_id 0
		.amdhsa_user_sgpr_kernarg_preload_length 0
		.amdhsa_user_sgpr_kernarg_preload_offset 0
		.amdhsa_user_sgpr_private_segment_size 0
		.amdhsa_uses_dynamic_stack 0
		.amdhsa_enable_private_segment 0
		.amdhsa_system_sgpr_workgroup_id_x 1
		.amdhsa_system_sgpr_workgroup_id_y 1
		.amdhsa_system_sgpr_workgroup_id_z 0
		.amdhsa_system_sgpr_workgroup_info 0
		.amdhsa_system_vgpr_workitem_id 1
		.amdhsa_next_free_vgpr 55
		.amdhsa_next_free_sgpr 40
		.amdhsa_accum_offset 56
		.amdhsa_reserve_vcc 1
		.amdhsa_float_round_mode_32 0
		.amdhsa_float_round_mode_16_64 0
		.amdhsa_float_denorm_mode_32 3
		.amdhsa_float_denorm_mode_16_64 3
		.amdhsa_dx10_clamp 1
		.amdhsa_ieee_mode 1
		.amdhsa_fp16_overflow 0
		.amdhsa_tg_split 0
		.amdhsa_exception_fp_ieee_invalid_op 0
		.amdhsa_exception_fp_denorm_src 0
		.amdhsa_exception_fp_ieee_div_zero 0
		.amdhsa_exception_fp_ieee_overflow 0
		.amdhsa_exception_fp_ieee_underflow 0
		.amdhsa_exception_fp_ieee_inexact 0
		.amdhsa_exception_int_div_zero 0
	.end_amdhsa_kernel
	.section	.text._ZN2at6native12_GLOBAL__N_135GammaBetaBackwardCUDAKernelTemplateIN3c108BFloat16EfLj64ELj1ELj8ELb1ELb1ELb0EEEvllPKT_S7_PKT0_SA_PS5_SB_,"axG",@progbits,_ZN2at6native12_GLOBAL__N_135GammaBetaBackwardCUDAKernelTemplateIN3c108BFloat16EfLj64ELj1ELj8ELb1ELb1ELb0EEEvllPKT_S7_PKT0_SA_PS5_SB_,comdat
.Lfunc_end98:
	.size	_ZN2at6native12_GLOBAL__N_135GammaBetaBackwardCUDAKernelTemplateIN3c108BFloat16EfLj64ELj1ELj8ELb1ELb1ELb0EEEvllPKT_S7_PKT0_SA_PS5_SB_, .Lfunc_end98-_ZN2at6native12_GLOBAL__N_135GammaBetaBackwardCUDAKernelTemplateIN3c108BFloat16EfLj64ELj1ELj8ELb1ELb1ELb0EEEvllPKT_S7_PKT0_SA_PS5_SB_
                                        ; -- End function
	.set _ZN2at6native12_GLOBAL__N_135GammaBetaBackwardCUDAKernelTemplateIN3c108BFloat16EfLj64ELj1ELj8ELb1ELb1ELb0EEEvllPKT_S7_PKT0_SA_PS5_SB_.num_vgpr, 55
	.set _ZN2at6native12_GLOBAL__N_135GammaBetaBackwardCUDAKernelTemplateIN3c108BFloat16EfLj64ELj1ELj8ELb1ELb1ELb0EEEvllPKT_S7_PKT0_SA_PS5_SB_.num_agpr, 0
	.set _ZN2at6native12_GLOBAL__N_135GammaBetaBackwardCUDAKernelTemplateIN3c108BFloat16EfLj64ELj1ELj8ELb1ELb1ELb0EEEvllPKT_S7_PKT0_SA_PS5_SB_.numbered_sgpr, 40
	.set _ZN2at6native12_GLOBAL__N_135GammaBetaBackwardCUDAKernelTemplateIN3c108BFloat16EfLj64ELj1ELj8ELb1ELb1ELb0EEEvllPKT_S7_PKT0_SA_PS5_SB_.num_named_barrier, 0
	.set _ZN2at6native12_GLOBAL__N_135GammaBetaBackwardCUDAKernelTemplateIN3c108BFloat16EfLj64ELj1ELj8ELb1ELb1ELb0EEEvllPKT_S7_PKT0_SA_PS5_SB_.private_seg_size, 0
	.set _ZN2at6native12_GLOBAL__N_135GammaBetaBackwardCUDAKernelTemplateIN3c108BFloat16EfLj64ELj1ELj8ELb1ELb1ELb0EEEvllPKT_S7_PKT0_SA_PS5_SB_.uses_vcc, 1
	.set _ZN2at6native12_GLOBAL__N_135GammaBetaBackwardCUDAKernelTemplateIN3c108BFloat16EfLj64ELj1ELj8ELb1ELb1ELb0EEEvllPKT_S7_PKT0_SA_PS5_SB_.uses_flat_scratch, 0
	.set _ZN2at6native12_GLOBAL__N_135GammaBetaBackwardCUDAKernelTemplateIN3c108BFloat16EfLj64ELj1ELj8ELb1ELb1ELb0EEEvllPKT_S7_PKT0_SA_PS5_SB_.has_dyn_sized_stack, 0
	.set _ZN2at6native12_GLOBAL__N_135GammaBetaBackwardCUDAKernelTemplateIN3c108BFloat16EfLj64ELj1ELj8ELb1ELb1ELb0EEEvllPKT_S7_PKT0_SA_PS5_SB_.has_recursion, 0
	.set _ZN2at6native12_GLOBAL__N_135GammaBetaBackwardCUDAKernelTemplateIN3c108BFloat16EfLj64ELj1ELj8ELb1ELb1ELb0EEEvllPKT_S7_PKT0_SA_PS5_SB_.has_indirect_call, 0
	.section	.AMDGPU.csdata,"",@progbits
; Kernel info:
; codeLenInByte = 1460
; TotalNumSgprs: 46
; NumVgprs: 55
; NumAgprs: 0
; TotalNumVgprs: 55
; ScratchSize: 0
; MemoryBound: 0
; FloatMode: 240
; IeeeMode: 1
; LDSByteSize: 0 bytes/workgroup (compile time only)
; SGPRBlocks: 5
; VGPRBlocks: 6
; NumSGPRsForWavesPerEU: 46
; NumVGPRsForWavesPerEU: 55
; AccumOffset: 56
; Occupancy: 8
; WaveLimiterHint : 0
; COMPUTE_PGM_RSRC2:SCRATCH_EN: 0
; COMPUTE_PGM_RSRC2:USER_SGPR: 2
; COMPUTE_PGM_RSRC2:TRAP_HANDLER: 0
; COMPUTE_PGM_RSRC2:TGID_X_EN: 1
; COMPUTE_PGM_RSRC2:TGID_Y_EN: 1
; COMPUTE_PGM_RSRC2:TGID_Z_EN: 0
; COMPUTE_PGM_RSRC2:TIDIG_COMP_CNT: 1
; COMPUTE_PGM_RSRC3_GFX90A:ACCUM_OFFSET: 13
; COMPUTE_PGM_RSRC3_GFX90A:TG_SPLIT: 0
	.section	.text._ZN2at6native12_GLOBAL__N_135GammaBetaBackwardCUDAKernelTemplateIN3c108BFloat16EfLj64ELj1ELj8ELb1ELb0ELb0EEEvllPKT_S7_PKT0_SA_PS5_SB_,"axG",@progbits,_ZN2at6native12_GLOBAL__N_135GammaBetaBackwardCUDAKernelTemplateIN3c108BFloat16EfLj64ELj1ELj8ELb1ELb0ELb0EEEvllPKT_S7_PKT0_SA_PS5_SB_,comdat
	.globl	_ZN2at6native12_GLOBAL__N_135GammaBetaBackwardCUDAKernelTemplateIN3c108BFloat16EfLj64ELj1ELj8ELb1ELb0ELb0EEEvllPKT_S7_PKT0_SA_PS5_SB_ ; -- Begin function _ZN2at6native12_GLOBAL__N_135GammaBetaBackwardCUDAKernelTemplateIN3c108BFloat16EfLj64ELj1ELj8ELb1ELb0ELb0EEEvllPKT_S7_PKT0_SA_PS5_SB_
	.p2align	8
	.type	_ZN2at6native12_GLOBAL__N_135GammaBetaBackwardCUDAKernelTemplateIN3c108BFloat16EfLj64ELj1ELj8ELb1ELb0ELb0EEEvllPKT_S7_PKT0_SA_PS5_SB_,@function
_ZN2at6native12_GLOBAL__N_135GammaBetaBackwardCUDAKernelTemplateIN3c108BFloat16EfLj64ELj1ELj8ELb1ELb0ELb0EEEvllPKT_S7_PKT0_SA_PS5_SB_: ; @_ZN2at6native12_GLOBAL__N_135GammaBetaBackwardCUDAKernelTemplateIN3c108BFloat16EfLj64ELj1ELj8ELb1ELb0ELb0EEEvllPKT_S7_PKT0_SA_PS5_SB_
; %bb.0:
	s_load_dwordx8 s[12:19], s[0:1], 0x0
	s_load_dwordx4 s[20:23], s[0:1], 0x20
	s_mov_b32 s8, s3
	s_lshl_b32 s3, s2, 6
	s_mov_b32 s11, 0
	s_lshl_b32 s10, s8, 3
	s_or_b32 s4, s3, 63
	v_mov_b64_e32 v[2:3], s[10:11]
	v_mov_b32_e32 v20, s4
	v_mov_b32_e32 v21, 0
	s_waitcnt lgkmcnt(0)
	v_cmp_gt_i64_e64 s[4:5], s[12:13], v[2:3]
	v_cmp_le_i64_e32 vcc, s[14:15], v[20:21]
	s_nop 0
	v_cndmask_b32_e64 v1, 0, 1, s[4:5]
	v_cmp_ne_u32_e64 s[4:5], 1, v1
	s_cbranch_vccz .LBB99_48
; %bb.1:
	s_and_b64 vcc, exec, s[4:5]
	v_mov_b32_e32 v20, 0
	s_cbranch_vccnz .LBB99_49
; %bb.2:
	v_and_b32_e32 v1, 0x3ff, v0
	v_mov_b32_e32 v2, 0
	v_bfe_u32 v62, v0, 10, 10
	v_add_u32_e32 v4, s3, v1
	v_mov_b32_e32 v5, v2
	v_lshlrev_b32_e32 v22, 3, v62
	v_mov_b32_e32 v23, v2
	v_cmp_gt_i64_e64 s[6:7], s[14:15], v[4:5]
	v_lshlrev_b64 v[24:25], 1, v[4:5]
	v_lshl_add_u64 v[4:5], v[22:23], 0, s[10:11]
	v_mul_lo_u32 v3, s15, v4
	v_mul_lo_u32 v8, s14, v5
	v_mad_u64_u32 v[6:7], s[28:29], s14, v4, 0
	v_add3_u32 v7, v7, v8, v3
	v_lshlrev_b64 v[6:7], 1, v[6:7]
	v_lshl_add_u64 v[26:27], s[16:17], 0, v[6:7]
	v_lshl_add_u64 v[28:29], s[18:19], 0, v[6:7]
	v_lshl_add_u64 v[6:7], v[4:5], 0, 7
	v_mul_lo_u32 v9, s15, v6
	v_mul_lo_u32 v10, s14, v7
	v_mad_u64_u32 v[6:7], s[34:35], s14, v6, 0
	v_add3_u32 v7, v7, v10, v9
	v_lshlrev_b64 v[6:7], 1, v[6:7]
	v_lshl_add_u64 v[30:31], s[16:17], 0, v[6:7]
	v_lshl_add_u64 v[32:33], s[18:19], 0, v[6:7]
	;; [unrolled: 8-line block ×6, first 2 shown]
	v_lshl_add_u64 v[6:7], v[4:5], 0, 2
	s_load_dword s9, s[0:1], 0x44
	v_mul_lo_u32 v5, s15, v6
	v_mul_lo_u32 v9, s14, v7
	v_mad_u64_u32 v[6:7], s[34:35], s14, v6, 0
	v_add3_u32 v7, v7, v9, v5
	v_lshlrev_b64 v[6:7], 1, v[6:7]
	v_lshl_add_u64 v[50:51], s[16:17], 0, v[6:7]
	v_lshl_add_u64 v[52:53], s[18:19], 0, v[6:7]
	v_mov_b64_e32 v[6:7], s[14:15]
	s_add_u32 s26, s0, 64
	v_mad_u64_u32 v[4:5], s[34:35], s14, v4, v[6:7]
	s_addc_u32 s27, s1, 0
	s_waitcnt lgkmcnt(0)
	s_lshl_b32 s24, s9, 3
	v_add3_u32 v5, v3, v5, v8
	v_mbcnt_lo_u32_b32 v3, -1, 0
	s_mul_i32 s9, s15, s24
	s_mul_hi_u32 s28, s14, s24
	v_mbcnt_hi_u32_b32 v3, -1, v3
	s_add_i32 s29, s28, s9
	s_mul_i32 s28, s14, s24
	v_lshlrev_b64 v[4:5], 1, v[4:5]
	v_lshlrev_b32_e32 v3, 2, v3
	s_mov_b32 s25, 0
	s_lshl_b64 s[28:29], s[28:29], 1
	s_mov_b64 s[30:31], 7
	v_lshl_add_u64 v[54:55], s[16:17], 0, v[4:5]
	v_lshl_add_u64 v[56:57], s[18:19], 0, v[4:5]
	v_and_b32_e32 v63, 0x100, v3
	s_mov_b64 s[34:35], s[10:11]
	v_mov_b32_e32 v20, 0
	v_mov_b32_e32 v21, v2
	s_branch .LBB99_5
.LBB99_3:                               ;   in Loop: Header=BB99_5 Depth=1
	s_or_b64 exec, exec, s[36:37]
	s_waitcnt vmcnt(1)
	ds_bpermute_b32 v3, v63, v61
	ds_bpermute_b32 v58, v63, v61 offset:4
	s_waitcnt vmcnt(0)
	ds_bpermute_b32 v59, v63, v60
	ds_bpermute_b32 v64, v63, v60 offset:4
	v_mov_b32_e32 v66, v8
	s_waitcnt lgkmcnt(3)
	v_sub_f32_e32 v3, v12, v3
	v_mul_f32_e32 v3, v4, v3
	s_waitcnt lgkmcnt(2)
	v_sub_f32_e32 v12, v13, v58
	s_waitcnt lgkmcnt(1)
	v_mul_f32_e32 v13, v3, v59
	ds_bpermute_b32 v3, v63, v61 offset:8
	v_mul_f32_e32 v12, v5, v12
	s_waitcnt lgkmcnt(1)
	v_mul_f32_e32 v59, v12, v64
	ds_bpermute_b32 v12, v63, v60 offset:8
	ds_bpermute_b32 v58, v63, v61 offset:12
	s_waitcnt lgkmcnt(2)
	v_sub_f32_e32 v3, v14, v3
	ds_bpermute_b32 v14, v63, v60 offset:12
	v_mul_f32_e32 v3, v6, v3
	s_waitcnt lgkmcnt(2)
	v_mul_f32_e32 v65, v3, v12
	s_waitcnt lgkmcnt(1)
	v_sub_f32_e32 v3, v15, v58
	ds_bpermute_b32 v12, v63, v61 offset:16
	v_mul_f32_e32 v3, v7, v3
	s_waitcnt lgkmcnt(1)
	v_mul_f32_e32 v15, v3, v14
	ds_bpermute_b32 v3, v63, v60 offset:16
	ds_bpermute_b32 v14, v63, v61 offset:20
	s_waitcnt lgkmcnt(2)
	v_sub_f32_e32 v12, v16, v12
	ds_bpermute_b32 v16, v63, v60 offset:20
	v_mul_f32_e32 v12, v8, v12
	s_waitcnt lgkmcnt(2)
	v_mul_f32_e32 v67, v12, v3
	v_mov_b32_e32 v12, v4
	s_waitcnt lgkmcnt(1)
	v_sub_f32_e32 v3, v17, v14
	v_pk_add_f32 v[12:13], v[20:21], v[12:13]
	v_mov_b32_e32 v58, v5
	v_mul_f32_e32 v3, v9, v3
	v_pk_add_f32 v[4:5], v[58:59], v[12:13]
	v_mov_b32_e32 v64, v6
	s_waitcnt lgkmcnt(0)
	v_mul_f32_e32 v17, v3, v16
	v_pk_add_f32 v[4:5], v[64:65], v[4:5]
	v_mov_b32_e32 v14, v7
	ds_bpermute_b32 v3, v63, v61 offset:24
	v_pk_add_f32 v[4:5], v[14:15], v[4:5]
	v_mov_b32_e32 v16, v9
	v_pk_add_f32 v[4:5], v[66:67], v[4:5]
	s_waitcnt lgkmcnt(0)
	v_sub_f32_e32 v8, v18, v3
	v_pk_add_f32 v[6:7], v[16:17], v[4:5]
	ds_bpermute_b32 v5, v63, v60 offset:24
	ds_bpermute_b32 v3, v63, v60 offset:28
	;; [unrolled: 1-line block ×3, first 2 shown]
	v_mul_f32_e32 v8, v10, v8
	s_waitcnt lgkmcnt(2)
	v_mul_f32_e32 v9, v8, v5
	v_mov_b32_e32 v8, v10
	v_pk_add_f32 v[60:61], v[8:9], v[6:7]
.LBB99_4:                               ;   in Loop: Header=BB99_5 Depth=1
	s_waitcnt lgkmcnt(0)
	v_sub_f32_e32 v4, v19, v4
	v_mul_f32_e32 v4, v11, v4
	v_mul_f32_e32 v5, v4, v3
	v_mov_b32_e32 v4, v11
	s_add_u32 s34, s34, s24
	v_pk_add_f32 v[20:21], v[60:61], v[4:5]
	s_addc_u32 s35, s35, 0
	v_mov_b64_e32 v[4:5], s[12:13]
	s_add_u32 s30, s30, s24
	v_cmp_lt_i64_e32 vcc, s[34:35], v[4:5]
	v_lshl_add_u64 v[26:27], v[26:27], 0, s[28:29]
	v_lshl_add_u64 v[28:29], v[28:29], 0, s[28:29]
	;; [unrolled: 1-line block ×17, first 2 shown]
	s_addc_u32 s31, 0, s31
	s_cbranch_vccz .LBB99_49
.LBB99_5:                               ; =>This Inner Loop Header: Depth=1
	s_add_u32 s36, s10, s30
	s_addc_u32 s37, 0, s31
	v_mov_b64_e32 v[4:5], s[12:13]
	v_cmp_ge_i64_e32 vcc, s[36:37], v[4:5]
	v_lshl_add_u64 v[58:59], s[10:11], 0, v[22:23]
	s_mov_b64 s[36:37], -1
	s_and_b64 vcc, exec, vcc
                                        ; implicit-def: $vgpr4_vgpr5_vgpr6_vgpr7_vgpr8_vgpr9_vgpr10_vgpr11
                                        ; implicit-def: $vgpr60_vgpr61
                                        ; implicit-def: $vgpr3
                                        ; implicit-def: $vgpr12_vgpr13_vgpr14_vgpr15_vgpr16_vgpr17_vgpr18_vgpr19
                                        ; implicit-def: $vgpr4
	s_cbranch_vccz .LBB99_27
; %bb.6:                                ;   in Loop: Header=BB99_5 Depth=1
	s_load_dword s9, s[26:27], 0xc
	v_mov_b32_e32 v60, 0
	v_mov_b32_e32 v61, 0
	s_waitcnt lgkmcnt(0)
	s_and_b32 s9, s9, 0xffff
	v_mad_u32_u24 v3, v62, s9, v1
	v_and_b32_e32 v4, 63, v3
	v_cmp_gt_u32_e32 vcc, 8, v4
	s_and_saveexec_b64 s[36:37], vcc
	s_cbranch_execz .LBB99_10
; %bb.7:                                ;   in Loop: Header=BB99_5 Depth=1
	v_mov_b32_e32 v5, v2
	v_lshl_add_u64 v[4:5], v[58:59], 0, v[4:5]
	v_cmp_gt_i64_e32 vcc, s[12:13], v[4:5]
	v_mov_b32_e32 v61, 0
	v_mov_b32_e32 v60, 0
	s_and_saveexec_b64 s[38:39], vcc
	s_cbranch_execz .LBB99_9
; %bb.8:                                ;   in Loop: Header=BB99_5 Depth=1
	v_lshlrev_b64 v[4:5], 2, v[4:5]
	v_lshl_add_u64 v[6:7], s[22:23], 0, v[4:5]
	v_lshl_add_u64 v[4:5], s[20:21], 0, v[4:5]
	global_load_dword v61, v[4:5], off
	global_load_dword v60, v[6:7], off
.LBB99_9:                               ;   in Loop: Header=BB99_5 Depth=1
	s_or_b64 exec, exec, s[38:39]
.LBB99_10:                              ;   in Loop: Header=BB99_5 Depth=1
	s_or_b64 exec, exec, s[36:37]
	v_mov_b32_e32 v8, v2
	v_mov_b32_e32 v9, v2
	;; [unrolled: 1-line block ×7, first 2 shown]
	v_mov_b64_e32 v[18:19], v[8:9]
	v_cmp_gt_i64_e32 vcc, s[12:13], v[58:59]
	v_mov_b64_e32 v[16:17], v[6:7]
	v_mov_b64_e32 v[14:15], v[4:5]
	;; [unrolled: 1-line block ×4, first 2 shown]
	s_and_b64 s[38:39], s[6:7], vcc
	v_mov_b64_e32 v[8:9], v[6:7]
	v_mov_b64_e32 v[6:7], v[4:5]
	;; [unrolled: 1-line block ×3, first 2 shown]
	s_and_saveexec_b64 s[36:37], s[38:39]
	s_cbranch_execz .LBB99_12
; %bb.11:                               ;   in Loop: Header=BB99_5 Depth=1
	v_lshl_add_u64 v[4:5], v[26:27], 0, v[24:25]
	global_load_ushort v3, v[4:5], off
	v_lshl_add_u64 v[4:5], v[28:29], 0, v[24:25]
	global_load_ushort v12, v[4:5], off
	v_mov_b32_e32 v5, v2
	v_mov_b32_e32 v6, v2
	;; [unrolled: 1-line block ×14, first 2 shown]
	s_waitcnt vmcnt(1)
	v_lshlrev_b32_e32 v4, 16, v3
	s_waitcnt vmcnt(0)
	v_lshlrev_b32_e32 v12, 16, v12
.LBB99_12:                              ;   in Loop: Header=BB99_5 Depth=1
	s_or_b64 exec, exec, s[36:37]
	v_lshl_add_u64 v[64:65], v[58:59], 0, 1
	v_cmp_gt_i64_e32 vcc, s[12:13], v[64:65]
	s_and_b64 s[38:39], s[6:7], vcc
	s_and_saveexec_b64 s[36:37], s[38:39]
	s_cbranch_execz .LBB99_14
; %bb.13:                               ;   in Loop: Header=BB99_5 Depth=1
	v_lshl_add_u64 v[64:65], v[54:55], 0, v[24:25]
	global_load_ushort v3, v[64:65], off
	v_lshl_add_u64 v[64:65], v[56:57], 0, v[24:25]
	global_load_ushort v13, v[64:65], off
	s_waitcnt vmcnt(1)
	v_lshlrev_b32_e32 v5, 16, v3
	s_waitcnt vmcnt(0)
	v_lshlrev_b32_e32 v13, 16, v13
.LBB99_14:                              ;   in Loop: Header=BB99_5 Depth=1
	s_or_b64 exec, exec, s[36:37]
	v_lshl_add_u64 v[64:65], v[58:59], 0, 2
	v_cmp_gt_i64_e32 vcc, s[12:13], v[64:65]
	s_and_b64 s[38:39], s[6:7], vcc
	s_and_saveexec_b64 s[36:37], s[38:39]
	s_cbranch_execz .LBB99_16
; %bb.15:                               ;   in Loop: Header=BB99_5 Depth=1
	v_lshl_add_u64 v[64:65], v[50:51], 0, v[24:25]
	global_load_ushort v3, v[64:65], off
	v_lshl_add_u64 v[64:65], v[52:53], 0, v[24:25]
	global_load_ushort v14, v[64:65], off
	s_waitcnt vmcnt(1)
	v_lshlrev_b32_e32 v6, 16, v3
	s_waitcnt vmcnt(0)
	v_lshlrev_b32_e32 v14, 16, v14
.LBB99_16:                              ;   in Loop: Header=BB99_5 Depth=1
	;; [unrolled: 16-line block ×7, first 2 shown]
	s_or_b64 exec, exec, s[36:37]
	s_waitcnt vmcnt(1)
	ds_bpermute_b32 v3, v63, v61
	ds_bpermute_b32 v64, v63, v61 offset:4
	s_waitcnt vmcnt(0)
	ds_bpermute_b32 v65, v63, v60
	ds_bpermute_b32 v66, v63, v60 offset:4
	v_mov_b32_e32 v68, v8
	s_waitcnt lgkmcnt(3)
	v_sub_f32_e32 v3, v12, v3
	v_mul_f32_e32 v3, v4, v3
	s_waitcnt lgkmcnt(2)
	v_sub_f32_e32 v12, v13, v64
	s_waitcnt lgkmcnt(1)
	v_mul_f32_e32 v13, v3, v65
	ds_bpermute_b32 v3, v63, v61 offset:8
	v_mul_f32_e32 v12, v5, v12
	s_waitcnt lgkmcnt(1)
	v_mul_f32_e32 v65, v12, v66
	ds_bpermute_b32 v12, v63, v60 offset:8
	ds_bpermute_b32 v64, v63, v61 offset:12
	s_waitcnt lgkmcnt(2)
	v_sub_f32_e32 v3, v14, v3
	ds_bpermute_b32 v14, v63, v60 offset:12
	v_mul_f32_e32 v3, v6, v3
	s_waitcnt lgkmcnt(2)
	v_mul_f32_e32 v67, v3, v12
	ds_bpermute_b32 v12, v63, v61 offset:16
	s_waitcnt lgkmcnt(2)
	v_sub_f32_e32 v3, v15, v64
	v_mul_f32_e32 v3, v7, v3
	s_waitcnt lgkmcnt(1)
	v_mul_f32_e32 v15, v3, v14
	ds_bpermute_b32 v3, v63, v60 offset:16
	ds_bpermute_b32 v14, v63, v61 offset:20
	s_waitcnt lgkmcnt(2)
	v_sub_f32_e32 v12, v16, v12
	ds_bpermute_b32 v16, v63, v60 offset:20
	v_mul_f32_e32 v12, v8, v12
	s_waitcnt lgkmcnt(2)
	v_mul_f32_e32 v69, v12, v3
	s_waitcnt lgkmcnt(1)
	v_sub_f32_e32 v3, v17, v14
	v_mov_b32_e32 v12, v4
	v_mul_f32_e32 v3, v9, v3
	v_pk_add_f32 v[12:13], v[20:21], v[12:13]
	v_mov_b32_e32 v64, v5
	s_waitcnt lgkmcnt(0)
	v_mul_f32_e32 v17, v3, v16
	v_pk_add_f32 v[4:5], v[64:65], v[12:13]
	v_mov_b32_e32 v66, v6
	ds_bpermute_b32 v3, v63, v61 offset:24
	v_pk_add_f32 v[4:5], v[66:67], v[4:5]
	v_mov_b32_e32 v14, v7
	v_pk_add_f32 v[4:5], v[14:15], v[4:5]
	v_mov_b32_e32 v16, v9
	v_pk_add_f32 v[4:5], v[68:69], v[4:5]
	s_waitcnt lgkmcnt(0)
	v_sub_f32_e32 v3, v18, v3
	v_pk_add_f32 v[6:7], v[16:17], v[4:5]
	ds_bpermute_b32 v5, v63, v60 offset:24
	v_mul_f32_e32 v8, v10, v3
	ds_bpermute_b32 v3, v63, v60 offset:28
	ds_bpermute_b32 v4, v63, v61 offset:28
	s_mov_b64 s[36:37], 0
	s_waitcnt lgkmcnt(2)
	v_mul_f32_e32 v9, v8, v5
	v_mov_b32_e32 v8, v10
	v_pk_add_f32 v[60:61], v[8:9], v[6:7]
.LBB99_27:                              ;   in Loop: Header=BB99_5 Depth=1
	s_and_b64 vcc, exec, s[36:37]
	s_cbranch_vccz .LBB99_4
; %bb.28:                               ;   in Loop: Header=BB99_5 Depth=1
	s_load_dword s9, s[26:27], 0x0
	v_mov_b32_e32 v60, 0
	v_mov_b32_e32 v61, 0
	s_waitcnt lgkmcnt(0)
	s_cmp_lt_u32 s2, s9
	s_cselect_b32 s9, 12, 18
	s_add_u32 s36, s26, s9
	s_addc_u32 s37, s27, 0
	global_load_ushort v3, v2, s[36:37]
	s_waitcnt vmcnt(0)
	v_mad_u32_u24 v3, v62, v3, v1
	v_and_b32_e32 v4, 63, v3
	v_cmp_gt_u32_e32 vcc, 8, v4
	s_and_saveexec_b64 s[36:37], vcc
	s_cbranch_execz .LBB99_32
; %bb.29:                               ;   in Loop: Header=BB99_5 Depth=1
	v_mov_b32_e32 v5, v2
	v_lshl_add_u64 v[4:5], v[58:59], 0, v[4:5]
	v_cmp_gt_i64_e32 vcc, s[12:13], v[4:5]
	v_mov_b32_e32 v61, 0
	v_mov_b32_e32 v60, 0
	s_and_saveexec_b64 s[38:39], vcc
	s_cbranch_execz .LBB99_31
; %bb.30:                               ;   in Loop: Header=BB99_5 Depth=1
	v_lshlrev_b64 v[4:5], 2, v[4:5]
	v_lshl_add_u64 v[6:7], s[22:23], 0, v[4:5]
	v_lshl_add_u64 v[4:5], s[20:21], 0, v[4:5]
	global_load_dword v61, v[4:5], off
	global_load_dword v60, v[6:7], off
.LBB99_31:                              ;   in Loop: Header=BB99_5 Depth=1
	s_or_b64 exec, exec, s[38:39]
.LBB99_32:                              ;   in Loop: Header=BB99_5 Depth=1
	s_or_b64 exec, exec, s[36:37]
	v_mov_b32_e32 v8, v2
	v_mov_b32_e32 v9, v2
	;; [unrolled: 1-line block ×7, first 2 shown]
	v_mov_b64_e32 v[18:19], v[8:9]
	v_mov_b64_e32 v[16:17], v[6:7]
	;; [unrolled: 1-line block ×8, first 2 shown]
	s_and_saveexec_b64 s[36:37], s[6:7]
	s_cbranch_execnz .LBB99_40
; %bb.33:                               ;   in Loop: Header=BB99_5 Depth=1
	s_or_b64 exec, exec, s[36:37]
	s_and_saveexec_b64 s[36:37], s[6:7]
	s_cbranch_execnz .LBB99_41
.LBB99_34:                              ;   in Loop: Header=BB99_5 Depth=1
	s_or_b64 exec, exec, s[36:37]
	s_and_saveexec_b64 s[36:37], s[6:7]
	s_cbranch_execnz .LBB99_42
.LBB99_35:                              ;   in Loop: Header=BB99_5 Depth=1
	s_or_b64 exec, exec, s[36:37]
	s_and_saveexec_b64 s[36:37], s[6:7]
	s_cbranch_execnz .LBB99_43
.LBB99_36:                              ;   in Loop: Header=BB99_5 Depth=1
	s_or_b64 exec, exec, s[36:37]
	s_and_saveexec_b64 s[36:37], s[6:7]
	s_cbranch_execnz .LBB99_44
.LBB99_37:                              ;   in Loop: Header=BB99_5 Depth=1
	s_or_b64 exec, exec, s[36:37]
	s_and_saveexec_b64 s[36:37], s[6:7]
	s_cbranch_execnz .LBB99_45
.LBB99_38:                              ;   in Loop: Header=BB99_5 Depth=1
	s_or_b64 exec, exec, s[36:37]
	s_and_saveexec_b64 s[36:37], s[6:7]
	s_cbranch_execnz .LBB99_46
.LBB99_39:                              ;   in Loop: Header=BB99_5 Depth=1
	s_or_b64 exec, exec, s[36:37]
	s_and_saveexec_b64 s[36:37], s[6:7]
	s_cbranch_execz .LBB99_3
	s_branch .LBB99_47
.LBB99_40:                              ;   in Loop: Header=BB99_5 Depth=1
	v_lshl_add_u64 v[4:5], v[26:27], 0, v[24:25]
	global_load_ushort v3, v[4:5], off
	v_lshl_add_u64 v[4:5], v[28:29], 0, v[24:25]
	global_load_ushort v12, v[4:5], off
	v_mov_b32_e32 v5, v2
	v_mov_b32_e32 v6, v2
	;; [unrolled: 1-line block ×14, first 2 shown]
	s_waitcnt vmcnt(1)
	v_lshlrev_b32_e32 v4, 16, v3
	s_waitcnt vmcnt(0)
	v_lshlrev_b32_e32 v12, 16, v12
	s_or_b64 exec, exec, s[36:37]
	s_and_saveexec_b64 s[36:37], s[6:7]
	s_cbranch_execz .LBB99_34
.LBB99_41:                              ;   in Loop: Header=BB99_5 Depth=1
	v_lshl_add_u64 v[58:59], v[54:55], 0, v[24:25]
	global_load_ushort v3, v[58:59], off
	v_lshl_add_u64 v[58:59], v[56:57], 0, v[24:25]
	global_load_ushort v13, v[58:59], off
	s_waitcnt vmcnt(1)
	v_lshlrev_b32_e32 v5, 16, v3
	s_waitcnt vmcnt(0)
	v_lshlrev_b32_e32 v13, 16, v13
	s_or_b64 exec, exec, s[36:37]
	s_and_saveexec_b64 s[36:37], s[6:7]
	s_cbranch_execz .LBB99_35
.LBB99_42:                              ;   in Loop: Header=BB99_5 Depth=1
	v_lshl_add_u64 v[58:59], v[50:51], 0, v[24:25]
	global_load_ushort v3, v[58:59], off
	v_lshl_add_u64 v[58:59], v[52:53], 0, v[24:25]
	global_load_ushort v14, v[58:59], off
	s_waitcnt vmcnt(1)
	v_lshlrev_b32_e32 v6, 16, v3
	s_waitcnt vmcnt(0)
	v_lshlrev_b32_e32 v14, 16, v14
	s_or_b64 exec, exec, s[36:37]
	s_and_saveexec_b64 s[36:37], s[6:7]
	s_cbranch_execz .LBB99_36
.LBB99_43:                              ;   in Loop: Header=BB99_5 Depth=1
	v_lshl_add_u64 v[58:59], v[46:47], 0, v[24:25]
	global_load_ushort v3, v[58:59], off
	v_lshl_add_u64 v[58:59], v[48:49], 0, v[24:25]
	global_load_ushort v15, v[58:59], off
	s_waitcnt vmcnt(1)
	v_lshlrev_b32_e32 v7, 16, v3
	s_waitcnt vmcnt(0)
	v_lshlrev_b32_e32 v15, 16, v15
	s_or_b64 exec, exec, s[36:37]
	s_and_saveexec_b64 s[36:37], s[6:7]
	s_cbranch_execz .LBB99_37
.LBB99_44:                              ;   in Loop: Header=BB99_5 Depth=1
	v_lshl_add_u64 v[58:59], v[42:43], 0, v[24:25]
	global_load_ushort v3, v[58:59], off
	v_lshl_add_u64 v[58:59], v[44:45], 0, v[24:25]
	global_load_ushort v16, v[58:59], off
	s_waitcnt vmcnt(1)
	v_lshlrev_b32_e32 v8, 16, v3
	s_waitcnt vmcnt(0)
	v_lshlrev_b32_e32 v16, 16, v16
	s_or_b64 exec, exec, s[36:37]
	s_and_saveexec_b64 s[36:37], s[6:7]
	s_cbranch_execz .LBB99_38
.LBB99_45:                              ;   in Loop: Header=BB99_5 Depth=1
	v_lshl_add_u64 v[58:59], v[38:39], 0, v[24:25]
	global_load_ushort v3, v[58:59], off
	v_lshl_add_u64 v[58:59], v[40:41], 0, v[24:25]
	global_load_ushort v17, v[58:59], off
	s_waitcnt vmcnt(1)
	v_lshlrev_b32_e32 v9, 16, v3
	s_waitcnt vmcnt(0)
	v_lshlrev_b32_e32 v17, 16, v17
	s_or_b64 exec, exec, s[36:37]
	s_and_saveexec_b64 s[36:37], s[6:7]
	s_cbranch_execz .LBB99_39
.LBB99_46:                              ;   in Loop: Header=BB99_5 Depth=1
	v_lshl_add_u64 v[58:59], v[34:35], 0, v[24:25]
	global_load_ushort v3, v[58:59], off
	v_lshl_add_u64 v[58:59], v[36:37], 0, v[24:25]
	global_load_ushort v18, v[58:59], off
	s_waitcnt vmcnt(1)
	v_lshlrev_b32_e32 v10, 16, v3
	s_waitcnt vmcnt(0)
	v_lshlrev_b32_e32 v18, 16, v18
	s_or_b64 exec, exec, s[36:37]
	s_and_saveexec_b64 s[36:37], s[6:7]
	s_cbranch_execz .LBB99_3
.LBB99_47:                              ;   in Loop: Header=BB99_5 Depth=1
	v_lshl_add_u64 v[58:59], v[30:31], 0, v[24:25]
	global_load_ushort v3, v[58:59], off
	v_lshl_add_u64 v[58:59], v[32:33], 0, v[24:25]
	global_load_ushort v19, v[58:59], off
	s_waitcnt vmcnt(1)
	v_lshlrev_b32_e32 v11, 16, v3
	s_waitcnt vmcnt(0)
	v_lshlrev_b32_e32 v19, 16, v19
	s_branch .LBB99_3
.LBB99_48:
                                        ; implicit-def: $vgpr21
	s_branch .LBB99_50
.LBB99_49:
	s_cbranch_execnz .LBB99_81
.LBB99_50:
	v_mov_b32_e32 v21, 0
	s_and_b64 vcc, exec, s[4:5]
	v_mov_b32_e32 v20, v21
	s_cbranch_vccnz .LBB99_81
; %bb.51:
	v_mov_b32_e32 v2, 0
	v_bfe_u32 v90, v0, 10, 10
	v_lshlrev_b32_e32 v6, 4, v90
	v_mov_b32_e32 v7, v2
	v_lshl_add_u64 v[6:7], s[10:11], 1, v[6:7]
	v_lshl_add_u64 v[8:9], v[6:7], 0, 2
	v_mov_b64_e32 v[10:11], s[16:17]
	v_lshl_add_u64 v[12:13], v[6:7], 0, 4
	v_lshl_add_u64 v[14:15], v[6:7], 0, 6
	;; [unrolled: 1-line block ×6, first 2 shown]
	v_mad_u64_u32 v[24:25], s[4:5], s14, v8, v[10:11]
	v_mad_u64_u32 v[26:27], s[4:5], s14, v12, v[10:11]
	;; [unrolled: 1-line block ×7, first 2 shown]
	v_mov_b64_e32 v[10:11], s[18:19]
	v_mul_lo_u32 v9, s14, v9
	v_mul_lo_u32 v40, s15, v8
	v_mad_u64_u32 v[38:39], s[4:5], s14, v8, v[10:11]
	v_add3_u32 v25, v40, v25, v9
	v_mul_lo_u32 v13, s14, v13
	v_mul_lo_u32 v42, s15, v12
	v_add3_u32 v39, v40, v39, v9
	v_mad_u64_u32 v[40:41], s[4:5], s14, v12, v[10:11]
	v_add3_u32 v27, v42, v27, v13
	v_mul_lo_u32 v15, s14, v15
	v_mul_lo_u32 v44, s15, v14
	v_add3_u32 v41, v42, v41, v13
	;; [unrolled: 5-line block ×4, first 2 shown]
	v_mad_u64_u32 v[46:47], s[4:5], s14, v18, v[10:11]
	v_lshlrev_b32_e32 v22, 3, v90
	v_mov_b32_e32 v23, v2
	v_add3_u32 v33, v48, v33, v19
	v_mul_lo_u32 v21, s14, v21
	v_mul_lo_u32 v50, s15, v20
	v_add3_u32 v47, v48, v47, v19
	v_mad_u64_u32 v[48:49], s[4:5], s14, v20, v[10:11]
	v_lshl_add_u64 v[4:5], v[22:23], 0, s[10:11]
	v_add3_u32 v35, v50, v35, v21
	v_mul_lo_u32 v7, s14, v7
	v_mul_lo_u32 v8, s15, v6
	v_add3_u32 v49, v50, v49, v21
	v_mad_u64_u32 v[50:51], s[4:5], s14, v6, v[10:11]
	v_add3_u32 v37, v8, v37, v7
	v_add3_u32 v51, v8, v51, v7
	v_lshl_add_u64 v[6:7], v[4:5], 0, 7
	v_mul_lo_u32 v8, s15, v6
	v_mul_lo_u32 v9, s14, v7
	v_mad_u64_u32 v[6:7], s[4:5], s14, v6, 0
	v_add3_u32 v7, v7, v9, v8
	v_lshl_add_u64 v[8:9], v[4:5], 0, 6
	v_mul_lo_u32 v10, s15, v8
	v_mul_lo_u32 v11, s14, v9
	v_mad_u64_u32 v[8:9], s[4:5], s14, v8, 0
	v_add3_u32 v9, v9, v11, v10
	v_lshl_add_u64 v[10:11], v[4:5], 0, 5
	v_mul_lo_u32 v12, s15, v10
	v_mul_lo_u32 v13, s14, v11
	v_mad_u64_u32 v[10:11], s[4:5], s14, v10, 0
	v_add3_u32 v11, v11, v13, v12
	v_lshl_add_u64 v[12:13], v[4:5], 0, 4
	v_mul_lo_u32 v14, s15, v12
	v_mul_lo_u32 v15, s14, v13
	v_mad_u64_u32 v[12:13], s[4:5], s14, v12, 0
	v_add3_u32 v13, v13, v15, v14
	v_lshl_add_u64 v[14:15], v[4:5], 0, 3
	v_mul_lo_u32 v16, s15, v14
	v_mul_lo_u32 v17, s14, v15
	v_mad_u64_u32 v[14:15], s[4:5], s14, v14, 0
	v_add3_u32 v15, v15, v17, v16
	v_lshl_add_u64 v[16:17], v[4:5], 0, 2
	v_mul_lo_u32 v52, s14, v5
	v_mul_lo_u32 v5, s15, v16
	;; [unrolled: 1-line block ×3, first 2 shown]
	v_mad_u64_u32 v[16:17], s[4:5], s14, v16, 0
	v_add3_u32 v17, v17, v18, v5
	v_mov_b64_e32 v[18:19], s[14:15]
	v_mul_lo_u32 v3, s15, v4
	v_mad_u64_u32 v[18:19], s[4:5], s14, v4, v[18:19]
	v_mad_u64_u32 v[4:5], s[4:5], s14, v4, 0
	v_and_b32_e32 v1, 0x3ff, v0
	v_add3_u32 v5, v5, v52, v3
	v_add_u32_e32 v20, s3, v1
	s_load_dword s3, s[0:1], 0x44
	v_lshlrev_b64 v[4:5], 1, v[4:5]
	v_lshl_add_u64 v[54:55], s[16:17], 0, v[4:5]
	v_lshl_add_u64 v[56:57], s[18:19], 0, v[4:5]
	v_lshlrev_b64 v[4:5], 1, v[6:7]
	v_lshl_add_u64 v[58:59], s[16:17], 0, v[4:5]
	v_lshl_add_u64 v[60:61], s[18:19], 0, v[4:5]
	;; [unrolled: 3-line block ×3, first 2 shown]
	v_lshlrev_b64 v[4:5], 1, v[10:11]
	s_add_u32 s6, s0, 64
	v_lshl_add_u64 v[66:67], s[16:17], 0, v[4:5]
	v_lshl_add_u64 v[68:69], s[18:19], 0, v[4:5]
	v_lshlrev_b64 v[4:5], 1, v[12:13]
	v_add3_u32 v19, v3, v19, v52
	s_addc_u32 s7, s1, 0
	s_waitcnt lgkmcnt(0)
	s_lshl_b32 s4, s3, 3
	v_lshl_add_u64 v[70:71], s[16:17], 0, v[4:5]
	v_lshl_add_u64 v[72:73], s[18:19], 0, v[4:5]
	v_lshlrev_b64 v[4:5], 1, v[14:15]
	v_mbcnt_lo_u32_b32 v3, -1, 0
	s_mul_i32 s3, s15, s4
	s_mul_hi_u32 s9, s14, s4
	v_lshl_add_u64 v[74:75], s[16:17], 0, v[4:5]
	v_lshl_add_u64 v[76:77], s[18:19], 0, v[4:5]
	v_lshlrev_b64 v[4:5], 1, v[16:17]
	v_mbcnt_hi_u32_b32 v3, -1, v3
	v_mov_b32_e32 v21, v2
	s_add_i32 s25, s9, s3
	s_mul_i32 s24, s14, s4
	v_lshl_add_u64 v[78:79], s[16:17], 0, v[4:5]
	v_lshl_add_u64 v[80:81], s[18:19], 0, v[4:5]
	v_lshlrev_b64 v[4:5], 1, v[18:19]
	v_lshlrev_b32_e32 v3, 2, v3
	s_mov_b32 s5, 0
	v_lshlrev_b64 v[52:53], 1, v[20:21]
	s_lshl_b64 s[24:25], s[24:25], 1
	s_mov_b64 s[26:27], 7
	v_lshl_add_u64 v[82:83], s[16:17], 0, v[4:5]
	v_lshl_add_u64 v[84:85], s[18:19], 0, v[4:5]
	v_and_b32_e32 v91, 0x100, v3
	s_mov_b64 s[16:17], s[10:11]
	v_mov_b32_e32 v20, 0
	s_branch .LBB99_55
.LBB99_52:                              ;   in Loop: Header=BB99_55 Depth=1
	s_or_b64 exec, exec, s[28:29]
.LBB99_53:                              ;   in Loop: Header=BB99_55 Depth=1
	s_or_b64 exec, exec, s[18:19]
	v_lshl_add_u64 v[4:5], v[54:55], 0, v[52:53]
	global_load_ushort v7, v[4:5], off
	v_lshl_add_u64 v[4:5], v[56:57], 0, v[52:53]
	global_load_ushort v8, v[4:5], off
	;; [unrolled: 2-line block ×16, first 2 shown]
	s_waitcnt vmcnt(17)
	ds_bpermute_b32 v89, v91, v6
	ds_bpermute_b32 v93, v91, v6 offset:4
	s_waitcnt vmcnt(16)
	ds_bpermute_b32 v88, v91, v3
	ds_bpermute_b32 v95, v91, v6 offset:8
	ds_bpermute_b32 v92, v91, v3 offset:4
	;; [unrolled: 1-line block ×13, first 2 shown]
	s_waitcnt vmcnt(15)
	v_lshlrev_b32_e32 v4, 16, v7
	s_waitcnt vmcnt(14)
	v_lshlrev_b32_e32 v7, 16, v8
	;; [unrolled: 2-line block ×16, first 2 shown]
	s_waitcnt lgkmcnt(14)
	v_sub_f32_e32 v5, v7, v89
	v_sub_f32_e32 v7, v9, v93
	v_mul_f32_e32 v5, v5, v4
	s_waitcnt lgkmcnt(12)
	v_sub_f32_e32 v9, v11, v95
	v_mul_f32_e32 v7, v7, v6
	v_mul_f32_e32 v5, v5, v88
	s_waitcnt lgkmcnt(10)
	v_sub_f32_e32 v11, v13, v97
	v_mul_f32_e32 v9, v9, v8
	v_mul_f32_e32 v7, v7, v92
	v_pk_add_f32 v[4:5], v[86:87], v[4:5]
	s_waitcnt lgkmcnt(8)
	v_sub_f32_e32 v13, v15, v99
	v_mul_f32_e32 v11, v11, v10
	v_mul_f32_e32 v9, v9, v94
	v_pk_add_f32 v[4:5], v[4:5], v[6:7]
	;; [unrolled: 5-line block ×3, first 2 shown]
	s_waitcnt lgkmcnt(5)
	v_sub_f32_e32 v17, v19, v103
	v_mul_f32_e32 v15, v15, v14
	s_waitcnt lgkmcnt(3)
	v_mul_f32_e32 v13, v13, v98
	v_pk_add_f32 v[4:5], v[4:5], v[10:11]
	v_mul_f32_e32 v17, v17, v16
	s_waitcnt lgkmcnt(2)
	v_mul_f32_e32 v15, v15, v100
	v_pk_add_f32 v[4:5], v[4:5], v[12:13]
	v_sub_f32_e32 v6, v20, v104
	s_waitcnt lgkmcnt(1)
	v_mul_f32_e32 v17, v17, v102
	v_pk_add_f32 v[4:5], v[4:5], v[14:15]
	v_mul_f32_e32 v6, v6, v18
	v_pk_add_f32 v[4:5], v[4:5], v[16:17]
	s_waitcnt lgkmcnt(0)
	v_mul_f32_e32 v19, v6, v3
	v_pk_add_f32 v[20:21], v[4:5], v[18:19]
.LBB99_54:                              ;   in Loop: Header=BB99_55 Depth=1
	s_add_u32 s16, s16, s4
	s_addc_u32 s17, s17, 0
	v_mov_b64_e32 v[4:5], s[12:13]
	s_add_u32 s26, s26, s4
	v_cmp_ge_i64_e32 vcc, s[16:17], v[4:5]
	v_lshl_add_u64 v[54:55], v[54:55], 0, s[24:25]
	v_lshl_add_u64 v[56:57], v[56:57], 0, s[24:25]
	;; [unrolled: 1-line block ×31, first 2 shown]
	s_addc_u32 s27, 0, s27
	s_cbranch_vccnz .LBB99_81
.LBB99_55:                              ; =>This Inner Loop Header: Depth=1
	s_add_u32 s18, s10, s26
	s_addc_u32 s19, 0, s27
	v_mov_b64_e32 v[4:5], s[12:13]
	v_cmp_ge_i64_e32 vcc, s[18:19], v[4:5]
	v_mov_b32_e32 v86, v20
	v_mov_b32_e32 v87, v21
	v_lshl_add_u64 v[88:89], s[10:11], 0, v[22:23]
	s_mov_b64 s[18:19], -1
                                        ; implicit-def: $vgpr21
	s_cbranch_vccz .LBB99_77
; %bb.56:                               ;   in Loop: Header=BB99_55 Depth=1
	s_load_dword s3, s[6:7], 0xc
	v_mov_b32_e32 v20, 0
	v_mov_b32_e32 v21, 0
	s_waitcnt lgkmcnt(0)
	s_and_b32 s3, s3, 0xffff
	v_mad_u32_u24 v3, v90, s3, v1
	v_and_b32_e32 v4, 63, v3
	v_cmp_gt_u32_e32 vcc, 8, v4
	s_and_saveexec_b64 s[18:19], vcc
	s_cbranch_execz .LBB99_60
; %bb.57:                               ;   in Loop: Header=BB99_55 Depth=1
	v_mov_b32_e32 v5, v2
	v_lshl_add_u64 v[4:5], v[88:89], 0, v[4:5]
	v_cmp_gt_i64_e32 vcc, s[12:13], v[4:5]
	v_mov_b32_e32 v21, 0
	v_mov_b32_e32 v20, 0
	s_and_saveexec_b64 s[28:29], vcc
	s_cbranch_execz .LBB99_59
; %bb.58:                               ;   in Loop: Header=BB99_55 Depth=1
	v_lshlrev_b64 v[4:5], 2, v[4:5]
	v_lshl_add_u64 v[6:7], s[22:23], 0, v[4:5]
	v_lshl_add_u64 v[4:5], s[20:21], 0, v[4:5]
	global_load_dword v21, v[4:5], off
	global_load_dword v20, v[6:7], off
.LBB99_59:                              ;   in Loop: Header=BB99_55 Depth=1
	s_or_b64 exec, exec, s[28:29]
.LBB99_60:                              ;   in Loop: Header=BB99_55 Depth=1
	s_or_b64 exec, exec, s[18:19]
	v_mov_b32_e32 v8, v2
	v_mov_b32_e32 v9, v2
	;; [unrolled: 1-line block ×7, first 2 shown]
	v_mov_b64_e32 v[18:19], v[8:9]
	v_mov_b64_e32 v[16:17], v[6:7]
	;; [unrolled: 1-line block ×5, first 2 shown]
	v_cmp_gt_i64_e32 vcc, s[12:13], v[88:89]
	v_mov_b64_e32 v[8:9], v[6:7]
	v_mov_b64_e32 v[6:7], v[4:5]
	;; [unrolled: 1-line block ×3, first 2 shown]
	s_and_saveexec_b64 s[18:19], vcc
	s_cbranch_execz .LBB99_62
; %bb.61:                               ;   in Loop: Header=BB99_55 Depth=1
	v_lshl_add_u64 v[4:5], v[54:55], 0, v[52:53]
	global_load_ushort v3, v[4:5], off
	v_lshl_add_u64 v[4:5], v[56:57], 0, v[52:53]
	global_load_ushort v12, v[4:5], off
	v_mov_b32_e32 v5, v2
	v_mov_b32_e32 v6, v2
	;; [unrolled: 1-line block ×14, first 2 shown]
	s_waitcnt vmcnt(1)
	v_lshlrev_b32_e32 v4, 16, v3
	s_waitcnt vmcnt(0)
	v_lshlrev_b32_e32 v12, 16, v12
.LBB99_62:                              ;   in Loop: Header=BB99_55 Depth=1
	s_or_b64 exec, exec, s[18:19]
	v_lshl_add_u64 v[92:93], v[88:89], 0, 1
	v_cmp_gt_i64_e32 vcc, s[12:13], v[92:93]
	s_and_saveexec_b64 s[18:19], vcc
	s_cbranch_execz .LBB99_64
; %bb.63:                               ;   in Loop: Header=BB99_55 Depth=1
	v_lshl_add_u64 v[92:93], v[82:83], 0, v[52:53]
	global_load_ushort v3, v[92:93], off
	v_lshl_add_u64 v[92:93], v[84:85], 0, v[52:53]
	global_load_ushort v13, v[92:93], off
	s_waitcnt vmcnt(1)
	v_lshlrev_b32_e32 v5, 16, v3
	s_waitcnt vmcnt(0)
	v_lshlrev_b32_e32 v13, 16, v13
.LBB99_64:                              ;   in Loop: Header=BB99_55 Depth=1
	s_or_b64 exec, exec, s[18:19]
	v_lshl_add_u64 v[92:93], v[88:89], 0, 2
	v_cmp_gt_i64_e32 vcc, s[12:13], v[92:93]
	s_and_saveexec_b64 s[18:19], vcc
	s_cbranch_execz .LBB99_66
; %bb.65:                               ;   in Loop: Header=BB99_55 Depth=1
	v_lshl_add_u64 v[92:93], v[78:79], 0, v[52:53]
	global_load_ushort v3, v[92:93], off
	v_lshl_add_u64 v[92:93], v[80:81], 0, v[52:53]
	global_load_ushort v14, v[92:93], off
	s_waitcnt vmcnt(1)
	v_lshlrev_b32_e32 v6, 16, v3
	s_waitcnt vmcnt(0)
	v_lshlrev_b32_e32 v14, 16, v14
.LBB99_66:                              ;   in Loop: Header=BB99_55 Depth=1
	;; [unrolled: 15-line block ×7, first 2 shown]
	s_or_b64 exec, exec, s[18:19]
	s_waitcnt vmcnt(1)
	ds_bpermute_b32 v3, v91, v21
	s_waitcnt vmcnt(0)
	ds_bpermute_b32 v92, v91, v20
	ds_bpermute_b32 v95, v91, v21 offset:4
	ds_bpermute_b32 v94, v91, v20 offset:4
	;; [unrolled: 1-line block ×3, first 2 shown]
	s_waitcnt lgkmcnt(4)
	v_sub_f32_e32 v3, v12, v3
	v_mul_f32_e32 v3, v4, v3
	ds_bpermute_b32 v12, v91, v20 offset:8
	s_waitcnt lgkmcnt(4)
	v_mul_f32_e32 v93, v3, v92
	s_waitcnt lgkmcnt(3)
	v_sub_f32_e32 v3, v13, v95
	v_mul_f32_e32 v3, v5, v3
	s_waitcnt lgkmcnt(2)
	v_mul_f32_e32 v13, v3, v94
	s_waitcnt lgkmcnt(1)
	v_sub_f32_e32 v3, v14, v96
	ds_bpermute_b32 v14, v91, v21 offset:12
	v_mul_f32_e32 v3, v6, v3
	s_waitcnt lgkmcnt(1)
	v_mul_f32_e32 v95, v3, v12
	ds_bpermute_b32 v3, v91, v20 offset:12
	ds_bpermute_b32 v12, v91, v21 offset:16
	;; [unrolled: 1-line block ×3, first 2 shown]
	s_waitcnt lgkmcnt(3)
	v_sub_f32_e32 v14, v15, v14
	v_mul_f32_e32 v14, v7, v14
	s_waitcnt lgkmcnt(2)
	v_mul_f32_e32 v15, v14, v3
	s_waitcnt lgkmcnt(1)
	v_sub_f32_e32 v3, v16, v12
	ds_bpermute_b32 v12, v91, v21 offset:20
	v_mul_f32_e32 v3, v8, v3
	s_waitcnt lgkmcnt(1)
	v_mul_f32_e32 v97, v3, v92
	ds_bpermute_b32 v3, v91, v20 offset:20
	ds_bpermute_b32 v14, v91, v21 offset:24
	;; [unrolled: 1-line block ×3, first 2 shown]
	s_waitcnt lgkmcnt(3)
	v_sub_f32_e32 v12, v17, v12
	v_mul_f32_e32 v12, v9, v12
	s_waitcnt lgkmcnt(2)
	v_mul_f32_e32 v17, v12, v3
	s_waitcnt lgkmcnt(1)
	v_sub_f32_e32 v3, v18, v14
	v_mul_f32_e32 v3, v10, v3
	s_waitcnt lgkmcnt(0)
	v_mul_f32_e32 v99, v3, v16
	v_mov_b32_e32 v92, v4
	ds_bpermute_b32 v3, v91, v21 offset:28
	v_pk_add_f32 v[92:93], v[86:87], v[92:93]
	v_mov_b32_e32 v12, v5
	v_pk_add_f32 v[4:5], v[12:13], v[92:93]
	v_mov_b32_e32 v94, v6
	ds_bpermute_b32 v6, v91, v20 offset:28
	v_pk_add_f32 v[4:5], v[94:95], v[4:5]
	v_mov_b32_e32 v14, v7
	v_pk_add_f32 v[4:5], v[14:15], v[4:5]
	v_mov_b32_e32 v96, v8
	;; [unrolled: 2-line block ×3, first 2 shown]
	s_waitcnt lgkmcnt(1)
	v_sub_f32_e32 v3, v19, v3
	v_pk_add_f32 v[4:5], v[16:17], v[4:5]
	v_mov_b32_e32 v98, v10
	v_mul_f32_e32 v3, v11, v3
	v_pk_add_f32 v[4:5], v[98:99], v[4:5]
	s_waitcnt lgkmcnt(0)
	v_mul_f32_e32 v7, v3, v6
	v_mov_b32_e32 v6, v11
	v_pk_add_f32 v[20:21], v[6:7], v[4:5]
	s_mov_b64 s[18:19], 0
.LBB99_77:                              ;   in Loop: Header=BB99_55 Depth=1
	s_and_b64 vcc, exec, s[18:19]
	s_cbranch_vccz .LBB99_54
; %bb.78:                               ;   in Loop: Header=BB99_55 Depth=1
	s_load_dword s3, s[6:7], 0x0
	v_mov_b32_e32 v3, 0
	v_mov_b32_e32 v6, 0
	s_waitcnt lgkmcnt(0)
	s_cmp_lt_u32 s2, s3
	s_cselect_b32 s3, 12, 18
	s_add_u32 s18, s6, s3
	s_addc_u32 s19, s7, 0
	global_load_ushort v4, v2, s[18:19]
	s_waitcnt vmcnt(0)
	v_mad_u32_u24 v4, v90, v4, v1
	v_and_b32_e32 v4, 63, v4
	v_cmp_gt_u32_e32 vcc, 8, v4
	s_and_saveexec_b64 s[18:19], vcc
	s_cbranch_execz .LBB99_53
; %bb.79:                               ;   in Loop: Header=BB99_55 Depth=1
	v_mov_b32_e32 v5, v2
	v_lshl_add_u64 v[4:5], v[88:89], 0, v[4:5]
	v_cmp_gt_i64_e32 vcc, s[12:13], v[4:5]
	v_mov_b32_e32 v6, 0
	v_mov_b32_e32 v3, 0
	s_and_saveexec_b64 s[28:29], vcc
	s_cbranch_execz .LBB99_52
; %bb.80:                               ;   in Loop: Header=BB99_55 Depth=1
	v_lshlrev_b64 v[4:5], 2, v[4:5]
	v_lshl_add_u64 v[8:9], s[22:23], 0, v[4:5]
	v_lshl_add_u64 v[4:5], s[20:21], 0, v[4:5]
	global_load_dword v6, v[4:5], off
	global_load_dword v3, v[8:9], off
	s_branch .LBB99_52
.LBB99_81:
	s_mov_b32 s3, 0
	s_lshl_b64 s[2:3], s[2:3], 6
	v_and_b32_e32 v1, 0x3ff, v0
	v_or_b32_e32 v2, s2, v1
	v_mov_b32_e32 v3, s3
	v_cmp_gt_i64_e32 vcc, s[14:15], v[2:3]
	s_and_saveexec_b64 s[2:3], vcc
	s_cbranch_execz .LBB99_86
; %bb.82:
	s_load_dword s2, s[0:1], 0x4c
	s_load_dwordx4 s[4:7], s[0:1], 0x30
	v_bfe_u32 v0, v0, 10, 10
	v_mov_b32_e32 v1, 0
	v_mov_b32_e32 v4, s8
	s_waitcnt lgkmcnt(0)
	s_lshr_b32 s0, s2, 16
	v_mad_u64_u32 v[0:1], s[0:1], s0, v4, v[0:1]
	s_cmp_eq_u64 s[4:5], 0
	v_mul_lo_u32 v1, v1, s14
	v_mul_lo_u32 v4, v0, s15
	s_cbranch_scc1 .LBB99_84
; %bb.83:
	v_bfe_u32 v5, v21, 16, 1
	s_movk_i32 s0, 0x7fff
	v_add3_u32 v5, v21, v5, s0
	v_cmp_o_f32_e32 vcc, v21, v21
	v_mov_b32_e32 v6, 0x7fc0
	s_nop 0
	v_cndmask_b32_sdwa v5, v6, v5, vcc dst_sel:DWORD dst_unused:UNUSED_PAD src0_sel:DWORD src1_sel:WORD_1
	v_mad_u64_u32 v[6:7], s[0:1], v0, s14, 0
	v_add3_u32 v7, v7, v4, v1
	v_lshl_add_u64 v[6:7], v[6:7], 1, s[4:5]
	v_lshl_add_u64 v[6:7], v[2:3], 1, v[6:7]
	global_store_short v[6:7], v5, off
.LBB99_84:
	s_cmp_eq_u64 s[6:7], 0
	s_cbranch_scc1 .LBB99_86
; %bb.85:
	v_bfe_u32 v5, v20, 16, 1
	s_movk_i32 s0, 0x7fff
	v_add3_u32 v5, v20, v5, s0
	v_cmp_o_f32_e32 vcc, v20, v20
	v_mov_b32_e32 v6, 0x7fc0
	s_nop 0
	v_cndmask_b32_sdwa v5, v6, v5, vcc dst_sel:DWORD dst_unused:UNUSED_PAD src0_sel:DWORD src1_sel:WORD_1
	v_mad_u64_u32 v[6:7], s[0:1], v0, s14, 0
	v_add3_u32 v7, v7, v4, v1
	v_lshl_add_u64 v[0:1], v[6:7], 1, s[6:7]
	v_lshl_add_u64 v[0:1], v[2:3], 1, v[0:1]
	global_store_short v[0:1], v5, off
.LBB99_86:
	s_endpgm
	.section	.rodata,"a",@progbits
	.p2align	6, 0x0
	.amdhsa_kernel _ZN2at6native12_GLOBAL__N_135GammaBetaBackwardCUDAKernelTemplateIN3c108BFloat16EfLj64ELj1ELj8ELb1ELb0ELb0EEEvllPKT_S7_PKT0_SA_PS5_SB_
		.amdhsa_group_segment_fixed_size 0
		.amdhsa_private_segment_fixed_size 0
		.amdhsa_kernarg_size 320
		.amdhsa_user_sgpr_count 2
		.amdhsa_user_sgpr_dispatch_ptr 0
		.amdhsa_user_sgpr_queue_ptr 0
		.amdhsa_user_sgpr_kernarg_segment_ptr 1
		.amdhsa_user_sgpr_dispatch_id 0
		.amdhsa_user_sgpr_kernarg_preload_length 0
		.amdhsa_user_sgpr_kernarg_preload_offset 0
		.amdhsa_user_sgpr_private_segment_size 0
		.amdhsa_uses_dynamic_stack 0
		.amdhsa_enable_private_segment 0
		.amdhsa_system_sgpr_workgroup_id_x 1
		.amdhsa_system_sgpr_workgroup_id_y 1
		.amdhsa_system_sgpr_workgroup_id_z 0
		.amdhsa_system_sgpr_workgroup_info 0
		.amdhsa_system_vgpr_workitem_id 1
		.amdhsa_next_free_vgpr 105
		.amdhsa_next_free_sgpr 40
		.amdhsa_accum_offset 108
		.amdhsa_reserve_vcc 1
		.amdhsa_float_round_mode_32 0
		.amdhsa_float_round_mode_16_64 0
		.amdhsa_float_denorm_mode_32 3
		.amdhsa_float_denorm_mode_16_64 3
		.amdhsa_dx10_clamp 1
		.amdhsa_ieee_mode 1
		.amdhsa_fp16_overflow 0
		.amdhsa_tg_split 0
		.amdhsa_exception_fp_ieee_invalid_op 0
		.amdhsa_exception_fp_denorm_src 0
		.amdhsa_exception_fp_ieee_div_zero 0
		.amdhsa_exception_fp_ieee_overflow 0
		.amdhsa_exception_fp_ieee_underflow 0
		.amdhsa_exception_fp_ieee_inexact 0
		.amdhsa_exception_int_div_zero 0
	.end_amdhsa_kernel
	.section	.text._ZN2at6native12_GLOBAL__N_135GammaBetaBackwardCUDAKernelTemplateIN3c108BFloat16EfLj64ELj1ELj8ELb1ELb0ELb0EEEvllPKT_S7_PKT0_SA_PS5_SB_,"axG",@progbits,_ZN2at6native12_GLOBAL__N_135GammaBetaBackwardCUDAKernelTemplateIN3c108BFloat16EfLj64ELj1ELj8ELb1ELb0ELb0EEEvllPKT_S7_PKT0_SA_PS5_SB_,comdat
.Lfunc_end99:
	.size	_ZN2at6native12_GLOBAL__N_135GammaBetaBackwardCUDAKernelTemplateIN3c108BFloat16EfLj64ELj1ELj8ELb1ELb0ELb0EEEvllPKT_S7_PKT0_SA_PS5_SB_, .Lfunc_end99-_ZN2at6native12_GLOBAL__N_135GammaBetaBackwardCUDAKernelTemplateIN3c108BFloat16EfLj64ELj1ELj8ELb1ELb0ELb0EEEvllPKT_S7_PKT0_SA_PS5_SB_
                                        ; -- End function
	.set _ZN2at6native12_GLOBAL__N_135GammaBetaBackwardCUDAKernelTemplateIN3c108BFloat16EfLj64ELj1ELj8ELb1ELb0ELb0EEEvllPKT_S7_PKT0_SA_PS5_SB_.num_vgpr, 105
	.set _ZN2at6native12_GLOBAL__N_135GammaBetaBackwardCUDAKernelTemplateIN3c108BFloat16EfLj64ELj1ELj8ELb1ELb0ELb0EEEvllPKT_S7_PKT0_SA_PS5_SB_.num_agpr, 0
	.set _ZN2at6native12_GLOBAL__N_135GammaBetaBackwardCUDAKernelTemplateIN3c108BFloat16EfLj64ELj1ELj8ELb1ELb0ELb0EEEvllPKT_S7_PKT0_SA_PS5_SB_.numbered_sgpr, 40
	.set _ZN2at6native12_GLOBAL__N_135GammaBetaBackwardCUDAKernelTemplateIN3c108BFloat16EfLj64ELj1ELj8ELb1ELb0ELb0EEEvllPKT_S7_PKT0_SA_PS5_SB_.num_named_barrier, 0
	.set _ZN2at6native12_GLOBAL__N_135GammaBetaBackwardCUDAKernelTemplateIN3c108BFloat16EfLj64ELj1ELj8ELb1ELb0ELb0EEEvllPKT_S7_PKT0_SA_PS5_SB_.private_seg_size, 0
	.set _ZN2at6native12_GLOBAL__N_135GammaBetaBackwardCUDAKernelTemplateIN3c108BFloat16EfLj64ELj1ELj8ELb1ELb0ELb0EEEvllPKT_S7_PKT0_SA_PS5_SB_.uses_vcc, 1
	.set _ZN2at6native12_GLOBAL__N_135GammaBetaBackwardCUDAKernelTemplateIN3c108BFloat16EfLj64ELj1ELj8ELb1ELb0ELb0EEEvllPKT_S7_PKT0_SA_PS5_SB_.uses_flat_scratch, 0
	.set _ZN2at6native12_GLOBAL__N_135GammaBetaBackwardCUDAKernelTemplateIN3c108BFloat16EfLj64ELj1ELj8ELb1ELb0ELb0EEEvllPKT_S7_PKT0_SA_PS5_SB_.has_dyn_sized_stack, 0
	.set _ZN2at6native12_GLOBAL__N_135GammaBetaBackwardCUDAKernelTemplateIN3c108BFloat16EfLj64ELj1ELj8ELb1ELb0ELb0EEEvllPKT_S7_PKT0_SA_PS5_SB_.has_recursion, 0
	.set _ZN2at6native12_GLOBAL__N_135GammaBetaBackwardCUDAKernelTemplateIN3c108BFloat16EfLj64ELj1ELj8ELb1ELb0ELb0EEEvllPKT_S7_PKT0_SA_PS5_SB_.has_indirect_call, 0
	.section	.AMDGPU.csdata,"",@progbits
; Kernel info:
; codeLenInByte = 7156
; TotalNumSgprs: 46
; NumVgprs: 105
; NumAgprs: 0
; TotalNumVgprs: 105
; ScratchSize: 0
; MemoryBound: 0
; FloatMode: 240
; IeeeMode: 1
; LDSByteSize: 0 bytes/workgroup (compile time only)
; SGPRBlocks: 5
; VGPRBlocks: 13
; NumSGPRsForWavesPerEU: 46
; NumVGPRsForWavesPerEU: 105
; AccumOffset: 108
; Occupancy: 4
; WaveLimiterHint : 0
; COMPUTE_PGM_RSRC2:SCRATCH_EN: 0
; COMPUTE_PGM_RSRC2:USER_SGPR: 2
; COMPUTE_PGM_RSRC2:TRAP_HANDLER: 0
; COMPUTE_PGM_RSRC2:TGID_X_EN: 1
; COMPUTE_PGM_RSRC2:TGID_Y_EN: 1
; COMPUTE_PGM_RSRC2:TGID_Z_EN: 0
; COMPUTE_PGM_RSRC2:TIDIG_COMP_CNT: 1
; COMPUTE_PGM_RSRC3_GFX90A:ACCUM_OFFSET: 26
; COMPUTE_PGM_RSRC3_GFX90A:TG_SPLIT: 0
	.section	.text._ZN2at6native12_GLOBAL__N_135GammaBetaBackwardCUDAKernelTemplateIN3c108BFloat16EfLj64ELj8ELj64ELb0ELb1ELb0EEEvllPKT_S7_PKT0_SA_PS5_SB_,"axG",@progbits,_ZN2at6native12_GLOBAL__N_135GammaBetaBackwardCUDAKernelTemplateIN3c108BFloat16EfLj64ELj8ELj64ELb0ELb1ELb0EEEvllPKT_S7_PKT0_SA_PS5_SB_,comdat
	.globl	_ZN2at6native12_GLOBAL__N_135GammaBetaBackwardCUDAKernelTemplateIN3c108BFloat16EfLj64ELj8ELj64ELb0ELb1ELb0EEEvllPKT_S7_PKT0_SA_PS5_SB_ ; -- Begin function _ZN2at6native12_GLOBAL__N_135GammaBetaBackwardCUDAKernelTemplateIN3c108BFloat16EfLj64ELj8ELj64ELb0ELb1ELb0EEEvllPKT_S7_PKT0_SA_PS5_SB_
	.p2align	8
	.type	_ZN2at6native12_GLOBAL__N_135GammaBetaBackwardCUDAKernelTemplateIN3c108BFloat16EfLj64ELj8ELj64ELb0ELb1ELb0EEEvllPKT_S7_PKT0_SA_PS5_SB_,@function
_ZN2at6native12_GLOBAL__N_135GammaBetaBackwardCUDAKernelTemplateIN3c108BFloat16EfLj64ELj8ELj64ELb0ELb1ELb0EEEvllPKT_S7_PKT0_SA_PS5_SB_: ; @_ZN2at6native12_GLOBAL__N_135GammaBetaBackwardCUDAKernelTemplateIN3c108BFloat16EfLj64ELj8ELj64ELb0ELb1ELb0EEEvllPKT_S7_PKT0_SA_PS5_SB_
; %bb.0:
	s_load_dwordx4 s[16:19], s[0:1], 0x0
	s_lshl_b32 s20, s3, 6
	s_mov_b32 s21, 0
	v_mov_b64_e32 v[2:3], s[20:21]
	v_bfe_u32 v12, v0, 10, 10
	s_waitcnt lgkmcnt(0)
	v_cmp_gt_i64_e32 vcc, s[16:17], v[2:3]
	s_cbranch_vccnz .LBB100_2
; %bb.1:
	s_mov_b64 s[4:5], 0
	v_bfe_u32 v2, v0, 10, 10
	s_branch .LBB100_3
.LBB100_2:
	s_mov_b64 s[4:5], -1
                                        ; implicit-def: $vgpr2
.LBB100_3:
	s_load_dwordx4 s[12:15], s[0:1], 0x30
	v_mov_b32_e32 v1, 0
	v_and_b32_e32 v10, 0x3ff, v0
	s_andn2_b64 vcc, exec, s[4:5]
	v_mbcnt_lo_u32_b32 v11, -1, 0
	v_mov_b32_e32 v0, v1
	s_cbranch_vccnz .LBB100_11
; %bb.4:
	s_load_dword s3, s[0:1], 0x4c
	s_load_dword s22, s[0:1], 0x44
	s_load_dwordx8 s[4:11], s[0:1], 0x10
	v_lshlrev_b32_e32 v0, 3, v12
	v_mbcnt_hi_u32_b32 v4, -1, v11
	s_waitcnt lgkmcnt(0)
	s_and_b32 s0, s3, 0xffff
	v_mad_u32_u24 v1, v12, s0, v10
	v_and_b32_e32 v2, 63, v1
	v_mov_b32_e32 v1, 0
	v_mov_b32_e32 v3, v1
	v_lshl_add_u64 v[8:9], v[0:1], 0, s[20:21]
	v_cmp_gt_u32_e64 s[0:1], 8, v2
	s_lshl_b32 s22, s22, 6
	v_lshl_add_u64 v[2:3], v[8:9], 0, v[2:3]
	v_mul_lo_u32 v0, s19, v8
	v_mul_lo_u32 v21, s18, v9
	v_mad_u64_u32 v[8:9], s[26:27], s18, v8, 0
	v_lshl_add_u32 v6, s2, 6, v10
	v_mov_b32_e32 v7, v1
	v_lshlrev_b32_e32 v4, 2, v4
	s_mul_i32 s3, s19, s22
	s_mul_hi_u32 s26, s18, s22
	s_mov_b32 s23, 0
	v_and_b32_e32 v13, 0x100, v4
	v_add3_u32 v9, v9, v21, v0
	v_lshlrev_b64 v[6:7], 1, v[6:7]
	s_add_i32 s27, s26, s3
	s_mul_i32 s26, s18, s22
	v_or_b32_e32 v14, 4, v13
	v_or_b32_e32 v15, 8, v13
	;; [unrolled: 1-line block ×7, first 2 shown]
	v_lshlrev_b64 v[4:5], 2, v[2:3]
	s_lshl_b64 s[24:25], s[22:23], 2
	v_lshl_add_u64 v[6:7], v[8:9], 1, v[6:7]
	s_lshl_b64 s[26:27], s[26:27], 1
	s_lshl_b64 s[18:19], s[18:19], 1
	v_mov_b64_e32 v[8:9], s[16:17]
	v_mov_b32_e32 v0, v1
	s_branch .LBB100_7
.LBB100_5:                              ;   in Loop: Header=BB100_7 Depth=1
	s_or_b64 exec, exec, s[30:31]
.LBB100_6:                              ;   in Loop: Header=BB100_7 Depth=1
	s_or_b64 exec, exec, s[28:29]
	v_lshl_add_u64 v[24:25], s[4:5], 0, v[6:7]
	v_lshl_add_u64 v[26:27], s[6:7], 0, v[6:7]
	global_load_ushort v23, v[24:25], off
	global_load_ushort v28, v[26:27], off
	v_lshl_add_u64 v[24:25], v[24:25], 0, s[18:19]
	v_lshl_add_u64 v[26:27], v[26:27], 0, s[18:19]
	global_load_ushort v29, v[24:25], off
	global_load_ushort v30, v[26:27], off
	;; [unrolled: 4-line block ×8, first 2 shown]
	s_waitcnt vmcnt(17)
	ds_bpermute_b32 v26, v13, v21
	ds_bpermute_b32 v43, v14, v21
	s_waitcnt vmcnt(16)
	ds_bpermute_b32 v25, v13, v22
	ds_bpermute_b32 v45, v15, v21
	;; [unrolled: 1-line block ×14, first 2 shown]
	s_add_u32 s20, s20, s22
	s_addc_u32 s21, s21, 0
	v_cmp_lt_i64_e32 vcc, s[20:21], v[8:9]
	v_lshl_add_u64 v[4:5], v[4:5], 0, s[24:25]
	v_lshl_add_u64 v[2:3], v[2:3], 0, s[22:23]
	;; [unrolled: 1-line block ×3, first 2 shown]
	s_and_b64 vcc, exec, vcc
	s_waitcnt vmcnt(15)
	v_lshlrev_b32_e32 v22, 16, v23
	s_waitcnt vmcnt(14)
	v_lshlrev_b32_e32 v23, 16, v28
	s_waitcnt lgkmcnt(14)
	v_sub_f32_e32 v23, v23, v26
	v_mul_f32_e32 v23, v23, v22
	s_waitcnt vmcnt(13)
	v_lshlrev_b32_e32 v24, 16, v29
	s_waitcnt vmcnt(12)
	v_lshlrev_b32_e32 v28, 16, v30
	v_sub_f32_e32 v30, v28, v43
	s_waitcnt lgkmcnt(13)
	v_mul_f32_e32 v23, v23, v25
	s_waitcnt vmcnt(11)
	v_lshlrev_b32_e32 v26, 16, v31
	s_waitcnt vmcnt(10)
	v_lshlrev_b32_e32 v29, 16, v32
	v_mul_f32_e32 v25, v30, v24
	s_waitcnt lgkmcnt(12)
	v_sub_f32_e32 v29, v29, v45
	s_waitcnt vmcnt(9)
	v_lshlrev_b32_e32 v28, 16, v33
	s_waitcnt vmcnt(8)
	v_lshlrev_b32_e32 v31, 16, v34
	s_waitcnt lgkmcnt(11)
	v_mul_f32_e32 v25, v25, v27
	v_mul_f32_e32 v27, v29, v26
	s_waitcnt lgkmcnt(10)
	v_sub_f32_e32 v29, v31, v47
	s_waitcnt vmcnt(6)
	v_lshlrev_b32_e32 v32, 16, v36
	v_pk_add_f32 v[0:1], v[0:1], v[22:23]
	v_lshlrev_b32_e32 v30, 16, v35
	s_waitcnt lgkmcnt(9)
	v_mul_f32_e32 v27, v27, v44
	s_waitcnt vmcnt(4)
	v_lshlrev_b32_e32 v23, 16, v38
	v_mul_f32_e32 v29, v29, v28
	s_waitcnt lgkmcnt(6)
	v_sub_f32_e32 v31, v32, v49
	v_pk_add_f32 v[0:1], v[0:1], v[24:25]
	v_lshlrev_b32_e32 v22, 16, v37
	s_waitcnt vmcnt(2)
	v_lshlrev_b32_e32 v25, 16, v40
	v_mul_f32_e32 v29, v29, v46
	v_mul_f32_e32 v31, v31, v30
	s_waitcnt lgkmcnt(2)
	v_sub_f32_e32 v23, v23, v51
	v_pk_add_f32 v[0:1], v[0:1], v[26:27]
	v_lshlrev_b32_e32 v24, 16, v39
	s_waitcnt vmcnt(0)
	v_lshlrev_b32_e32 v27, 16, v42
	v_mul_f32_e32 v31, v31, v48
	v_mul_f32_e32 v23, v23, v22
	s_waitcnt lgkmcnt(1)
	v_sub_f32_e32 v25, v25, v53
	v_pk_add_f32 v[0:1], v[0:1], v[28:29]
	v_lshlrev_b32_e32 v26, 16, v41
	v_mul_f32_e32 v23, v23, v50
	v_mul_f32_e32 v25, v25, v24
	v_pk_add_f32 v[0:1], v[0:1], v[30:31]
	s_waitcnt lgkmcnt(0)
	v_sub_f32_e32 v21, v27, v21
	v_mul_f32_e32 v25, v25, v52
	v_pk_add_f32 v[0:1], v[0:1], v[22:23]
	v_mul_f32_e32 v21, v21, v26
	v_pk_add_f32 v[0:1], v[0:1], v[24:25]
	;; [unrolled: 2-line block ×3, first 2 shown]
	s_cbranch_vccz .LBB100_10
.LBB100_7:                              ; =>This Inner Loop Header: Depth=1
	v_mov_b32_e32 v22, 0
	v_mov_b32_e32 v21, 0
	s_and_saveexec_b64 s[28:29], s[0:1]
	s_cbranch_execz .LBB100_6
; %bb.8:                                ;   in Loop: Header=BB100_7 Depth=1
	v_cmp_gt_i64_e32 vcc, s[16:17], v[2:3]
	v_mov_b32_e32 v21, 0
	v_mov_b32_e32 v22, 0
	s_and_saveexec_b64 s[30:31], vcc
	s_cbranch_execz .LBB100_5
; %bb.9:                                ;   in Loop: Header=BB100_7 Depth=1
	v_lshl_add_u64 v[26:27], s[8:9], 0, v[4:5]
	v_lshl_add_u64 v[24:25], s[10:11], 0, v[4:5]
	global_load_dword v21, v[26:27], off
	global_load_dword v22, v[24:25], off
	s_branch .LBB100_5
.LBB100_10:
	v_mov_b32_e32 v2, v12
.LBB100_11:
	s_movk_i32 s0, 0x41
	v_mad_u32_u24 v3, v2, s0, v10
	v_lshl_add_u32 v3, v3, 2, 0
	ds_write_b32 v3, v1
	ds_write_b32 v3, v0 offset:2080
	v_lshrrev_b32_e32 v0, 6, v10
	v_add_u32_e32 v0, v0, v2
	v_cmp_gt_u32_e32 vcc, 64, v0
	s_waitcnt lgkmcnt(0)
	s_barrier
	s_and_saveexec_b64 s[0:1], vcc
	s_cbranch_execz .LBB100_75
; %bb.12:
	v_and_b32_e32 v1, 63, v10
	v_cmp_lt_u32_e64 s[4:5], 7, v1
	v_cmp_gt_u32_e64 s[6:7], 8, v1
	v_mul_u32_u24_e32 v6, 0x41, v1
                                        ; implicit-def: $vgpr2
	s_and_saveexec_b64 s[0:1], s[6:7]
	s_cbranch_execz .LBB100_14
; %bb.13:
	v_add_u32_e32 v1, v0, v6
	v_lshl_add_u32 v1, v1, 2, 0
	ds_read_b32 v3, v1
	ds_read_b32 v2, v1 offset:2080
.LBB100_14:
	s_or_b64 exec, exec, s[0:1]
	v_mbcnt_hi_u32_b32 v1, -1, v11
	v_and_b32_e32 v4, 64, v1
	v_add_u32_e32 v9, 64, v4
	v_xor_b32_e32 v4, 4, v1
	v_cmp_lt_i32_e32 vcc, v4, v9
	v_xor_b32_e32 v8, 2, v1
	v_cmp_eq_u32_e64 s[0:1], 0, v10
	v_cndmask_b32_e32 v4, v1, v4, vcc
	v_lshlrev_b32_e32 v7, 2, v4
	s_waitcnt lgkmcnt(1)
	ds_bpermute_b32 v5, v7, v3
	s_waitcnt lgkmcnt(1)
	ds_bpermute_b32 v4, v7, v2
	v_cmp_lt_i32_e32 vcc, v8, v9
	v_xor_b32_e32 v10, 1, v1
	s_mov_b32 s3, 0
	v_cndmask_b32_e32 v8, v1, v8, vcc
	v_lshlrev_b32_e32 v8, 2, v8
	s_waitcnt lgkmcnt(0)
	v_pk_add_f32 v[2:3], v[2:3], v[4:5]
	ds_bpermute_b32 v5, v8, v3
	ds_bpermute_b32 v4, v8, v2
	v_cmp_lt_i32_e32 vcc, v10, v9
	s_lshl_b64 s[2:3], s[2:3], 6
	s_cmp_lg_u64 s[12:13], 0
	v_cndmask_b32_e32 v1, v1, v10, vcc
	v_lshlrev_b32_e32 v9, 2, v1
	s_waitcnt lgkmcnt(0)
	v_pk_add_f32 v[2:3], v[2:3], v[4:5]
	ds_bpermute_b32 v5, v9, v3
	ds_bpermute_b32 v4, v9, v2
	s_cselect_b64 s[10:11], -1, 0
	s_cmp_lg_u64 s[14:15], 0
	s_cselect_b64 s[8:9], -1, 0
	v_mov_b32_e32 v1, 0
	s_waitcnt lgkmcnt(0)
	v_pk_add_f32 v[2:3], v[2:3], v[4:5]
	s_and_saveexec_b64 s[16:17], s[0:1]
	s_cbranch_execz .LBB100_19
; %bb.15:
	v_mov_b32_e32 v5, s3
	s_andn2_b64 vcc, exec, s[10:11]
	v_or_b32_e32 v4, s2, v0
	s_cbranch_vccnz .LBB100_17
; %bb.16:
	v_bfe_u32 v10, v3, 16, 1
	s_movk_i32 s18, 0x7fff
	v_add3_u32 v10, v3, v10, s18
	v_cmp_o_f32_e32 vcc, v3, v3
	v_mov_b32_e32 v11, 0x7fc0
	s_nop 0
	v_cndmask_b32_sdwa v12, v11, v10, vcc dst_sel:DWORD dst_unused:UNUSED_PAD src0_sel:DWORD src1_sel:WORD_1
	v_lshl_add_u64 v[10:11], v[4:5], 1, s[12:13]
	global_store_short v[10:11], v12, off
.LBB100_17:
	s_andn2_b64 vcc, exec, s[8:9]
	s_cbranch_vccnz .LBB100_19
; %bb.18:
	v_bfe_u32 v10, v2, 16, 1
	s_movk_i32 s18, 0x7fff
	v_add3_u32 v10, v2, v10, s18
	v_cmp_o_f32_e32 vcc, v2, v2
	v_mov_b32_e32 v11, 0x7fc0
	v_lshl_add_u64 v[4:5], v[4:5], 1, s[14:15]
	v_cndmask_b32_sdwa v10, v11, v10, vcc dst_sel:DWORD dst_unused:UNUSED_PAD src0_sel:DWORD src1_sel:WORD_1
	global_store_short v[4:5], v10, off
.LBB100_19:
	s_or_b64 exec, exec, s[16:17]
	v_cmp_gt_u32_e32 vcc, 56, v0
	s_and_b64 exec, exec, vcc
	s_cbranch_execz .LBB100_75
; %bb.20:
	s_and_saveexec_b64 s[16:17], s[4:5]
	s_xor_b64 s[16:17], exec, s[16:17]
	s_andn2_saveexec_b64 s[16:17], s[16:17]
	s_cbranch_execz .LBB100_22
; %bb.21:
	v_add_u32_e32 v2, v0, v6
	v_lshl_add_u32 v2, v2, 2, 0
	ds_read_b32 v3, v2 offset:32
	ds_read_b32 v2, v2 offset:2112
.LBB100_22:
	s_or_b64 exec, exec, s[16:17]
	s_waitcnt lgkmcnt(1)
	ds_bpermute_b32 v5, v7, v3
	s_waitcnt lgkmcnt(1)
	ds_bpermute_b32 v4, v7, v2
	s_waitcnt lgkmcnt(0)
	v_pk_add_f32 v[2:3], v[2:3], v[4:5]
	ds_bpermute_b32 v5, v8, v3
	ds_bpermute_b32 v4, v8, v2
	s_waitcnt lgkmcnt(0)
	v_pk_add_f32 v[2:3], v[2:3], v[4:5]
	ds_bpermute_b32 v5, v9, v3
	ds_bpermute_b32 v4, v9, v2
	s_waitcnt lgkmcnt(0)
	v_pk_add_f32 v[2:3], v[2:3], v[4:5]
	s_and_saveexec_b64 s[16:17], s[0:1]
	s_cbranch_execz .LBB100_27
; %bb.23:
	s_andn2_b64 vcc, exec, s[10:11]
	s_cbranch_vccnz .LBB100_25
; %bb.24:
	v_bfe_u32 v4, v3, 16, 1
	s_movk_i32 s18, 0x7fff
	v_add3_u32 v4, v3, v4, s18
	v_cmp_o_f32_e32 vcc, v3, v3
	v_mov_b32_e32 v5, 0x7fc0
	s_nop 0
	v_cndmask_b32_sdwa v10, v5, v4, vcc dst_sel:DWORD dst_unused:UNUSED_PAD src0_sel:DWORD src1_sel:WORD_1
	v_lshl_add_u64 v[4:5], s[2:3], 0, v[0:1]
	v_lshl_add_u64 v[4:5], v[4:5], 1, s[12:13]
	global_store_short v[4:5], v10, off offset:16
.LBB100_25:
	s_andn2_b64 vcc, exec, s[8:9]
	s_cbranch_vccnz .LBB100_27
; %bb.26:
	v_bfe_u32 v4, v2, 16, 1
	s_movk_i32 s18, 0x7fff
	v_add3_u32 v4, v2, v4, s18
	v_cmp_o_f32_e32 vcc, v2, v2
	v_mov_b32_e32 v5, 0x7fc0
	s_nop 0
	v_cndmask_b32_sdwa v10, v5, v4, vcc dst_sel:DWORD dst_unused:UNUSED_PAD src0_sel:DWORD src1_sel:WORD_1
	v_lshl_add_u64 v[4:5], s[2:3], 0, v[0:1]
	v_lshl_add_u64 v[4:5], v[4:5], 1, s[14:15]
	global_store_short v[4:5], v10, off offset:16
.LBB100_27:
	s_or_b64 exec, exec, s[16:17]
	v_cmp_gt_u32_e32 vcc, 48, v0
	s_and_b64 exec, exec, vcc
	s_cbranch_execz .LBB100_75
; %bb.28:
	s_and_saveexec_b64 s[16:17], s[4:5]
	s_xor_b64 s[16:17], exec, s[16:17]
	s_andn2_saveexec_b64 s[16:17], s[16:17]
	s_cbranch_execz .LBB100_30
; %bb.29:
	v_add_u32_e32 v2, v0, v6
	v_lshl_add_u32 v2, v2, 2, 0
	ds_read_b32 v3, v2 offset:64
	ds_read_b32 v2, v2 offset:2144
.LBB100_30:
	s_or_b64 exec, exec, s[16:17]
	s_waitcnt lgkmcnt(1)
	ds_bpermute_b32 v5, v7, v3
	s_waitcnt lgkmcnt(1)
	ds_bpermute_b32 v4, v7, v2
	s_waitcnt lgkmcnt(0)
	v_pk_add_f32 v[2:3], v[2:3], v[4:5]
	ds_bpermute_b32 v5, v8, v3
	ds_bpermute_b32 v4, v8, v2
	s_waitcnt lgkmcnt(0)
	v_pk_add_f32 v[2:3], v[2:3], v[4:5]
	ds_bpermute_b32 v5, v9, v3
	ds_bpermute_b32 v4, v9, v2
	s_waitcnt lgkmcnt(0)
	v_pk_add_f32 v[2:3], v[2:3], v[4:5]
	s_and_saveexec_b64 s[16:17], s[0:1]
	s_cbranch_execz .LBB100_35
; %bb.31:
	s_andn2_b64 vcc, exec, s[10:11]
	s_cbranch_vccnz .LBB100_33
; %bb.32:
	v_bfe_u32 v4, v3, 16, 1
	s_movk_i32 s18, 0x7fff
	v_add3_u32 v4, v3, v4, s18
	v_cmp_o_f32_e32 vcc, v3, v3
	v_mov_b32_e32 v5, 0x7fc0
	s_nop 0
	v_cndmask_b32_sdwa v10, v5, v4, vcc dst_sel:DWORD dst_unused:UNUSED_PAD src0_sel:DWORD src1_sel:WORD_1
	v_lshl_add_u64 v[4:5], s[2:3], 0, v[0:1]
	v_lshl_add_u64 v[4:5], v[4:5], 1, s[12:13]
	global_store_short v[4:5], v10, off offset:32
.LBB100_33:
	s_andn2_b64 vcc, exec, s[8:9]
	s_cbranch_vccnz .LBB100_35
; %bb.34:
	v_bfe_u32 v4, v2, 16, 1
	s_movk_i32 s18, 0x7fff
	v_add3_u32 v4, v2, v4, s18
	v_cmp_o_f32_e32 vcc, v2, v2
	v_mov_b32_e32 v5, 0x7fc0
	s_nop 0
	v_cndmask_b32_sdwa v10, v5, v4, vcc dst_sel:DWORD dst_unused:UNUSED_PAD src0_sel:DWORD src1_sel:WORD_1
	v_lshl_add_u64 v[4:5], s[2:3], 0, v[0:1]
	v_lshl_add_u64 v[4:5], v[4:5], 1, s[14:15]
	global_store_short v[4:5], v10, off offset:32
.LBB100_35:
	;; [unrolled: 61-line block ×6, first 2 shown]
	s_or_b64 exec, exec, s[4:5]
	v_cmp_gt_u32_e32 vcc, 8, v0
	s_and_b64 exec, exec, vcc
	s_cbranch_execz .LBB100_75
; %bb.68:
	s_and_saveexec_b64 s[4:5], s[6:7]
	s_cbranch_execz .LBB100_70
; %bb.69:
	v_add_u32_e32 v2, v0, v6
	v_lshl_add_u32 v2, v2, 2, 0
	ds_read_b32 v3, v2 offset:224
	ds_read_b32 v2, v2 offset:2304
.LBB100_70:
	s_or_b64 exec, exec, s[4:5]
	s_waitcnt lgkmcnt(1)
	ds_bpermute_b32 v4, v7, v3
	s_waitcnt lgkmcnt(1)
	ds_bpermute_b32 v5, v7, v2
	s_waitcnt lgkmcnt(1)
	v_add_f32_e32 v3, v3, v4
	s_waitcnt lgkmcnt(0)
	v_add_f32_e32 v2, v2, v5
	ds_bpermute_b32 v4, v8, v3
	ds_bpermute_b32 v5, v8, v2
	s_waitcnt lgkmcnt(1)
	v_add_f32_e32 v4, v3, v4
	s_waitcnt lgkmcnt(0)
	v_add_f32_e32 v2, v2, v5
	ds_bpermute_b32 v5, v9, v4
	ds_bpermute_b32 v3, v9, v2
	s_and_b64 exec, exec, s[0:1]
	s_cbranch_execz .LBB100_75
; %bb.71:
	s_andn2_b64 vcc, exec, s[10:11]
	v_lshl_add_u64 v[0:1], s[2:3], 0, v[0:1]
	s_cbranch_vccnz .LBB100_73
; %bb.72:
	s_waitcnt lgkmcnt(1)
	v_add_f32_e32 v4, v4, v5
	v_bfe_u32 v5, v4, 16, 1
	s_movk_i32 s0, 0x7fff
	v_add3_u32 v5, v4, v5, s0
	v_cmp_o_f32_e32 vcc, v4, v4
	v_mov_b32_e32 v4, 0x7fc0
	s_nop 0
	v_cndmask_b32_sdwa v6, v4, v5, vcc dst_sel:DWORD dst_unused:UNUSED_PAD src0_sel:DWORD src1_sel:WORD_1
	v_lshl_add_u64 v[4:5], v[0:1], 1, s[12:13]
	global_store_short v[4:5], v6, off offset:112
.LBB100_73:
	s_andn2_b64 vcc, exec, s[8:9]
	s_cbranch_vccnz .LBB100_75
; %bb.74:
	s_waitcnt lgkmcnt(0)
	v_add_f32_e32 v2, v2, v3
	v_bfe_u32 v3, v2, 16, 1
	s_movk_i32 s0, 0x7fff
	v_add3_u32 v3, v2, v3, s0
	v_cmp_o_f32_e32 vcc, v2, v2
	v_mov_b32_e32 v2, 0x7fc0
	v_lshl_add_u64 v[0:1], v[0:1], 1, s[14:15]
	v_cndmask_b32_sdwa v2, v2, v3, vcc dst_sel:DWORD dst_unused:UNUSED_PAD src0_sel:DWORD src1_sel:WORD_1
	global_store_short v[0:1], v2, off offset:112
.LBB100_75:
	s_endpgm
	.section	.rodata,"a",@progbits
	.p2align	6, 0x0
	.amdhsa_kernel _ZN2at6native12_GLOBAL__N_135GammaBetaBackwardCUDAKernelTemplateIN3c108BFloat16EfLj64ELj8ELj64ELb0ELb1ELb0EEEvllPKT_S7_PKT0_SA_PS5_SB_
		.amdhsa_group_segment_fixed_size 0
		.amdhsa_private_segment_fixed_size 0
		.amdhsa_kernarg_size 320
		.amdhsa_user_sgpr_count 2
		.amdhsa_user_sgpr_dispatch_ptr 0
		.amdhsa_user_sgpr_queue_ptr 0
		.amdhsa_user_sgpr_kernarg_segment_ptr 1
		.amdhsa_user_sgpr_dispatch_id 0
		.amdhsa_user_sgpr_kernarg_preload_length 0
		.amdhsa_user_sgpr_kernarg_preload_offset 0
		.amdhsa_user_sgpr_private_segment_size 0
		.amdhsa_uses_dynamic_stack 0
		.amdhsa_enable_private_segment 0
		.amdhsa_system_sgpr_workgroup_id_x 1
		.amdhsa_system_sgpr_workgroup_id_y 1
		.amdhsa_system_sgpr_workgroup_id_z 0
		.amdhsa_system_sgpr_workgroup_info 0
		.amdhsa_system_vgpr_workitem_id 1
		.amdhsa_next_free_vgpr 55
		.amdhsa_next_free_sgpr 32
		.amdhsa_accum_offset 56
		.amdhsa_reserve_vcc 1
		.amdhsa_float_round_mode_32 0
		.amdhsa_float_round_mode_16_64 0
		.amdhsa_float_denorm_mode_32 3
		.amdhsa_float_denorm_mode_16_64 3
		.amdhsa_dx10_clamp 1
		.amdhsa_ieee_mode 1
		.amdhsa_fp16_overflow 0
		.amdhsa_tg_split 0
		.amdhsa_exception_fp_ieee_invalid_op 0
		.amdhsa_exception_fp_denorm_src 0
		.amdhsa_exception_fp_ieee_div_zero 0
		.amdhsa_exception_fp_ieee_overflow 0
		.amdhsa_exception_fp_ieee_underflow 0
		.amdhsa_exception_fp_ieee_inexact 0
		.amdhsa_exception_int_div_zero 0
	.end_amdhsa_kernel
	.section	.text._ZN2at6native12_GLOBAL__N_135GammaBetaBackwardCUDAKernelTemplateIN3c108BFloat16EfLj64ELj8ELj64ELb0ELb1ELb0EEEvllPKT_S7_PKT0_SA_PS5_SB_,"axG",@progbits,_ZN2at6native12_GLOBAL__N_135GammaBetaBackwardCUDAKernelTemplateIN3c108BFloat16EfLj64ELj8ELj64ELb0ELb1ELb0EEEvllPKT_S7_PKT0_SA_PS5_SB_,comdat
.Lfunc_end100:
	.size	_ZN2at6native12_GLOBAL__N_135GammaBetaBackwardCUDAKernelTemplateIN3c108BFloat16EfLj64ELj8ELj64ELb0ELb1ELb0EEEvllPKT_S7_PKT0_SA_PS5_SB_, .Lfunc_end100-_ZN2at6native12_GLOBAL__N_135GammaBetaBackwardCUDAKernelTemplateIN3c108BFloat16EfLj64ELj8ELj64ELb0ELb1ELb0EEEvllPKT_S7_PKT0_SA_PS5_SB_
                                        ; -- End function
	.set _ZN2at6native12_GLOBAL__N_135GammaBetaBackwardCUDAKernelTemplateIN3c108BFloat16EfLj64ELj8ELj64ELb0ELb1ELb0EEEvllPKT_S7_PKT0_SA_PS5_SB_.num_vgpr, 55
	.set _ZN2at6native12_GLOBAL__N_135GammaBetaBackwardCUDAKernelTemplateIN3c108BFloat16EfLj64ELj8ELj64ELb0ELb1ELb0EEEvllPKT_S7_PKT0_SA_PS5_SB_.num_agpr, 0
	.set _ZN2at6native12_GLOBAL__N_135GammaBetaBackwardCUDAKernelTemplateIN3c108BFloat16EfLj64ELj8ELj64ELb0ELb1ELb0EEEvllPKT_S7_PKT0_SA_PS5_SB_.numbered_sgpr, 32
	.set _ZN2at6native12_GLOBAL__N_135GammaBetaBackwardCUDAKernelTemplateIN3c108BFloat16EfLj64ELj8ELj64ELb0ELb1ELb0EEEvllPKT_S7_PKT0_SA_PS5_SB_.num_named_barrier, 0
	.set _ZN2at6native12_GLOBAL__N_135GammaBetaBackwardCUDAKernelTemplateIN3c108BFloat16EfLj64ELj8ELj64ELb0ELb1ELb0EEEvllPKT_S7_PKT0_SA_PS5_SB_.private_seg_size, 0
	.set _ZN2at6native12_GLOBAL__N_135GammaBetaBackwardCUDAKernelTemplateIN3c108BFloat16EfLj64ELj8ELj64ELb0ELb1ELb0EEEvllPKT_S7_PKT0_SA_PS5_SB_.uses_vcc, 1
	.set _ZN2at6native12_GLOBAL__N_135GammaBetaBackwardCUDAKernelTemplateIN3c108BFloat16EfLj64ELj8ELj64ELb0ELb1ELb0EEEvllPKT_S7_PKT0_SA_PS5_SB_.uses_flat_scratch, 0
	.set _ZN2at6native12_GLOBAL__N_135GammaBetaBackwardCUDAKernelTemplateIN3c108BFloat16EfLj64ELj8ELj64ELb0ELb1ELb0EEEvllPKT_S7_PKT0_SA_PS5_SB_.has_dyn_sized_stack, 0
	.set _ZN2at6native12_GLOBAL__N_135GammaBetaBackwardCUDAKernelTemplateIN3c108BFloat16EfLj64ELj8ELj64ELb0ELb1ELb0EEEvllPKT_S7_PKT0_SA_PS5_SB_.has_recursion, 0
	.set _ZN2at6native12_GLOBAL__N_135GammaBetaBackwardCUDAKernelTemplateIN3c108BFloat16EfLj64ELj8ELj64ELb0ELb1ELb0EEEvllPKT_S7_PKT0_SA_PS5_SB_.has_indirect_call, 0
	.section	.AMDGPU.csdata,"",@progbits
; Kernel info:
; codeLenInByte = 3860
; TotalNumSgprs: 38
; NumVgprs: 55
; NumAgprs: 0
; TotalNumVgprs: 55
; ScratchSize: 0
; MemoryBound: 0
; FloatMode: 240
; IeeeMode: 1
; LDSByteSize: 0 bytes/workgroup (compile time only)
; SGPRBlocks: 4
; VGPRBlocks: 6
; NumSGPRsForWavesPerEU: 38
; NumVGPRsForWavesPerEU: 55
; AccumOffset: 56
; Occupancy: 8
; WaveLimiterHint : 0
; COMPUTE_PGM_RSRC2:SCRATCH_EN: 0
; COMPUTE_PGM_RSRC2:USER_SGPR: 2
; COMPUTE_PGM_RSRC2:TRAP_HANDLER: 0
; COMPUTE_PGM_RSRC2:TGID_X_EN: 1
; COMPUTE_PGM_RSRC2:TGID_Y_EN: 1
; COMPUTE_PGM_RSRC2:TGID_Z_EN: 0
; COMPUTE_PGM_RSRC2:TIDIG_COMP_CNT: 1
; COMPUTE_PGM_RSRC3_GFX90A:ACCUM_OFFSET: 13
; COMPUTE_PGM_RSRC3_GFX90A:TG_SPLIT: 0
	.section	.text._ZN2at6native12_GLOBAL__N_135GammaBetaBackwardCUDAKernelTemplateIN3c108BFloat16EfLj64ELj8ELj64ELb0ELb0ELb0EEEvllPKT_S7_PKT0_SA_PS5_SB_,"axG",@progbits,_ZN2at6native12_GLOBAL__N_135GammaBetaBackwardCUDAKernelTemplateIN3c108BFloat16EfLj64ELj8ELj64ELb0ELb0ELb0EEEvllPKT_S7_PKT0_SA_PS5_SB_,comdat
	.globl	_ZN2at6native12_GLOBAL__N_135GammaBetaBackwardCUDAKernelTemplateIN3c108BFloat16EfLj64ELj8ELj64ELb0ELb0ELb0EEEvllPKT_S7_PKT0_SA_PS5_SB_ ; -- Begin function _ZN2at6native12_GLOBAL__N_135GammaBetaBackwardCUDAKernelTemplateIN3c108BFloat16EfLj64ELj8ELj64ELb0ELb0ELb0EEEvllPKT_S7_PKT0_SA_PS5_SB_
	.p2align	8
	.type	_ZN2at6native12_GLOBAL__N_135GammaBetaBackwardCUDAKernelTemplateIN3c108BFloat16EfLj64ELj8ELj64ELb0ELb0ELb0EEEvllPKT_S7_PKT0_SA_PS5_SB_,@function
_ZN2at6native12_GLOBAL__N_135GammaBetaBackwardCUDAKernelTemplateIN3c108BFloat16EfLj64ELj8ELj64ELb0ELb0ELb0EEEvllPKT_S7_PKT0_SA_PS5_SB_: ; @_ZN2at6native12_GLOBAL__N_135GammaBetaBackwardCUDAKernelTemplateIN3c108BFloat16EfLj64ELj8ELj64ELb0ELb0ELb0EEEvllPKT_S7_PKT0_SA_PS5_SB_
; %bb.0:
	s_load_dwordx8 s[8:15], s[0:1], 0x0
	s_load_dwordx4 s[16:19], s[0:1], 0x20
	s_lshl_b32 s33, s2, 6
	s_mov_b32 s21, 0
	s_lshl_b32 s20, s3, 6
	s_or_b32 s4, s33, 63
	v_mov_b64_e32 v[2:3], s[20:21]
	v_mov_b32_e32 v26, s4
	v_mov_b32_e32 v27, 0
	s_waitcnt lgkmcnt(0)
	v_cmp_gt_i64_e64 s[4:5], s[8:9], v[2:3]
	v_cmp_le_i64_e32 vcc, s[10:11], v[26:27]
	s_nop 0
	v_cndmask_b32_e64 v1, 0, 1, s[4:5]
	v_cmp_ne_u32_e64 s[4:5], 1, v1
	s_cbranch_vccz .LBB101_48
; %bb.1:
	s_and_b64 vcc, exec, s[4:5]
	v_mov_b32_e32 v26, 0
	s_cbranch_vccnz .LBB101_49
; %bb.2:
	v_and_b32_e32 v1, 0x3ff, v0
	v_mov_b32_e32 v2, 0
	v_bfe_u32 v62, v0, 10, 10
	v_add_u32_e32 v4, s33, v1
	v_mov_b32_e32 v5, v2
	v_lshlrev_b32_e32 v20, 3, v62
	v_mov_b32_e32 v21, v2
	v_cmp_gt_i64_e64 s[6:7], s[10:11], v[4:5]
	v_lshlrev_b64 v[22:23], 1, v[4:5]
	v_lshl_add_u64 v[4:5], v[20:21], 0, s[20:21]
	v_mul_lo_u32 v3, s11, v4
	v_mul_lo_u32 v8, s10, v5
	v_mad_u64_u32 v[6:7], s[24:25], s10, v4, 0
	v_add3_u32 v7, v7, v8, v3
	v_lshlrev_b64 v[6:7], 1, v[6:7]
	v_lshl_add_u64 v[24:25], s[12:13], 0, v[6:7]
	v_lshl_add_u64 v[28:29], s[14:15], 0, v[6:7]
	v_lshl_add_u64 v[6:7], v[4:5], 0, 7
	v_mul_lo_u32 v9, s11, v6
	v_mul_lo_u32 v10, s10, v7
	v_mad_u64_u32 v[6:7], s[26:27], s10, v6, 0
	v_add3_u32 v7, v7, v10, v9
	v_lshlrev_b64 v[6:7], 1, v[6:7]
	v_lshl_add_u64 v[30:31], s[12:13], 0, v[6:7]
	v_lshl_add_u64 v[32:33], s[14:15], 0, v[6:7]
	v_lshl_add_u64 v[6:7], v[4:5], 0, 6
	v_mul_lo_u32 v9, s11, v6
	v_mul_lo_u32 v10, s10, v7
	v_mad_u64_u32 v[6:7], s[26:27], s10, v6, 0
	v_add3_u32 v7, v7, v10, v9
	v_lshlrev_b64 v[6:7], 1, v[6:7]
	v_lshl_add_u64 v[34:35], s[12:13], 0, v[6:7]
	v_lshl_add_u64 v[36:37], s[14:15], 0, v[6:7]
	v_lshl_add_u64 v[6:7], v[4:5], 0, 5
	v_mul_lo_u32 v9, s11, v6
	v_mul_lo_u32 v10, s10, v7
	v_mad_u64_u32 v[6:7], s[26:27], s10, v6, 0
	v_add3_u32 v7, v7, v10, v9
	v_lshlrev_b64 v[6:7], 1, v[6:7]
	v_lshl_add_u64 v[38:39], s[12:13], 0, v[6:7]
	v_lshl_add_u64 v[40:41], s[14:15], 0, v[6:7]
	v_lshl_add_u64 v[6:7], v[4:5], 0, 4
	v_mul_lo_u32 v9, s11, v6
	v_mul_lo_u32 v10, s10, v7
	v_mad_u64_u32 v[6:7], s[26:27], s10, v6, 0
	v_add3_u32 v7, v7, v10, v9
	v_lshlrev_b64 v[6:7], 1, v[6:7]
	v_lshl_add_u64 v[42:43], s[12:13], 0, v[6:7]
	v_lshl_add_u64 v[44:45], s[14:15], 0, v[6:7]
	v_lshl_add_u64 v[6:7], v[4:5], 0, 3
	v_mul_lo_u32 v9, s11, v6
	v_mul_lo_u32 v10, s10, v7
	v_mad_u64_u32 v[6:7], s[26:27], s10, v6, 0
	v_add3_u32 v7, v7, v10, v9
	s_load_dword s3, s[0:1], 0x44
	v_lshlrev_b64 v[6:7], 1, v[6:7]
	v_lshl_add_u64 v[46:47], s[12:13], 0, v[6:7]
	v_lshl_add_u64 v[48:49], s[14:15], 0, v[6:7]
	v_lshl_add_u64 v[6:7], v[4:5], 0, 2
	v_mul_lo_u32 v5, s11, v6
	v_mul_lo_u32 v9, s10, v7
	v_mad_u64_u32 v[6:7], s[26:27], s10, v6, 0
	v_add3_u32 v7, v7, v9, v5
	s_add_u32 s22, s0, 64
	v_lshlrev_b64 v[6:7], 1, v[6:7]
	s_addc_u32 s23, s1, 0
	s_waitcnt lgkmcnt(0)
	s_lshl_b32 s3, s3, 6
	v_lshl_add_u64 v[50:51], s[12:13], 0, v[6:7]
	v_lshl_add_u64 v[52:53], s[14:15], 0, v[6:7]
	v_mov_b64_e32 v[6:7], s[10:11]
	s_mul_i32 s24, s11, s3
	s_mul_hi_u32 s25, s10, s3
	v_mad_u64_u32 v[4:5], s[26:27], s10, v4, v[6:7]
	s_add_i32 s25, s25, s24
	s_mul_i32 s24, s10, s3
	v_add3_u32 v5, v3, v5, v8
	v_mbcnt_lo_u32_b32 v3, -1, 0
	s_lshl_b64 s[24:25], s[24:25], 1
	v_mbcnt_hi_u32_b32 v3, -1, v3
	v_lshlrev_b64 v[4:5], 1, v[4:5]
	s_add_u32 s26, s20, 63
	s_movk_i32 s28, 0xffc1
	s_movk_i32 s30, 0xffc2
	;; [unrolled: 1-line block ×8, first 2 shown]
	v_lshlrev_b32_e32 v3, 2, v3
	v_lshl_add_u64 v[54:55], s[12:13], 0, v[4:5]
	v_lshl_add_u64 v[56:57], s[14:15], 0, v[4:5]
	s_addc_u32 s27, 0, 0
	s_mov_b32 s29, -1
	s_mov_b32 s31, -1
	;; [unrolled: 1-line block ×8, first 2 shown]
	v_and_b32_e32 v63, 0x100, v3
	s_mov_b64 s[46:47], s[20:21]
	v_mov_b32_e32 v26, 0
	v_mov_b32_e32 v27, v2
	s_branch .LBB101_5
.LBB101_3:                              ;   in Loop: Header=BB101_5 Depth=1
	s_or_b64 exec, exec, s[48:49]
	s_waitcnt vmcnt(1)
	ds_bpermute_b32 v3, v63, v61
	ds_bpermute_b32 v58, v63, v61 offset:4
	s_waitcnt vmcnt(0)
	ds_bpermute_b32 v59, v63, v60
	ds_bpermute_b32 v64, v63, v60 offset:4
	v_mov_b32_e32 v66, v8
	s_waitcnt lgkmcnt(3)
	v_sub_f32_e32 v3, v12, v3
	v_mul_f32_e32 v3, v4, v3
	s_waitcnt lgkmcnt(2)
	v_sub_f32_e32 v12, v13, v58
	s_waitcnt lgkmcnt(1)
	v_mul_f32_e32 v13, v3, v59
	ds_bpermute_b32 v3, v63, v61 offset:8
	v_mul_f32_e32 v12, v5, v12
	s_waitcnt lgkmcnt(1)
	v_mul_f32_e32 v59, v12, v64
	ds_bpermute_b32 v12, v63, v60 offset:8
	ds_bpermute_b32 v58, v63, v61 offset:12
	s_waitcnt lgkmcnt(2)
	v_sub_f32_e32 v3, v14, v3
	ds_bpermute_b32 v14, v63, v60 offset:12
	v_mul_f32_e32 v3, v6, v3
	s_waitcnt lgkmcnt(2)
	v_mul_f32_e32 v65, v3, v12
	s_waitcnt lgkmcnt(1)
	v_sub_f32_e32 v3, v15, v58
	ds_bpermute_b32 v12, v63, v61 offset:16
	v_mul_f32_e32 v3, v7, v3
	s_waitcnt lgkmcnt(1)
	v_mul_f32_e32 v15, v3, v14
	ds_bpermute_b32 v3, v63, v60 offset:16
	ds_bpermute_b32 v14, v63, v61 offset:20
	s_waitcnt lgkmcnt(2)
	v_sub_f32_e32 v12, v16, v12
	ds_bpermute_b32 v16, v63, v60 offset:20
	v_mul_f32_e32 v12, v8, v12
	s_waitcnt lgkmcnt(2)
	v_mul_f32_e32 v67, v12, v3
	v_mov_b32_e32 v12, v4
	s_waitcnt lgkmcnt(1)
	v_sub_f32_e32 v3, v17, v14
	v_pk_add_f32 v[12:13], v[26:27], v[12:13]
	v_mov_b32_e32 v58, v5
	v_mul_f32_e32 v3, v9, v3
	v_pk_add_f32 v[4:5], v[58:59], v[12:13]
	v_mov_b32_e32 v64, v6
	s_waitcnt lgkmcnt(0)
	v_mul_f32_e32 v17, v3, v16
	v_pk_add_f32 v[4:5], v[64:65], v[4:5]
	v_mov_b32_e32 v14, v7
	ds_bpermute_b32 v3, v63, v61 offset:24
	v_pk_add_f32 v[4:5], v[14:15], v[4:5]
	v_mov_b32_e32 v16, v9
	v_pk_add_f32 v[4:5], v[66:67], v[4:5]
	s_waitcnt lgkmcnt(0)
	v_sub_f32_e32 v8, v18, v3
	v_pk_add_f32 v[6:7], v[16:17], v[4:5]
	ds_bpermute_b32 v5, v63, v60 offset:24
	ds_bpermute_b32 v3, v63, v60 offset:28
	;; [unrolled: 1-line block ×3, first 2 shown]
	v_mul_f32_e32 v8, v10, v8
	s_waitcnt lgkmcnt(2)
	v_mul_f32_e32 v9, v8, v5
	v_mov_b32_e32 v8, v10
	v_pk_add_f32 v[60:61], v[8:9], v[6:7]
.LBB101_4:                              ;   in Loop: Header=BB101_5 Depth=1
	s_waitcnt lgkmcnt(0)
	v_sub_f32_e32 v4, v19, v4
	v_mul_f32_e32 v4, v11, v4
	v_mul_f32_e32 v5, v4, v3
	v_mov_b32_e32 v4, v11
	s_add_u32 s46, s46, s3
	v_pk_add_f32 v[26:27], v[60:61], v[4:5]
	s_addc_u32 s47, s47, 0
	v_mov_b64_e32 v[4:5], s[8:9]
	s_add_u32 s26, s26, s3
	v_cmp_lt_i64_e32 vcc, s[46:47], v[4:5]
	v_lshl_add_u64 v[24:25], v[24:25], 0, s[24:25]
	v_lshl_add_u64 v[28:29], v[28:29], 0, s[24:25]
	;; [unrolled: 1-line block ×16, first 2 shown]
	s_addc_u32 s27, s27, 0
	s_cbranch_vccz .LBB101_49
.LBB101_5:                              ; =>This Inner Loop Header: Depth=1
	v_mov_b64_e32 v[4:5], s[8:9]
	v_cmp_ge_i64_e32 vcc, s[26:27], v[4:5]
	v_lshl_add_u64 v[58:59], v[20:21], 0, s[26:27]
	s_mov_b64 s[48:49], -1
	s_and_b64 vcc, exec, vcc
                                        ; implicit-def: $vgpr4_vgpr5_vgpr6_vgpr7_vgpr8_vgpr9_vgpr10_vgpr11
                                        ; implicit-def: $vgpr60_vgpr61
                                        ; implicit-def: $vgpr3
                                        ; implicit-def: $vgpr12_vgpr13_vgpr14_vgpr15_vgpr16_vgpr17_vgpr18_vgpr19
                                        ; implicit-def: $vgpr4
	s_cbranch_vccz .LBB101_27
; %bb.6:                                ;   in Loop: Header=BB101_5 Depth=1
	s_load_dword s48, s[22:23], 0xc
	v_mov_b32_e32 v60, 0
	v_mov_b32_e32 v61, 0
	s_waitcnt lgkmcnt(0)
	s_and_b32 s48, s48, 0xffff
	v_mad_u32_u24 v3, v62, s48, v1
	v_and_b32_e32 v4, 63, v3
	v_cmp_gt_u32_e32 vcc, 8, v4
	s_and_saveexec_b64 s[48:49], vcc
	s_cbranch_execz .LBB101_10
; %bb.7:                                ;   in Loop: Header=BB101_5 Depth=1
	v_mov_b32_e32 v5, v2
	v_lshl_add_u64 v[4:5], v[58:59], 0, v[4:5]
	v_lshl_add_u64 v[4:5], v[4:5], 0, s[28:29]
	v_cmp_gt_i64_e32 vcc, s[8:9], v[4:5]
	v_mov_b32_e32 v61, 0
	v_mov_b32_e32 v60, 0
	s_and_saveexec_b64 s[50:51], vcc
	s_cbranch_execz .LBB101_9
; %bb.8:                                ;   in Loop: Header=BB101_5 Depth=1
	v_lshlrev_b64 v[4:5], 2, v[4:5]
	v_lshl_add_u64 v[6:7], s[18:19], 0, v[4:5]
	v_lshl_add_u64 v[4:5], s[16:17], 0, v[4:5]
	global_load_dword v61, v[4:5], off
	global_load_dword v60, v[6:7], off
.LBB101_9:                              ;   in Loop: Header=BB101_5 Depth=1
	s_or_b64 exec, exec, s[50:51]
.LBB101_10:                             ;   in Loop: Header=BB101_5 Depth=1
	s_or_b64 exec, exec, s[48:49]
	v_lshl_add_u64 v[4:5], v[58:59], 0, s[28:29]
	v_mov_b32_e32 v8, v2
	v_mov_b32_e32 v9, v2
	v_cmp_gt_i64_e32 vcc, s[8:9], v[4:5]
	v_mov_b32_e32 v3, v2
	v_mov_b32_e32 v4, v2
	;; [unrolled: 1-line block ×5, first 2 shown]
	v_mov_b64_e32 v[18:19], v[8:9]
	v_mov_b64_e32 v[16:17], v[6:7]
	;; [unrolled: 1-line block ×5, first 2 shown]
	s_and_b64 s[50:51], s[6:7], vcc
	v_mov_b64_e32 v[8:9], v[6:7]
	v_mov_b64_e32 v[6:7], v[4:5]
	;; [unrolled: 1-line block ×3, first 2 shown]
	s_and_saveexec_b64 s[48:49], s[50:51]
	s_cbranch_execz .LBB101_12
; %bb.11:                               ;   in Loop: Header=BB101_5 Depth=1
	v_lshl_add_u64 v[4:5], v[24:25], 0, v[22:23]
	global_load_ushort v3, v[4:5], off
	v_lshl_add_u64 v[4:5], v[28:29], 0, v[22:23]
	global_load_ushort v12, v[4:5], off
	v_mov_b32_e32 v5, v2
	v_mov_b32_e32 v6, v2
	;; [unrolled: 1-line block ×14, first 2 shown]
	s_waitcnt vmcnt(1)
	v_lshlrev_b32_e32 v4, 16, v3
	s_waitcnt vmcnt(0)
	v_lshlrev_b32_e32 v12, 16, v12
.LBB101_12:                             ;   in Loop: Header=BB101_5 Depth=1
	s_or_b64 exec, exec, s[48:49]
	v_lshl_add_u64 v[64:65], v[58:59], 0, s[30:31]
	v_cmp_gt_i64_e32 vcc, s[8:9], v[64:65]
	s_and_b64 s[50:51], s[6:7], vcc
	s_and_saveexec_b64 s[48:49], s[50:51]
	s_cbranch_execz .LBB101_14
; %bb.13:                               ;   in Loop: Header=BB101_5 Depth=1
	v_lshl_add_u64 v[64:65], v[54:55], 0, v[22:23]
	global_load_ushort v3, v[64:65], off
	v_lshl_add_u64 v[64:65], v[56:57], 0, v[22:23]
	global_load_ushort v13, v[64:65], off
	s_waitcnt vmcnt(1)
	v_lshlrev_b32_e32 v5, 16, v3
	s_waitcnt vmcnt(0)
	v_lshlrev_b32_e32 v13, 16, v13
.LBB101_14:                             ;   in Loop: Header=BB101_5 Depth=1
	s_or_b64 exec, exec, s[48:49]
	v_lshl_add_u64 v[64:65], v[58:59], 0, s[34:35]
	v_cmp_gt_i64_e32 vcc, s[8:9], v[64:65]
	s_and_b64 s[50:51], s[6:7], vcc
	s_and_saveexec_b64 s[48:49], s[50:51]
	s_cbranch_execz .LBB101_16
; %bb.15:                               ;   in Loop: Header=BB101_5 Depth=1
	v_lshl_add_u64 v[64:65], v[50:51], 0, v[22:23]
	global_load_ushort v3, v[64:65], off
	v_lshl_add_u64 v[64:65], v[52:53], 0, v[22:23]
	global_load_ushort v14, v[64:65], off
	s_waitcnt vmcnt(1)
	v_lshlrev_b32_e32 v6, 16, v3
	s_waitcnt vmcnt(0)
	v_lshlrev_b32_e32 v14, 16, v14
.LBB101_16:                             ;   in Loop: Header=BB101_5 Depth=1
	;; [unrolled: 16-line block ×7, first 2 shown]
	s_or_b64 exec, exec, s[48:49]
	s_waitcnt vmcnt(1)
	ds_bpermute_b32 v3, v63, v61
	ds_bpermute_b32 v64, v63, v61 offset:4
	s_waitcnt vmcnt(0)
	ds_bpermute_b32 v65, v63, v60
	ds_bpermute_b32 v66, v63, v60 offset:4
	v_mov_b32_e32 v68, v8
	s_waitcnt lgkmcnt(3)
	v_sub_f32_e32 v3, v12, v3
	v_mul_f32_e32 v3, v4, v3
	s_waitcnt lgkmcnt(2)
	v_sub_f32_e32 v12, v13, v64
	s_waitcnt lgkmcnt(1)
	v_mul_f32_e32 v13, v3, v65
	ds_bpermute_b32 v3, v63, v61 offset:8
	v_mul_f32_e32 v12, v5, v12
	s_waitcnt lgkmcnt(1)
	v_mul_f32_e32 v65, v12, v66
	ds_bpermute_b32 v12, v63, v60 offset:8
	ds_bpermute_b32 v64, v63, v61 offset:12
	s_waitcnt lgkmcnt(2)
	v_sub_f32_e32 v3, v14, v3
	ds_bpermute_b32 v14, v63, v60 offset:12
	v_mul_f32_e32 v3, v6, v3
	s_waitcnt lgkmcnt(2)
	v_mul_f32_e32 v67, v3, v12
	ds_bpermute_b32 v12, v63, v61 offset:16
	s_waitcnt lgkmcnt(2)
	v_sub_f32_e32 v3, v15, v64
	v_mul_f32_e32 v3, v7, v3
	s_waitcnt lgkmcnt(1)
	v_mul_f32_e32 v15, v3, v14
	ds_bpermute_b32 v3, v63, v60 offset:16
	ds_bpermute_b32 v14, v63, v61 offset:20
	s_waitcnt lgkmcnt(2)
	v_sub_f32_e32 v12, v16, v12
	ds_bpermute_b32 v16, v63, v60 offset:20
	v_mul_f32_e32 v12, v8, v12
	s_waitcnt lgkmcnt(2)
	v_mul_f32_e32 v69, v12, v3
	s_waitcnt lgkmcnt(1)
	v_sub_f32_e32 v3, v17, v14
	v_mov_b32_e32 v12, v4
	v_mul_f32_e32 v3, v9, v3
	v_pk_add_f32 v[12:13], v[26:27], v[12:13]
	v_mov_b32_e32 v64, v5
	s_waitcnt lgkmcnt(0)
	v_mul_f32_e32 v17, v3, v16
	v_pk_add_f32 v[4:5], v[64:65], v[12:13]
	v_mov_b32_e32 v66, v6
	ds_bpermute_b32 v3, v63, v61 offset:24
	v_pk_add_f32 v[4:5], v[66:67], v[4:5]
	v_mov_b32_e32 v14, v7
	v_pk_add_f32 v[4:5], v[14:15], v[4:5]
	v_mov_b32_e32 v16, v9
	v_pk_add_f32 v[4:5], v[68:69], v[4:5]
	s_waitcnt lgkmcnt(0)
	v_sub_f32_e32 v3, v18, v3
	v_pk_add_f32 v[6:7], v[16:17], v[4:5]
	ds_bpermute_b32 v5, v63, v60 offset:24
	v_mul_f32_e32 v8, v10, v3
	ds_bpermute_b32 v3, v63, v60 offset:28
	ds_bpermute_b32 v4, v63, v61 offset:28
	s_mov_b64 s[48:49], 0
	s_waitcnt lgkmcnt(2)
	v_mul_f32_e32 v9, v8, v5
	v_mov_b32_e32 v8, v10
	v_pk_add_f32 v[60:61], v[8:9], v[6:7]
.LBB101_27:                             ;   in Loop: Header=BB101_5 Depth=1
	s_and_b64 vcc, exec, s[48:49]
	s_cbranch_vccz .LBB101_4
; %bb.28:                               ;   in Loop: Header=BB101_5 Depth=1
	s_load_dword s48, s[22:23], 0x0
	v_mov_b32_e32 v60, 0
	v_mov_b32_e32 v61, 0
	s_waitcnt lgkmcnt(0)
	s_cmp_lt_u32 s2, s48
	s_cselect_b32 s48, 12, 18
	s_add_u32 s48, s22, s48
	s_addc_u32 s49, s23, 0
	global_load_ushort v3, v2, s[48:49]
	s_waitcnt vmcnt(0)
	v_mad_u32_u24 v3, v62, v3, v1
	v_and_b32_e32 v4, 63, v3
	v_cmp_gt_u32_e32 vcc, 8, v4
	s_and_saveexec_b64 s[48:49], vcc
	s_cbranch_execz .LBB101_32
; %bb.29:                               ;   in Loop: Header=BB101_5 Depth=1
	v_mov_b32_e32 v5, v2
	v_lshl_add_u64 v[4:5], v[58:59], 0, v[4:5]
	v_lshl_add_u64 v[4:5], v[4:5], 0, s[28:29]
	v_cmp_gt_i64_e32 vcc, s[8:9], v[4:5]
	v_mov_b32_e32 v61, 0
	v_mov_b32_e32 v60, 0
	s_and_saveexec_b64 s[50:51], vcc
	s_cbranch_execz .LBB101_31
; %bb.30:                               ;   in Loop: Header=BB101_5 Depth=1
	v_lshlrev_b64 v[4:5], 2, v[4:5]
	v_lshl_add_u64 v[6:7], s[18:19], 0, v[4:5]
	v_lshl_add_u64 v[4:5], s[16:17], 0, v[4:5]
	global_load_dword v61, v[4:5], off
	global_load_dword v60, v[6:7], off
.LBB101_31:                             ;   in Loop: Header=BB101_5 Depth=1
	s_or_b64 exec, exec, s[50:51]
.LBB101_32:                             ;   in Loop: Header=BB101_5 Depth=1
	s_or_b64 exec, exec, s[48:49]
	v_mov_b32_e32 v8, v2
	v_mov_b32_e32 v9, v2
	;; [unrolled: 1-line block ×7, first 2 shown]
	v_mov_b64_e32 v[18:19], v[8:9]
	v_mov_b64_e32 v[16:17], v[6:7]
	v_mov_b64_e32 v[14:15], v[4:5]
	v_mov_b64_e32 v[12:13], v[2:3]
	v_mov_b64_e32 v[10:11], v[8:9]
	v_mov_b64_e32 v[8:9], v[6:7]
	v_mov_b64_e32 v[6:7], v[4:5]
	v_mov_b64_e32 v[4:5], v[2:3]
	s_and_saveexec_b64 s[48:49], s[6:7]
	s_cbranch_execnz .LBB101_40
; %bb.33:                               ;   in Loop: Header=BB101_5 Depth=1
	s_or_b64 exec, exec, s[48:49]
	s_and_saveexec_b64 s[48:49], s[6:7]
	s_cbranch_execnz .LBB101_41
.LBB101_34:                             ;   in Loop: Header=BB101_5 Depth=1
	s_or_b64 exec, exec, s[48:49]
	s_and_saveexec_b64 s[48:49], s[6:7]
	s_cbranch_execnz .LBB101_42
.LBB101_35:                             ;   in Loop: Header=BB101_5 Depth=1
	s_or_b64 exec, exec, s[48:49]
	s_and_saveexec_b64 s[48:49], s[6:7]
	s_cbranch_execnz .LBB101_43
.LBB101_36:                             ;   in Loop: Header=BB101_5 Depth=1
	s_or_b64 exec, exec, s[48:49]
	s_and_saveexec_b64 s[48:49], s[6:7]
	s_cbranch_execnz .LBB101_44
.LBB101_37:                             ;   in Loop: Header=BB101_5 Depth=1
	s_or_b64 exec, exec, s[48:49]
	s_and_saveexec_b64 s[48:49], s[6:7]
	s_cbranch_execnz .LBB101_45
.LBB101_38:                             ;   in Loop: Header=BB101_5 Depth=1
	s_or_b64 exec, exec, s[48:49]
	s_and_saveexec_b64 s[48:49], s[6:7]
	s_cbranch_execnz .LBB101_46
.LBB101_39:                             ;   in Loop: Header=BB101_5 Depth=1
	s_or_b64 exec, exec, s[48:49]
	s_and_saveexec_b64 s[48:49], s[6:7]
	s_cbranch_execz .LBB101_3
	s_branch .LBB101_47
.LBB101_40:                             ;   in Loop: Header=BB101_5 Depth=1
	v_lshl_add_u64 v[4:5], v[24:25], 0, v[22:23]
	global_load_ushort v3, v[4:5], off
	v_lshl_add_u64 v[4:5], v[28:29], 0, v[22:23]
	global_load_ushort v12, v[4:5], off
	v_mov_b32_e32 v5, v2
	v_mov_b32_e32 v6, v2
	;; [unrolled: 1-line block ×14, first 2 shown]
	s_waitcnt vmcnt(1)
	v_lshlrev_b32_e32 v4, 16, v3
	s_waitcnt vmcnt(0)
	v_lshlrev_b32_e32 v12, 16, v12
	s_or_b64 exec, exec, s[48:49]
	s_and_saveexec_b64 s[48:49], s[6:7]
	s_cbranch_execz .LBB101_34
.LBB101_41:                             ;   in Loop: Header=BB101_5 Depth=1
	v_lshl_add_u64 v[58:59], v[54:55], 0, v[22:23]
	global_load_ushort v3, v[58:59], off
	v_lshl_add_u64 v[58:59], v[56:57], 0, v[22:23]
	global_load_ushort v13, v[58:59], off
	s_waitcnt vmcnt(1)
	v_lshlrev_b32_e32 v5, 16, v3
	s_waitcnt vmcnt(0)
	v_lshlrev_b32_e32 v13, 16, v13
	s_or_b64 exec, exec, s[48:49]
	s_and_saveexec_b64 s[48:49], s[6:7]
	s_cbranch_execz .LBB101_35
.LBB101_42:                             ;   in Loop: Header=BB101_5 Depth=1
	v_lshl_add_u64 v[58:59], v[50:51], 0, v[22:23]
	global_load_ushort v3, v[58:59], off
	v_lshl_add_u64 v[58:59], v[52:53], 0, v[22:23]
	global_load_ushort v14, v[58:59], off
	s_waitcnt vmcnt(1)
	v_lshlrev_b32_e32 v6, 16, v3
	s_waitcnt vmcnt(0)
	v_lshlrev_b32_e32 v14, 16, v14
	s_or_b64 exec, exec, s[48:49]
	s_and_saveexec_b64 s[48:49], s[6:7]
	s_cbranch_execz .LBB101_36
.LBB101_43:                             ;   in Loop: Header=BB101_5 Depth=1
	v_lshl_add_u64 v[58:59], v[46:47], 0, v[22:23]
	global_load_ushort v3, v[58:59], off
	v_lshl_add_u64 v[58:59], v[48:49], 0, v[22:23]
	global_load_ushort v15, v[58:59], off
	s_waitcnt vmcnt(1)
	v_lshlrev_b32_e32 v7, 16, v3
	s_waitcnt vmcnt(0)
	v_lshlrev_b32_e32 v15, 16, v15
	s_or_b64 exec, exec, s[48:49]
	s_and_saveexec_b64 s[48:49], s[6:7]
	s_cbranch_execz .LBB101_37
.LBB101_44:                             ;   in Loop: Header=BB101_5 Depth=1
	v_lshl_add_u64 v[58:59], v[42:43], 0, v[22:23]
	global_load_ushort v3, v[58:59], off
	v_lshl_add_u64 v[58:59], v[44:45], 0, v[22:23]
	global_load_ushort v16, v[58:59], off
	s_waitcnt vmcnt(1)
	v_lshlrev_b32_e32 v8, 16, v3
	s_waitcnt vmcnt(0)
	v_lshlrev_b32_e32 v16, 16, v16
	s_or_b64 exec, exec, s[48:49]
	s_and_saveexec_b64 s[48:49], s[6:7]
	s_cbranch_execz .LBB101_38
.LBB101_45:                             ;   in Loop: Header=BB101_5 Depth=1
	v_lshl_add_u64 v[58:59], v[38:39], 0, v[22:23]
	global_load_ushort v3, v[58:59], off
	v_lshl_add_u64 v[58:59], v[40:41], 0, v[22:23]
	global_load_ushort v17, v[58:59], off
	s_waitcnt vmcnt(1)
	v_lshlrev_b32_e32 v9, 16, v3
	s_waitcnt vmcnt(0)
	v_lshlrev_b32_e32 v17, 16, v17
	s_or_b64 exec, exec, s[48:49]
	s_and_saveexec_b64 s[48:49], s[6:7]
	s_cbranch_execz .LBB101_39
.LBB101_46:                             ;   in Loop: Header=BB101_5 Depth=1
	v_lshl_add_u64 v[58:59], v[34:35], 0, v[22:23]
	global_load_ushort v3, v[58:59], off
	v_lshl_add_u64 v[58:59], v[36:37], 0, v[22:23]
	global_load_ushort v18, v[58:59], off
	s_waitcnt vmcnt(1)
	v_lshlrev_b32_e32 v10, 16, v3
	s_waitcnt vmcnt(0)
	v_lshlrev_b32_e32 v18, 16, v18
	s_or_b64 exec, exec, s[48:49]
	s_and_saveexec_b64 s[48:49], s[6:7]
	s_cbranch_execz .LBB101_3
.LBB101_47:                             ;   in Loop: Header=BB101_5 Depth=1
	v_lshl_add_u64 v[58:59], v[30:31], 0, v[22:23]
	global_load_ushort v3, v[58:59], off
	v_lshl_add_u64 v[58:59], v[32:33], 0, v[22:23]
	global_load_ushort v19, v[58:59], off
	s_waitcnt vmcnt(1)
	v_lshlrev_b32_e32 v11, 16, v3
	s_waitcnt vmcnt(0)
	v_lshlrev_b32_e32 v19, 16, v19
	s_branch .LBB101_3
.LBB101_48:
                                        ; implicit-def: $vgpr27
	s_branch .LBB101_50
.LBB101_49:
	s_cbranch_execnz .LBB101_81
.LBB101_50:
	v_mov_b32_e32 v27, 0
	s_and_b64 vcc, exec, s[4:5]
	v_mov_b32_e32 v26, v27
	s_cbranch_vccnz .LBB101_81
; %bb.51:
	v_mov_b32_e32 v2, 0
	v_bfe_u32 v90, v0, 10, 10
	v_lshlrev_b32_e32 v6, 4, v90
	v_mov_b32_e32 v7, v2
	v_lshl_add_u64 v[6:7], s[20:21], 1, v[6:7]
	v_lshl_add_u64 v[8:9], v[6:7], 0, 2
	v_mov_b64_e32 v[10:11], s[12:13]
	v_lshl_add_u64 v[12:13], v[6:7], 0, 4
	v_lshl_add_u64 v[14:15], v[6:7], 0, 6
	;; [unrolled: 1-line block ×6, first 2 shown]
	v_mad_u64_u32 v[22:23], s[4:5], s10, v8, v[10:11]
	v_mad_u64_u32 v[24:25], s[4:5], s10, v12, v[10:11]
	;; [unrolled: 1-line block ×7, first 2 shown]
	v_mov_b64_e32 v[10:11], s[14:15]
	v_mul_lo_u32 v9, s10, v9
	v_mul_lo_u32 v40, s11, v8
	v_mad_u64_u32 v[38:39], s[4:5], s10, v8, v[10:11]
	v_add3_u32 v23, v40, v23, v9
	v_mul_lo_u32 v13, s10, v13
	v_mul_lo_u32 v42, s11, v12
	v_add3_u32 v39, v40, v39, v9
	v_mad_u64_u32 v[40:41], s[4:5], s10, v12, v[10:11]
	v_add3_u32 v25, v42, v25, v13
	v_mul_lo_u32 v15, s10, v15
	v_mul_lo_u32 v44, s11, v14
	v_add3_u32 v41, v42, v41, v13
	;; [unrolled: 5-line block ×4, first 2 shown]
	v_mad_u64_u32 v[46:47], s[4:5], s10, v18, v[10:11]
	v_lshlrev_b32_e32 v20, 3, v90
	v_mov_b32_e32 v21, v2
	v_add3_u32 v33, v48, v33, v19
	v_mul_lo_u32 v27, s10, v27
	v_mul_lo_u32 v50, s11, v26
	v_add3_u32 v47, v48, v47, v19
	v_mad_u64_u32 v[48:49], s[4:5], s10, v26, v[10:11]
	v_lshl_add_u64 v[4:5], v[20:21], 0, s[20:21]
	v_add3_u32 v35, v50, v35, v27
	v_mul_lo_u32 v7, s10, v7
	v_mul_lo_u32 v8, s11, v6
	v_add3_u32 v49, v50, v49, v27
	v_mad_u64_u32 v[50:51], s[4:5], s10, v6, v[10:11]
	v_add3_u32 v37, v8, v37, v7
	v_add3_u32 v51, v8, v51, v7
	v_lshl_add_u64 v[6:7], v[4:5], 0, 7
	v_mul_lo_u32 v8, s11, v6
	v_mul_lo_u32 v9, s10, v7
	v_mad_u64_u32 v[6:7], s[4:5], s10, v6, 0
	v_add3_u32 v7, v7, v9, v8
	v_lshl_add_u64 v[8:9], v[4:5], 0, 6
	v_mul_lo_u32 v10, s11, v8
	v_mul_lo_u32 v11, s10, v9
	v_mad_u64_u32 v[8:9], s[4:5], s10, v8, 0
	;; [unrolled: 5-line block ×5, first 2 shown]
	v_add3_u32 v15, v15, v17, v16
	v_lshl_add_u64 v[16:17], v[4:5], 0, 2
	v_mul_lo_u32 v52, s10, v5
	v_mul_lo_u32 v5, s11, v16
	;; [unrolled: 1-line block ×3, first 2 shown]
	v_mad_u64_u32 v[16:17], s[4:5], s10, v16, 0
	v_add3_u32 v17, v17, v18, v5
	v_mov_b64_e32 v[18:19], s[10:11]
	v_mul_lo_u32 v3, s11, v4
	v_mad_u64_u32 v[18:19], s[4:5], s10, v4, v[18:19]
	v_mad_u64_u32 v[4:5], s[4:5], s10, v4, 0
	s_load_dword s3, s[0:1], 0x44
	v_add3_u32 v5, v5, v52, v3
	v_lshlrev_b64 v[4:5], 1, v[4:5]
	v_lshl_add_u64 v[54:55], s[12:13], 0, v[4:5]
	v_lshl_add_u64 v[56:57], s[14:15], 0, v[4:5]
	v_lshlrev_b64 v[4:5], 1, v[6:7]
	v_lshl_add_u64 v[58:59], s[12:13], 0, v[4:5]
	v_lshl_add_u64 v[60:61], s[14:15], 0, v[4:5]
	v_lshlrev_b64 v[4:5], 1, v[8:9]
	s_add_u32 s4, s0, 64
	v_lshl_add_u64 v[62:63], s[12:13], 0, v[4:5]
	v_lshl_add_u64 v[64:65], s[14:15], 0, v[4:5]
	v_lshlrev_b64 v[4:5], 1, v[10:11]
	s_addc_u32 s5, s1, 0
	s_waitcnt lgkmcnt(0)
	s_lshl_b32 s3, s3, 6
	v_lshl_add_u64 v[66:67], s[12:13], 0, v[4:5]
	v_lshl_add_u64 v[68:69], s[14:15], 0, v[4:5]
	v_lshlrev_b64 v[4:5], 1, v[12:13]
	s_mul_i32 s6, s11, s3
	s_mul_hi_u32 s7, s10, s3
	v_lshl_add_u64 v[70:71], s[12:13], 0, v[4:5]
	v_lshl_add_u64 v[72:73], s[14:15], 0, v[4:5]
	v_lshlrev_b64 v[4:5], 1, v[14:15]
	v_add3_u32 v19, v3, v19, v52
	s_add_i32 s7, s7, s6
	s_mul_i32 s6, s10, s3
	v_lshl_add_u64 v[74:75], s[12:13], 0, v[4:5]
	v_lshl_add_u64 v[76:77], s[14:15], 0, v[4:5]
	v_lshlrev_b64 v[4:5], 1, v[16:17]
	v_mbcnt_lo_u32_b32 v3, -1, 0
	v_and_b32_e32 v1, 0x3ff, v0
	s_lshl_b64 s[6:7], s[6:7], 1
	v_lshl_add_u64 v[78:79], s[12:13], 0, v[4:5]
	v_lshl_add_u64 v[80:81], s[14:15], 0, v[4:5]
	v_lshlrev_b64 v[4:5], 1, v[18:19]
	v_mbcnt_hi_u32_b32 v3, -1, v3
	v_add_u32_e32 v26, s33, v1
	v_mov_b32_e32 v27, v2
	s_add_u32 s22, s20, 63
	v_lshl_add_u64 v[82:83], s[12:13], 0, v[4:5]
	v_lshl_add_u64 v[84:85], s[14:15], 0, v[4:5]
	s_movk_i32 s12, 0xffc1
	s_movk_i32 s14, 0xffc2
	;; [unrolled: 1-line block ×8, first 2 shown]
	v_lshlrev_b32_e32 v3, 2, v3
	v_lshlrev_b64 v[52:53], 1, v[26:27]
	s_addc_u32 s23, 0, 0
	s_mov_b32 s13, -1
	s_mov_b32 s15, -1
	;; [unrolled: 1-line block ×8, first 2 shown]
	v_and_b32_e32 v91, 0x100, v3
	v_mov_b32_e32 v26, 0
	s_branch .LBB101_55
.LBB101_52:                             ;   in Loop: Header=BB101_55 Depth=1
	s_or_b64 exec, exec, s[40:41]
.LBB101_53:                             ;   in Loop: Header=BB101_55 Depth=1
	s_or_b64 exec, exec, s[38:39]
	v_lshl_add_u64 v[4:5], v[54:55], 0, v[52:53]
	global_load_ushort v7, v[4:5], off
	v_lshl_add_u64 v[4:5], v[56:57], 0, v[52:53]
	global_load_ushort v8, v[4:5], off
	;; [unrolled: 2-line block ×16, first 2 shown]
	s_waitcnt vmcnt(17)
	ds_bpermute_b32 v89, v91, v6
	ds_bpermute_b32 v93, v91, v6 offset:4
	s_waitcnt vmcnt(16)
	ds_bpermute_b32 v88, v91, v3
	ds_bpermute_b32 v95, v91, v6 offset:8
	ds_bpermute_b32 v92, v91, v3 offset:4
	;; [unrolled: 1-line block ×13, first 2 shown]
	s_waitcnt vmcnt(15)
	v_lshlrev_b32_e32 v4, 16, v7
	s_waitcnt vmcnt(14)
	v_lshlrev_b32_e32 v7, 16, v8
	;; [unrolled: 2-line block ×16, first 2 shown]
	s_waitcnt lgkmcnt(14)
	v_sub_f32_e32 v5, v7, v89
	v_sub_f32_e32 v7, v9, v93
	v_mul_f32_e32 v5, v5, v4
	s_waitcnt lgkmcnt(12)
	v_sub_f32_e32 v9, v11, v95
	v_mul_f32_e32 v7, v7, v6
	v_mul_f32_e32 v5, v5, v88
	s_waitcnt lgkmcnt(10)
	v_sub_f32_e32 v11, v13, v97
	v_mul_f32_e32 v9, v9, v8
	v_mul_f32_e32 v7, v7, v92
	v_pk_add_f32 v[4:5], v[86:87], v[4:5]
	s_waitcnt lgkmcnt(8)
	v_sub_f32_e32 v13, v15, v99
	v_mul_f32_e32 v11, v11, v10
	v_mul_f32_e32 v9, v9, v94
	v_pk_add_f32 v[4:5], v[4:5], v[6:7]
	;; [unrolled: 5-line block ×3, first 2 shown]
	s_waitcnt lgkmcnt(5)
	v_sub_f32_e32 v17, v19, v103
	v_mul_f32_e32 v15, v15, v14
	s_waitcnt lgkmcnt(3)
	v_mul_f32_e32 v13, v13, v98
	v_pk_add_f32 v[4:5], v[4:5], v[10:11]
	v_mul_f32_e32 v17, v17, v16
	s_waitcnt lgkmcnt(2)
	v_mul_f32_e32 v15, v15, v100
	v_pk_add_f32 v[4:5], v[4:5], v[12:13]
	v_sub_f32_e32 v6, v26, v104
	s_waitcnt lgkmcnt(1)
	v_mul_f32_e32 v17, v17, v102
	v_pk_add_f32 v[4:5], v[4:5], v[14:15]
	v_mul_f32_e32 v6, v6, v18
	v_pk_add_f32 v[4:5], v[4:5], v[16:17]
	s_waitcnt lgkmcnt(0)
	v_mul_f32_e32 v19, v6, v3
	v_pk_add_f32 v[26:27], v[4:5], v[18:19]
.LBB101_54:                             ;   in Loop: Header=BB101_55 Depth=1
	s_add_u32 s20, s20, s3
	s_addc_u32 s21, s21, 0
	v_mov_b64_e32 v[4:5], s[8:9]
	s_add_u32 s22, s22, s3
	v_cmp_ge_i64_e32 vcc, s[20:21], v[4:5]
	v_lshl_add_u64 v[54:55], v[54:55], 0, s[6:7]
	v_lshl_add_u64 v[56:57], v[56:57], 0, s[6:7]
	s_addc_u32 s23, s23, 0
	v_lshl_add_u64 v[22:23], v[22:23], 0, s[6:7]
	v_lshl_add_u64 v[24:25], v[24:25], 0, s[6:7]
	v_lshl_add_u64 v[28:29], v[28:29], 0, s[6:7]
	v_lshl_add_u64 v[30:31], v[30:31], 0, s[6:7]
	v_lshl_add_u64 v[32:33], v[32:33], 0, s[6:7]
	v_lshl_add_u64 v[34:35], v[34:35], 0, s[6:7]
	v_lshl_add_u64 v[36:37], v[36:37], 0, s[6:7]
	v_lshl_add_u64 v[38:39], v[38:39], 0, s[6:7]
	v_lshl_add_u64 v[40:41], v[40:41], 0, s[6:7]
	v_lshl_add_u64 v[42:43], v[42:43], 0, s[6:7]
	v_lshl_add_u64 v[44:45], v[44:45], 0, s[6:7]
	v_lshl_add_u64 v[46:47], v[46:47], 0, s[6:7]
	v_lshl_add_u64 v[48:49], v[48:49], 0, s[6:7]
	v_lshl_add_u64 v[50:51], v[50:51], 0, s[6:7]
	v_lshl_add_u64 v[58:59], v[58:59], 0, s[6:7]
	v_lshl_add_u64 v[60:61], v[60:61], 0, s[6:7]
	v_lshl_add_u64 v[62:63], v[62:63], 0, s[6:7]
	v_lshl_add_u64 v[64:65], v[64:65], 0, s[6:7]
	v_lshl_add_u64 v[66:67], v[66:67], 0, s[6:7]
	v_lshl_add_u64 v[68:69], v[68:69], 0, s[6:7]
	v_lshl_add_u64 v[70:71], v[70:71], 0, s[6:7]
	v_lshl_add_u64 v[72:73], v[72:73], 0, s[6:7]
	v_lshl_add_u64 v[74:75], v[74:75], 0, s[6:7]
	v_lshl_add_u64 v[76:77], v[76:77], 0, s[6:7]
	v_lshl_add_u64 v[78:79], v[78:79], 0, s[6:7]
	v_lshl_add_u64 v[80:81], v[80:81], 0, s[6:7]
	v_lshl_add_u64 v[82:83], v[82:83], 0, s[6:7]
	v_lshl_add_u64 v[84:85], v[84:85], 0, s[6:7]
	s_cbranch_vccnz .LBB101_81
.LBB101_55:                             ; =>This Inner Loop Header: Depth=1
	v_mov_b64_e32 v[4:5], s[8:9]
	v_cmp_ge_i64_e32 vcc, s[22:23], v[4:5]
	v_mov_b32_e32 v86, v26
	v_mov_b32_e32 v87, v27
	v_lshl_add_u64 v[88:89], v[20:21], 0, s[22:23]
	s_mov_b64 s[38:39], -1
                                        ; implicit-def: $vgpr27
	s_cbranch_vccz .LBB101_77
; %bb.56:                               ;   in Loop: Header=BB101_55 Depth=1
	s_load_dword s33, s[4:5], 0xc
	v_mov_b32_e32 v26, 0
	v_mov_b32_e32 v27, 0
	s_waitcnt lgkmcnt(0)
	s_and_b32 s33, s33, 0xffff
	v_mad_u32_u24 v3, v90, s33, v1
	v_and_b32_e32 v4, 63, v3
	v_cmp_gt_u32_e32 vcc, 8, v4
	s_and_saveexec_b64 s[38:39], vcc
	s_cbranch_execz .LBB101_60
; %bb.57:                               ;   in Loop: Header=BB101_55 Depth=1
	v_mov_b32_e32 v5, v2
	v_lshl_add_u64 v[4:5], v[88:89], 0, v[4:5]
	v_lshl_add_u64 v[4:5], v[4:5], 0, s[12:13]
	v_cmp_gt_i64_e32 vcc, s[8:9], v[4:5]
	v_mov_b32_e32 v27, 0
	v_mov_b32_e32 v26, 0
	s_and_saveexec_b64 s[40:41], vcc
	s_cbranch_execz .LBB101_59
; %bb.58:                               ;   in Loop: Header=BB101_55 Depth=1
	v_lshlrev_b64 v[4:5], 2, v[4:5]
	v_lshl_add_u64 v[6:7], s[18:19], 0, v[4:5]
	v_lshl_add_u64 v[4:5], s[16:17], 0, v[4:5]
	global_load_dword v27, v[4:5], off
	global_load_dword v26, v[6:7], off
.LBB101_59:                             ;   in Loop: Header=BB101_55 Depth=1
	s_or_b64 exec, exec, s[40:41]
.LBB101_60:                             ;   in Loop: Header=BB101_55 Depth=1
	s_or_b64 exec, exec, s[38:39]
	v_lshl_add_u64 v[4:5], v[88:89], 0, s[12:13]
	v_mov_b32_e32 v8, v2
	v_mov_b32_e32 v9, v2
	v_cmp_gt_i64_e32 vcc, s[8:9], v[4:5]
	v_mov_b32_e32 v3, v2
	v_mov_b32_e32 v4, v2
	;; [unrolled: 1-line block ×5, first 2 shown]
	v_mov_b64_e32 v[18:19], v[8:9]
	v_mov_b64_e32 v[16:17], v[6:7]
	;; [unrolled: 1-line block ×8, first 2 shown]
	s_and_saveexec_b64 s[38:39], vcc
	s_cbranch_execz .LBB101_62
; %bb.61:                               ;   in Loop: Header=BB101_55 Depth=1
	v_lshl_add_u64 v[4:5], v[54:55], 0, v[52:53]
	global_load_ushort v3, v[4:5], off
	v_lshl_add_u64 v[4:5], v[56:57], 0, v[52:53]
	global_load_ushort v12, v[4:5], off
	v_mov_b32_e32 v5, v2
	v_mov_b32_e32 v6, v2
	;; [unrolled: 1-line block ×14, first 2 shown]
	s_waitcnt vmcnt(1)
	v_lshlrev_b32_e32 v4, 16, v3
	s_waitcnt vmcnt(0)
	v_lshlrev_b32_e32 v12, 16, v12
.LBB101_62:                             ;   in Loop: Header=BB101_55 Depth=1
	s_or_b64 exec, exec, s[38:39]
	v_lshl_add_u64 v[92:93], v[88:89], 0, s[14:15]
	v_cmp_gt_i64_e32 vcc, s[8:9], v[92:93]
	s_and_saveexec_b64 s[38:39], vcc
	s_cbranch_execz .LBB101_64
; %bb.63:                               ;   in Loop: Header=BB101_55 Depth=1
	v_lshl_add_u64 v[92:93], v[82:83], 0, v[52:53]
	global_load_ushort v3, v[92:93], off
	v_lshl_add_u64 v[92:93], v[84:85], 0, v[52:53]
	global_load_ushort v13, v[92:93], off
	s_waitcnt vmcnt(1)
	v_lshlrev_b32_e32 v5, 16, v3
	s_waitcnt vmcnt(0)
	v_lshlrev_b32_e32 v13, 16, v13
.LBB101_64:                             ;   in Loop: Header=BB101_55 Depth=1
	s_or_b64 exec, exec, s[38:39]
	v_lshl_add_u64 v[92:93], v[88:89], 0, s[24:25]
	v_cmp_gt_i64_e32 vcc, s[8:9], v[92:93]
	s_and_saveexec_b64 s[38:39], vcc
	s_cbranch_execz .LBB101_66
; %bb.65:                               ;   in Loop: Header=BB101_55 Depth=1
	v_lshl_add_u64 v[92:93], v[78:79], 0, v[52:53]
	global_load_ushort v3, v[92:93], off
	v_lshl_add_u64 v[92:93], v[80:81], 0, v[52:53]
	global_load_ushort v14, v[92:93], off
	s_waitcnt vmcnt(1)
	v_lshlrev_b32_e32 v6, 16, v3
	s_waitcnt vmcnt(0)
	v_lshlrev_b32_e32 v14, 16, v14
.LBB101_66:                             ;   in Loop: Header=BB101_55 Depth=1
	;; [unrolled: 15-line block ×7, first 2 shown]
	s_or_b64 exec, exec, s[38:39]
	s_waitcnt vmcnt(1)
	ds_bpermute_b32 v3, v91, v27
	s_waitcnt vmcnt(0)
	ds_bpermute_b32 v92, v91, v26
	ds_bpermute_b32 v95, v91, v27 offset:4
	ds_bpermute_b32 v94, v91, v26 offset:4
	ds_bpermute_b32 v96, v91, v27 offset:8
	s_waitcnt lgkmcnt(4)
	v_sub_f32_e32 v3, v12, v3
	v_mul_f32_e32 v3, v4, v3
	ds_bpermute_b32 v12, v91, v26 offset:8
	s_waitcnt lgkmcnt(4)
	v_mul_f32_e32 v93, v3, v92
	s_waitcnt lgkmcnt(3)
	v_sub_f32_e32 v3, v13, v95
	v_mul_f32_e32 v3, v5, v3
	s_waitcnt lgkmcnt(2)
	v_mul_f32_e32 v13, v3, v94
	s_waitcnt lgkmcnt(1)
	v_sub_f32_e32 v3, v14, v96
	ds_bpermute_b32 v14, v91, v27 offset:12
	v_mul_f32_e32 v3, v6, v3
	s_waitcnt lgkmcnt(1)
	v_mul_f32_e32 v95, v3, v12
	ds_bpermute_b32 v3, v91, v26 offset:12
	ds_bpermute_b32 v12, v91, v27 offset:16
	ds_bpermute_b32 v92, v91, v26 offset:16
	s_waitcnt lgkmcnt(3)
	v_sub_f32_e32 v14, v15, v14
	v_mul_f32_e32 v14, v7, v14
	s_waitcnt lgkmcnt(2)
	v_mul_f32_e32 v15, v14, v3
	s_waitcnt lgkmcnt(1)
	v_sub_f32_e32 v3, v16, v12
	ds_bpermute_b32 v12, v91, v27 offset:20
	v_mul_f32_e32 v3, v8, v3
	s_waitcnt lgkmcnt(1)
	v_mul_f32_e32 v97, v3, v92
	ds_bpermute_b32 v3, v91, v26 offset:20
	ds_bpermute_b32 v14, v91, v27 offset:24
	;; [unrolled: 1-line block ×3, first 2 shown]
	s_waitcnt lgkmcnt(3)
	v_sub_f32_e32 v12, v17, v12
	v_mul_f32_e32 v12, v9, v12
	s_waitcnt lgkmcnt(2)
	v_mul_f32_e32 v17, v12, v3
	s_waitcnt lgkmcnt(1)
	v_sub_f32_e32 v3, v18, v14
	v_mul_f32_e32 v3, v10, v3
	s_waitcnt lgkmcnt(0)
	v_mul_f32_e32 v99, v3, v16
	v_mov_b32_e32 v92, v4
	ds_bpermute_b32 v3, v91, v27 offset:28
	v_pk_add_f32 v[92:93], v[86:87], v[92:93]
	v_mov_b32_e32 v12, v5
	v_pk_add_f32 v[4:5], v[12:13], v[92:93]
	v_mov_b32_e32 v94, v6
	ds_bpermute_b32 v6, v91, v26 offset:28
	v_pk_add_f32 v[4:5], v[94:95], v[4:5]
	v_mov_b32_e32 v14, v7
	v_pk_add_f32 v[4:5], v[14:15], v[4:5]
	v_mov_b32_e32 v96, v8
	;; [unrolled: 2-line block ×3, first 2 shown]
	s_waitcnt lgkmcnt(1)
	v_sub_f32_e32 v3, v19, v3
	v_pk_add_f32 v[4:5], v[16:17], v[4:5]
	v_mov_b32_e32 v98, v10
	v_mul_f32_e32 v3, v11, v3
	v_pk_add_f32 v[4:5], v[98:99], v[4:5]
	s_waitcnt lgkmcnt(0)
	v_mul_f32_e32 v7, v3, v6
	v_mov_b32_e32 v6, v11
	v_pk_add_f32 v[26:27], v[6:7], v[4:5]
	s_mov_b64 s[38:39], 0
.LBB101_77:                             ;   in Loop: Header=BB101_55 Depth=1
	s_and_b64 vcc, exec, s[38:39]
	s_cbranch_vccz .LBB101_54
; %bb.78:                               ;   in Loop: Header=BB101_55 Depth=1
	s_load_dword s33, s[4:5], 0x0
	v_mov_b32_e32 v3, 0
	v_mov_b32_e32 v6, 0
	s_waitcnt lgkmcnt(0)
	s_cmp_lt_u32 s2, s33
	s_cselect_b32 s33, 12, 18
	s_add_u32 s38, s4, s33
	s_addc_u32 s39, s5, 0
	global_load_ushort v4, v2, s[38:39]
	s_waitcnt vmcnt(0)
	v_mad_u32_u24 v4, v90, v4, v1
	v_and_b32_e32 v4, 63, v4
	v_cmp_gt_u32_e32 vcc, 8, v4
	s_and_saveexec_b64 s[38:39], vcc
	s_cbranch_execz .LBB101_53
; %bb.79:                               ;   in Loop: Header=BB101_55 Depth=1
	v_mov_b32_e32 v5, v2
	v_lshl_add_u64 v[4:5], v[88:89], 0, v[4:5]
	v_lshl_add_u64 v[4:5], v[4:5], 0, s[12:13]
	v_cmp_gt_i64_e32 vcc, s[8:9], v[4:5]
	v_mov_b32_e32 v6, 0
	v_mov_b32_e32 v3, 0
	s_and_saveexec_b64 s[40:41], vcc
	s_cbranch_execz .LBB101_52
; %bb.80:                               ;   in Loop: Header=BB101_55 Depth=1
	v_lshlrev_b64 v[4:5], 2, v[4:5]
	v_lshl_add_u64 v[8:9], s[18:19], 0, v[4:5]
	v_lshl_add_u64 v[4:5], s[16:17], 0, v[4:5]
	global_load_dword v6, v[4:5], off
	global_load_dword v3, v[8:9], off
	s_branch .LBB101_52
.LBB101_81:
	v_and_b32_e32 v1, 0x3ff, v0
	v_bfe_u32 v2, v0, 10, 10
	s_movk_i32 s3, 0x41
	v_bfe_u32 v0, v0, 6, 4
	v_mad_u32_u24 v3, v2, s3, v1
	v_add_u32_e32 v0, v0, v2
	v_lshl_add_u32 v3, v3, 2, 0
	v_cmp_gt_u32_e32 vcc, 64, v0
	ds_write_b32 v3, v27
	ds_write_b32 v3, v26 offset:2080
	s_waitcnt lgkmcnt(0)
	s_barrier
	s_and_saveexec_b64 s[4:5], vcc
	s_cbranch_execz .LBB101_145
; %bb.82:
	s_load_dwordx4 s[12:15], s[0:1], 0x30
	v_and_b32_e32 v2, 63, v1
	v_cmp_lt_u32_e64 s[6:7], 7, v2
	v_cmp_gt_u32_e64 s[4:5], 8, v2
	v_mul_u32_u24_e32 v6, 0x41, v2
                                        ; implicit-def: $vgpr2
	s_and_saveexec_b64 s[0:1], s[4:5]
	s_cbranch_execz .LBB101_84
; %bb.83:
	v_add_u32_e32 v2, v0, v6
	v_lshl_add_u32 v2, v2, 2, 0
	ds_read_b32 v3, v2
	ds_read_b32 v2, v2 offset:2080
.LBB101_84:
	s_or_b64 exec, exec, s[0:1]
	v_mbcnt_lo_u32_b32 v4, -1, 0
	v_mbcnt_hi_u32_b32 v9, -1, v4
	v_and_b32_e32 v4, 64, v9
	v_add_u32_e32 v10, 64, v4
	v_cmp_eq_u32_e64 s[0:1], 0, v1
	v_xor_b32_e32 v1, 4, v9
	v_cmp_lt_i32_e32 vcc, v1, v10
	s_mov_b32 s3, 0
	s_lshl_b64 s[2:3], s[2:3], 6
	v_cndmask_b32_e32 v1, v9, v1, vcc
	v_lshlrev_b32_e32 v7, 2, v1
	s_waitcnt lgkmcnt(0)
	ds_bpermute_b32 v5, v7, v3
	ds_bpermute_b32 v4, v7, v2
	v_xor_b32_e32 v1, 2, v9
	v_cmp_lt_i32_e32 vcc, v1, v10
	s_cmp_lg_u64 s[12:13], 0
	s_cselect_b64 s[16:17], -1, 0
	v_cndmask_b32_e32 v1, v9, v1, vcc
	v_lshlrev_b32_e32 v8, 2, v1
	s_waitcnt lgkmcnt(0)
	v_pk_add_f32 v[2:3], v[2:3], v[4:5]
	ds_bpermute_b32 v5, v8, v3
	ds_bpermute_b32 v4, v8, v2
	v_xor_b32_e32 v1, 1, v9
	v_cmp_lt_i32_e32 vcc, v1, v10
	s_cmp_lg_u64 s[14:15], 0
	s_cselect_b64 s[8:9], -1, 0
	v_cndmask_b32_e32 v1, v9, v1, vcc
	v_lshlrev_b32_e32 v9, 2, v1
	s_waitcnt lgkmcnt(0)
	v_pk_add_f32 v[2:3], v[2:3], v[4:5]
	ds_bpermute_b32 v5, v9, v3
	ds_bpermute_b32 v4, v9, v2
	v_mov_b32_e32 v1, 0
	s_waitcnt lgkmcnt(0)
	v_pk_add_f32 v[2:3], v[2:3], v[4:5]
	v_or_b32_e32 v4, s2, v0
	v_mov_b32_e32 v5, s3
	v_cmp_gt_i64_e32 vcc, s[10:11], v[4:5]
	s_and_b64 s[20:21], s[0:1], vcc
	s_and_saveexec_b64 s[18:19], s[20:21]
	s_cbranch_execz .LBB101_89
; %bb.85:
	s_andn2_b64 vcc, exec, s[16:17]
	s_cbranch_vccnz .LBB101_87
; %bb.86:
	v_bfe_u32 v10, v3, 16, 1
	s_movk_i32 s20, 0x7fff
	v_add3_u32 v10, v3, v10, s20
	v_cmp_o_f32_e32 vcc, v3, v3
	v_mov_b32_e32 v11, 0x7fc0
	s_nop 0
	v_cndmask_b32_sdwa v12, v11, v10, vcc dst_sel:DWORD dst_unused:UNUSED_PAD src0_sel:DWORD src1_sel:WORD_1
	v_lshl_add_u64 v[10:11], v[4:5], 1, s[12:13]
	global_store_short v[10:11], v12, off
.LBB101_87:
	s_andn2_b64 vcc, exec, s[8:9]
	s_cbranch_vccnz .LBB101_89
; %bb.88:
	v_bfe_u32 v10, v2, 16, 1
	s_movk_i32 s20, 0x7fff
	v_add3_u32 v10, v2, v10, s20
	v_cmp_o_f32_e32 vcc, v2, v2
	v_mov_b32_e32 v11, 0x7fc0
	v_lshl_add_u64 v[4:5], v[4:5], 1, s[14:15]
	v_cndmask_b32_sdwa v10, v11, v10, vcc dst_sel:DWORD dst_unused:UNUSED_PAD src0_sel:DWORD src1_sel:WORD_1
	global_store_short v[4:5], v10, off
.LBB101_89:
	s_or_b64 exec, exec, s[18:19]
	v_cmp_gt_u32_e32 vcc, 56, v0
	s_and_b64 exec, exec, vcc
	s_cbranch_execz .LBB101_145
; %bb.90:
	s_and_saveexec_b64 s[18:19], s[6:7]
	s_xor_b64 s[18:19], exec, s[18:19]
	s_andn2_saveexec_b64 s[18:19], s[18:19]
	s_cbranch_execz .LBB101_92
; %bb.91:
	v_add_u32_e32 v2, v0, v6
	v_lshl_add_u32 v2, v2, 2, 0
	ds_read_b32 v3, v2 offset:32
	ds_read_b32 v2, v2 offset:2112
.LBB101_92:
	s_or_b64 exec, exec, s[18:19]
	s_waitcnt lgkmcnt(1)
	ds_bpermute_b32 v5, v7, v3
	s_waitcnt lgkmcnt(1)
	ds_bpermute_b32 v4, v7, v2
	v_add_u32_e32 v10, 8, v0
	v_mov_b32_e32 v11, 0
	v_lshl_add_u64 v[10:11], s[2:3], 0, v[10:11]
	v_cmp_gt_i64_e32 vcc, s[10:11], v[10:11]
	s_waitcnt lgkmcnt(0)
	v_pk_add_f32 v[2:3], v[2:3], v[4:5]
	ds_bpermute_b32 v5, v8, v3
	ds_bpermute_b32 v4, v8, v2
	s_and_b64 s[20:21], s[0:1], vcc
	s_waitcnt lgkmcnt(0)
	v_pk_add_f32 v[2:3], v[2:3], v[4:5]
	ds_bpermute_b32 v5, v9, v3
	ds_bpermute_b32 v4, v9, v2
	s_waitcnt lgkmcnt(0)
	v_pk_add_f32 v[2:3], v[2:3], v[4:5]
	s_and_saveexec_b64 s[18:19], s[20:21]
	s_cbranch_execz .LBB101_97
; %bb.93:
	s_andn2_b64 vcc, exec, s[16:17]
	s_cbranch_vccnz .LBB101_95
; %bb.94:
	v_bfe_u32 v4, v3, 16, 1
	s_movk_i32 s20, 0x7fff
	v_add3_u32 v4, v3, v4, s20
	v_cmp_o_f32_e32 vcc, v3, v3
	v_mov_b32_e32 v5, 0x7fc0
	s_nop 0
	v_cndmask_b32_sdwa v10, v5, v4, vcc dst_sel:DWORD dst_unused:UNUSED_PAD src0_sel:DWORD src1_sel:WORD_1
	v_lshl_add_u64 v[4:5], s[2:3], 0, v[0:1]
	v_lshl_add_u64 v[4:5], v[4:5], 1, s[12:13]
	global_store_short v[4:5], v10, off offset:16
.LBB101_95:
	s_andn2_b64 vcc, exec, s[8:9]
	s_cbranch_vccnz .LBB101_97
; %bb.96:
	v_bfe_u32 v4, v2, 16, 1
	s_movk_i32 s20, 0x7fff
	v_add3_u32 v4, v2, v4, s20
	v_cmp_o_f32_e32 vcc, v2, v2
	v_mov_b32_e32 v5, 0x7fc0
	s_nop 0
	v_cndmask_b32_sdwa v10, v5, v4, vcc dst_sel:DWORD dst_unused:UNUSED_PAD src0_sel:DWORD src1_sel:WORD_1
	v_lshl_add_u64 v[4:5], s[2:3], 0, v[0:1]
	v_lshl_add_u64 v[4:5], v[4:5], 1, s[14:15]
	global_store_short v[4:5], v10, off offset:16
.LBB101_97:
	s_or_b64 exec, exec, s[18:19]
	v_cmp_gt_u32_e32 vcc, 48, v0
	s_and_b64 exec, exec, vcc
	s_cbranch_execz .LBB101_145
; %bb.98:
	s_and_saveexec_b64 s[18:19], s[6:7]
	s_xor_b64 s[18:19], exec, s[18:19]
	s_andn2_saveexec_b64 s[18:19], s[18:19]
	s_cbranch_execz .LBB101_100
; %bb.99:
	v_add_u32_e32 v2, v0, v6
	v_lshl_add_u32 v2, v2, 2, 0
	ds_read_b32 v3, v2 offset:64
	ds_read_b32 v2, v2 offset:2144
.LBB101_100:
	s_or_b64 exec, exec, s[18:19]
	s_waitcnt lgkmcnt(1)
	ds_bpermute_b32 v5, v7, v3
	s_waitcnt lgkmcnt(1)
	ds_bpermute_b32 v4, v7, v2
	v_add_u32_e32 v10, 16, v0
	v_mov_b32_e32 v11, 0
	v_lshl_add_u64 v[10:11], s[2:3], 0, v[10:11]
	v_cmp_gt_i64_e32 vcc, s[10:11], v[10:11]
	s_waitcnt lgkmcnt(0)
	v_pk_add_f32 v[2:3], v[2:3], v[4:5]
	ds_bpermute_b32 v5, v8, v3
	ds_bpermute_b32 v4, v8, v2
	s_and_b64 s[20:21], s[0:1], vcc
	s_waitcnt lgkmcnt(0)
	v_pk_add_f32 v[2:3], v[2:3], v[4:5]
	ds_bpermute_b32 v5, v9, v3
	ds_bpermute_b32 v4, v9, v2
	s_waitcnt lgkmcnt(0)
	v_pk_add_f32 v[2:3], v[2:3], v[4:5]
	s_and_saveexec_b64 s[18:19], s[20:21]
	s_cbranch_execz .LBB101_105
; %bb.101:
	s_andn2_b64 vcc, exec, s[16:17]
	s_cbranch_vccnz .LBB101_103
; %bb.102:
	v_bfe_u32 v4, v3, 16, 1
	s_movk_i32 s20, 0x7fff
	v_add3_u32 v4, v3, v4, s20
	v_cmp_o_f32_e32 vcc, v3, v3
	v_mov_b32_e32 v5, 0x7fc0
	s_nop 0
	v_cndmask_b32_sdwa v10, v5, v4, vcc dst_sel:DWORD dst_unused:UNUSED_PAD src0_sel:DWORD src1_sel:WORD_1
	v_lshl_add_u64 v[4:5], s[2:3], 0, v[0:1]
	v_lshl_add_u64 v[4:5], v[4:5], 1, s[12:13]
	global_store_short v[4:5], v10, off offset:32
.LBB101_103:
	s_andn2_b64 vcc, exec, s[8:9]
	s_cbranch_vccnz .LBB101_105
; %bb.104:
	v_bfe_u32 v4, v2, 16, 1
	s_movk_i32 s20, 0x7fff
	v_add3_u32 v4, v2, v4, s20
	v_cmp_o_f32_e32 vcc, v2, v2
	v_mov_b32_e32 v5, 0x7fc0
	s_nop 0
	v_cndmask_b32_sdwa v10, v5, v4, vcc dst_sel:DWORD dst_unused:UNUSED_PAD src0_sel:DWORD src1_sel:WORD_1
	v_lshl_add_u64 v[4:5], s[2:3], 0, v[0:1]
	v_lshl_add_u64 v[4:5], v[4:5], 1, s[14:15]
	global_store_short v[4:5], v10, off offset:32
.LBB101_105:
	s_or_b64 exec, exec, s[18:19]
	v_cmp_gt_u32_e32 vcc, 40, v0
	s_and_b64 exec, exec, vcc
	s_cbranch_execz .LBB101_145
; %bb.106:
	s_and_saveexec_b64 s[18:19], s[6:7]
	s_xor_b64 s[18:19], exec, s[18:19]
	s_andn2_saveexec_b64 s[18:19], s[18:19]
	s_cbranch_execz .LBB101_108
; %bb.107:
	v_add_u32_e32 v2, v0, v6
	v_lshl_add_u32 v2, v2, 2, 0
	ds_read_b32 v3, v2 offset:96
	ds_read_b32 v2, v2 offset:2176
.LBB101_108:
	s_or_b64 exec, exec, s[18:19]
	s_waitcnt lgkmcnt(1)
	ds_bpermute_b32 v5, v7, v3
	s_waitcnt lgkmcnt(1)
	ds_bpermute_b32 v4, v7, v2
	v_add_u32_e32 v10, 24, v0
	v_mov_b32_e32 v11, 0
	v_lshl_add_u64 v[10:11], s[2:3], 0, v[10:11]
	v_cmp_gt_i64_e32 vcc, s[10:11], v[10:11]
	s_waitcnt lgkmcnt(0)
	v_pk_add_f32 v[2:3], v[2:3], v[4:5]
	ds_bpermute_b32 v5, v8, v3
	ds_bpermute_b32 v4, v8, v2
	s_and_b64 s[20:21], s[0:1], vcc
	s_waitcnt lgkmcnt(0)
	v_pk_add_f32 v[2:3], v[2:3], v[4:5]
	ds_bpermute_b32 v5, v9, v3
	ds_bpermute_b32 v4, v9, v2
	s_waitcnt lgkmcnt(0)
	v_pk_add_f32 v[2:3], v[2:3], v[4:5]
	s_and_saveexec_b64 s[18:19], s[20:21]
	s_cbranch_execz .LBB101_113
; %bb.109:
	s_andn2_b64 vcc, exec, s[16:17]
	s_cbranch_vccnz .LBB101_111
; %bb.110:
	v_bfe_u32 v4, v3, 16, 1
	s_movk_i32 s20, 0x7fff
	v_add3_u32 v4, v3, v4, s20
	v_cmp_o_f32_e32 vcc, v3, v3
	v_mov_b32_e32 v5, 0x7fc0
	s_nop 0
	v_cndmask_b32_sdwa v10, v5, v4, vcc dst_sel:DWORD dst_unused:UNUSED_PAD src0_sel:DWORD src1_sel:WORD_1
	v_lshl_add_u64 v[4:5], s[2:3], 0, v[0:1]
	v_lshl_add_u64 v[4:5], v[4:5], 1, s[12:13]
	global_store_short v[4:5], v10, off offset:48
.LBB101_111:
	s_andn2_b64 vcc, exec, s[8:9]
	s_cbranch_vccnz .LBB101_113
; %bb.112:
	v_bfe_u32 v4, v2, 16, 1
	s_movk_i32 s20, 0x7fff
	v_add3_u32 v4, v2, v4, s20
	v_cmp_o_f32_e32 vcc, v2, v2
	v_mov_b32_e32 v5, 0x7fc0
	s_nop 0
	v_cndmask_b32_sdwa v10, v5, v4, vcc dst_sel:DWORD dst_unused:UNUSED_PAD src0_sel:DWORD src1_sel:WORD_1
	v_lshl_add_u64 v[4:5], s[2:3], 0, v[0:1]
	v_lshl_add_u64 v[4:5], v[4:5], 1, s[14:15]
	global_store_short v[4:5], v10, off offset:48
.LBB101_113:
	s_or_b64 exec, exec, s[18:19]
	v_cmp_gt_u32_e32 vcc, 32, v0
	s_and_b64 exec, exec, vcc
	s_cbranch_execz .LBB101_145
; %bb.114:
	s_and_saveexec_b64 s[18:19], s[6:7]
	s_xor_b64 s[18:19], exec, s[18:19]
	s_andn2_saveexec_b64 s[18:19], s[18:19]
	s_cbranch_execz .LBB101_116
; %bb.115:
	v_add_u32_e32 v2, v0, v6
	v_lshl_add_u32 v2, v2, 2, 0
	ds_read_b32 v3, v2 offset:128
	ds_read_b32 v2, v2 offset:2208
.LBB101_116:
	s_or_b64 exec, exec, s[18:19]
	s_waitcnt lgkmcnt(1)
	ds_bpermute_b32 v5, v7, v3
	s_waitcnt lgkmcnt(1)
	ds_bpermute_b32 v4, v7, v2
	v_add_u32_e32 v10, 32, v0
	v_mov_b32_e32 v11, s3
	v_or_b32_e32 v10, s2, v10
	v_cmp_gt_i64_e32 vcc, s[10:11], v[10:11]
	s_waitcnt lgkmcnt(0)
	v_pk_add_f32 v[2:3], v[2:3], v[4:5]
	ds_bpermute_b32 v5, v8, v3
	ds_bpermute_b32 v4, v8, v2
	s_and_b64 s[20:21], s[0:1], vcc
	s_waitcnt lgkmcnt(0)
	v_pk_add_f32 v[2:3], v[2:3], v[4:5]
	ds_bpermute_b32 v5, v9, v3
	ds_bpermute_b32 v4, v9, v2
	s_waitcnt lgkmcnt(0)
	v_pk_add_f32 v[2:3], v[2:3], v[4:5]
	s_and_saveexec_b64 s[18:19], s[20:21]
	s_cbranch_execz .LBB101_121
; %bb.117:
	s_andn2_b64 vcc, exec, s[16:17]
	s_cbranch_vccnz .LBB101_119
; %bb.118:
	v_bfe_u32 v4, v3, 16, 1
	s_movk_i32 s20, 0x7fff
	v_add3_u32 v4, v3, v4, s20
	v_cmp_o_f32_e32 vcc, v3, v3
	v_mov_b32_e32 v5, 0x7fc0
	s_nop 0
	v_cndmask_b32_sdwa v10, v5, v4, vcc dst_sel:DWORD dst_unused:UNUSED_PAD src0_sel:DWORD src1_sel:WORD_1
	v_lshl_add_u64 v[4:5], s[2:3], 0, v[0:1]
	v_lshl_add_u64 v[4:5], v[4:5], 1, s[12:13]
	global_store_short v[4:5], v10, off offset:64
.LBB101_119:
	s_andn2_b64 vcc, exec, s[8:9]
	s_cbranch_vccnz .LBB101_121
; %bb.120:
	v_bfe_u32 v4, v2, 16, 1
	s_movk_i32 s20, 0x7fff
	v_add3_u32 v4, v2, v4, s20
	v_cmp_o_f32_e32 vcc, v2, v2
	v_mov_b32_e32 v5, 0x7fc0
	s_nop 0
	v_cndmask_b32_sdwa v10, v5, v4, vcc dst_sel:DWORD dst_unused:UNUSED_PAD src0_sel:DWORD src1_sel:WORD_1
	v_lshl_add_u64 v[4:5], s[2:3], 0, v[0:1]
	v_lshl_add_u64 v[4:5], v[4:5], 1, s[14:15]
	global_store_short v[4:5], v10, off offset:64
.LBB101_121:
	s_or_b64 exec, exec, s[18:19]
	v_cmp_gt_u32_e32 vcc, 24, v0
	s_and_b64 exec, exec, vcc
	s_cbranch_execz .LBB101_145
; %bb.122:
	s_and_saveexec_b64 s[18:19], s[6:7]
	s_xor_b64 s[18:19], exec, s[18:19]
	s_andn2_saveexec_b64 s[18:19], s[18:19]
	s_cbranch_execz .LBB101_124
; %bb.123:
	v_add_u32_e32 v2, v0, v6
	v_lshl_add_u32 v2, v2, 2, 0
	ds_read_b32 v3, v2 offset:160
	ds_read_b32 v2, v2 offset:2240
.LBB101_124:
	s_or_b64 exec, exec, s[18:19]
	s_waitcnt lgkmcnt(1)
	ds_bpermute_b32 v5, v7, v3
	s_waitcnt lgkmcnt(1)
	ds_bpermute_b32 v4, v7, v2
	v_add_u32_e32 v10, 40, v0
	v_mov_b32_e32 v11, 0
	v_lshl_add_u64 v[10:11], s[2:3], 0, v[10:11]
	v_cmp_gt_i64_e32 vcc, s[10:11], v[10:11]
	s_waitcnt lgkmcnt(0)
	v_pk_add_f32 v[2:3], v[2:3], v[4:5]
	ds_bpermute_b32 v5, v8, v3
	ds_bpermute_b32 v4, v8, v2
	s_and_b64 s[20:21], s[0:1], vcc
	s_waitcnt lgkmcnt(0)
	v_pk_add_f32 v[2:3], v[2:3], v[4:5]
	ds_bpermute_b32 v5, v9, v3
	ds_bpermute_b32 v4, v9, v2
	s_waitcnt lgkmcnt(0)
	v_pk_add_f32 v[2:3], v[2:3], v[4:5]
	s_and_saveexec_b64 s[18:19], s[20:21]
	s_cbranch_execz .LBB101_129
; %bb.125:
	s_andn2_b64 vcc, exec, s[16:17]
	s_cbranch_vccnz .LBB101_127
; %bb.126:
	v_bfe_u32 v4, v3, 16, 1
	s_movk_i32 s20, 0x7fff
	v_add3_u32 v4, v3, v4, s20
	v_cmp_o_f32_e32 vcc, v3, v3
	v_mov_b32_e32 v5, 0x7fc0
	s_nop 0
	v_cndmask_b32_sdwa v10, v5, v4, vcc dst_sel:DWORD dst_unused:UNUSED_PAD src0_sel:DWORD src1_sel:WORD_1
	v_lshl_add_u64 v[4:5], s[2:3], 0, v[0:1]
	v_lshl_add_u64 v[4:5], v[4:5], 1, s[12:13]
	global_store_short v[4:5], v10, off offset:80
.LBB101_127:
	s_andn2_b64 vcc, exec, s[8:9]
	s_cbranch_vccnz .LBB101_129
; %bb.128:
	v_bfe_u32 v4, v2, 16, 1
	s_movk_i32 s20, 0x7fff
	v_add3_u32 v4, v2, v4, s20
	v_cmp_o_f32_e32 vcc, v2, v2
	v_mov_b32_e32 v5, 0x7fc0
	s_nop 0
	v_cndmask_b32_sdwa v10, v5, v4, vcc dst_sel:DWORD dst_unused:UNUSED_PAD src0_sel:DWORD src1_sel:WORD_1
	v_lshl_add_u64 v[4:5], s[2:3], 0, v[0:1]
	v_lshl_add_u64 v[4:5], v[4:5], 1, s[14:15]
	global_store_short v[4:5], v10, off offset:80
.LBB101_129:
	s_or_b64 exec, exec, s[18:19]
	v_cmp_gt_u32_e32 vcc, 16, v0
	s_and_b64 exec, exec, vcc
	s_cbranch_execz .LBB101_145
; %bb.130:
	s_and_saveexec_b64 s[18:19], s[6:7]
	s_xor_b64 s[6:7], exec, s[18:19]
	s_andn2_saveexec_b64 s[6:7], s[6:7]
	s_cbranch_execz .LBB101_132
; %bb.131:
	v_add_u32_e32 v2, v0, v6
	v_lshl_add_u32 v2, v2, 2, 0
	ds_read_b32 v3, v2 offset:192
	ds_read_b32 v2, v2 offset:2272
.LBB101_132:
	s_or_b64 exec, exec, s[6:7]
	s_waitcnt lgkmcnt(1)
	ds_bpermute_b32 v5, v7, v3
	s_waitcnt lgkmcnt(1)
	ds_bpermute_b32 v4, v7, v2
	v_add_u32_e32 v10, 48, v0
	v_mov_b32_e32 v11, s3
	v_or_b32_e32 v10, s2, v10
	v_cmp_gt_i64_e32 vcc, s[10:11], v[10:11]
	s_waitcnt lgkmcnt(0)
	v_pk_add_f32 v[2:3], v[2:3], v[4:5]
	ds_bpermute_b32 v5, v8, v3
	ds_bpermute_b32 v4, v8, v2
	s_and_b64 s[18:19], s[0:1], vcc
	s_waitcnt lgkmcnt(0)
	v_pk_add_f32 v[2:3], v[2:3], v[4:5]
	ds_bpermute_b32 v5, v9, v3
	ds_bpermute_b32 v4, v9, v2
	s_waitcnt lgkmcnt(0)
	v_pk_add_f32 v[2:3], v[2:3], v[4:5]
	s_and_saveexec_b64 s[6:7], s[18:19]
	s_cbranch_execz .LBB101_137
; %bb.133:
	s_andn2_b64 vcc, exec, s[16:17]
	s_cbranch_vccnz .LBB101_135
; %bb.134:
	v_bfe_u32 v4, v3, 16, 1
	s_movk_i32 s18, 0x7fff
	v_add3_u32 v4, v3, v4, s18
	v_cmp_o_f32_e32 vcc, v3, v3
	v_mov_b32_e32 v5, 0x7fc0
	s_nop 0
	v_cndmask_b32_sdwa v10, v5, v4, vcc dst_sel:DWORD dst_unused:UNUSED_PAD src0_sel:DWORD src1_sel:WORD_1
	v_lshl_add_u64 v[4:5], s[2:3], 0, v[0:1]
	v_lshl_add_u64 v[4:5], v[4:5], 1, s[12:13]
	global_store_short v[4:5], v10, off offset:96
.LBB101_135:
	s_andn2_b64 vcc, exec, s[8:9]
	s_cbranch_vccnz .LBB101_137
; %bb.136:
	v_bfe_u32 v4, v2, 16, 1
	s_movk_i32 s18, 0x7fff
	v_add3_u32 v4, v2, v4, s18
	v_cmp_o_f32_e32 vcc, v2, v2
	v_mov_b32_e32 v5, 0x7fc0
	s_nop 0
	v_cndmask_b32_sdwa v10, v5, v4, vcc dst_sel:DWORD dst_unused:UNUSED_PAD src0_sel:DWORD src1_sel:WORD_1
	v_lshl_add_u64 v[4:5], s[2:3], 0, v[0:1]
	v_lshl_add_u64 v[4:5], v[4:5], 1, s[14:15]
	global_store_short v[4:5], v10, off offset:96
.LBB101_137:
	s_or_b64 exec, exec, s[6:7]
	v_cmp_gt_u32_e32 vcc, 8, v0
	s_and_b64 exec, exec, vcc
	s_cbranch_execz .LBB101_145
; %bb.138:
	s_and_saveexec_b64 s[6:7], s[4:5]
	s_cbranch_execz .LBB101_140
; %bb.139:
	v_add_u32_e32 v2, v0, v6
	v_lshl_add_u32 v2, v2, 2, 0
	ds_read_b32 v3, v2 offset:224
	ds_read_b32 v2, v2 offset:2304
.LBB101_140:
	s_or_b64 exec, exec, s[6:7]
	s_waitcnt lgkmcnt(1)
	ds_bpermute_b32 v4, v7, v3
	s_waitcnt lgkmcnt(1)
	ds_bpermute_b32 v5, v7, v2
	v_add_u32_e32 v6, 56, v0
	v_or_b32_e32 v6, s2, v6
	v_mov_b32_e32 v7, s3
	s_waitcnt lgkmcnt(1)
	v_add_f32_e32 v3, v3, v4
	s_waitcnt lgkmcnt(0)
	v_add_f32_e32 v2, v2, v5
	ds_bpermute_b32 v4, v8, v3
	ds_bpermute_b32 v5, v8, v2
	v_cmp_gt_i64_e32 vcc, s[10:11], v[6:7]
	s_and_b64 s[0:1], s[0:1], vcc
	s_waitcnt lgkmcnt(1)
	v_add_f32_e32 v4, v3, v4
	s_waitcnt lgkmcnt(0)
	v_add_f32_e32 v2, v2, v5
	ds_bpermute_b32 v5, v9, v4
	ds_bpermute_b32 v3, v9, v2
	s_and_b64 exec, exec, s[0:1]
	s_cbranch_execz .LBB101_145
; %bb.141:
	s_andn2_b64 vcc, exec, s[16:17]
	v_lshl_add_u64 v[0:1], s[2:3], 0, v[0:1]
	s_cbranch_vccnz .LBB101_143
; %bb.142:
	s_waitcnt lgkmcnt(1)
	v_add_f32_e32 v4, v4, v5
	v_bfe_u32 v5, v4, 16, 1
	s_movk_i32 s0, 0x7fff
	v_add3_u32 v5, v4, v5, s0
	v_cmp_o_f32_e32 vcc, v4, v4
	v_mov_b32_e32 v4, 0x7fc0
	s_nop 0
	v_cndmask_b32_sdwa v6, v4, v5, vcc dst_sel:DWORD dst_unused:UNUSED_PAD src0_sel:DWORD src1_sel:WORD_1
	v_lshl_add_u64 v[4:5], v[0:1], 1, s[12:13]
	global_store_short v[4:5], v6, off offset:112
.LBB101_143:
	s_andn2_b64 vcc, exec, s[8:9]
	s_cbranch_vccnz .LBB101_145
; %bb.144:
	s_waitcnt lgkmcnt(0)
	v_add_f32_e32 v2, v2, v3
	v_bfe_u32 v3, v2, 16, 1
	s_movk_i32 s0, 0x7fff
	v_add3_u32 v3, v2, v3, s0
	v_cmp_o_f32_e32 vcc, v2, v2
	v_mov_b32_e32 v2, 0x7fc0
	v_lshl_add_u64 v[0:1], v[0:1], 1, s[14:15]
	v_cndmask_b32_sdwa v2, v2, v3, vcc dst_sel:DWORD dst_unused:UNUSED_PAD src0_sel:DWORD src1_sel:WORD_1
	global_store_short v[0:1], v2, off offset:112
.LBB101_145:
	s_endpgm
	.section	.rodata,"a",@progbits
	.p2align	6, 0x0
	.amdhsa_kernel _ZN2at6native12_GLOBAL__N_135GammaBetaBackwardCUDAKernelTemplateIN3c108BFloat16EfLj64ELj8ELj64ELb0ELb0ELb0EEEvllPKT_S7_PKT0_SA_PS5_SB_
		.amdhsa_group_segment_fixed_size 0
		.amdhsa_private_segment_fixed_size 0
		.amdhsa_kernarg_size 320
		.amdhsa_user_sgpr_count 2
		.amdhsa_user_sgpr_dispatch_ptr 0
		.amdhsa_user_sgpr_queue_ptr 0
		.amdhsa_user_sgpr_kernarg_segment_ptr 1
		.amdhsa_user_sgpr_dispatch_id 0
		.amdhsa_user_sgpr_kernarg_preload_length 0
		.amdhsa_user_sgpr_kernarg_preload_offset 0
		.amdhsa_user_sgpr_private_segment_size 0
		.amdhsa_uses_dynamic_stack 0
		.amdhsa_enable_private_segment 0
		.amdhsa_system_sgpr_workgroup_id_x 1
		.amdhsa_system_sgpr_workgroup_id_y 1
		.amdhsa_system_sgpr_workgroup_id_z 0
		.amdhsa_system_sgpr_workgroup_info 0
		.amdhsa_system_vgpr_workitem_id 1
		.amdhsa_next_free_vgpr 105
		.amdhsa_next_free_sgpr 52
		.amdhsa_accum_offset 108
		.amdhsa_reserve_vcc 1
		.amdhsa_float_round_mode_32 0
		.amdhsa_float_round_mode_16_64 0
		.amdhsa_float_denorm_mode_32 3
		.amdhsa_float_denorm_mode_16_64 3
		.amdhsa_dx10_clamp 1
		.amdhsa_ieee_mode 1
		.amdhsa_fp16_overflow 0
		.amdhsa_tg_split 0
		.amdhsa_exception_fp_ieee_invalid_op 0
		.amdhsa_exception_fp_denorm_src 0
		.amdhsa_exception_fp_ieee_div_zero 0
		.amdhsa_exception_fp_ieee_overflow 0
		.amdhsa_exception_fp_ieee_underflow 0
		.amdhsa_exception_fp_ieee_inexact 0
		.amdhsa_exception_int_div_zero 0
	.end_amdhsa_kernel
	.section	.text._ZN2at6native12_GLOBAL__N_135GammaBetaBackwardCUDAKernelTemplateIN3c108BFloat16EfLj64ELj8ELj64ELb0ELb0ELb0EEEvllPKT_S7_PKT0_SA_PS5_SB_,"axG",@progbits,_ZN2at6native12_GLOBAL__N_135GammaBetaBackwardCUDAKernelTemplateIN3c108BFloat16EfLj64ELj8ELj64ELb0ELb0ELb0EEEvllPKT_S7_PKT0_SA_PS5_SB_,comdat
.Lfunc_end101:
	.size	_ZN2at6native12_GLOBAL__N_135GammaBetaBackwardCUDAKernelTemplateIN3c108BFloat16EfLj64ELj8ELj64ELb0ELb0ELb0EEEvllPKT_S7_PKT0_SA_PS5_SB_, .Lfunc_end101-_ZN2at6native12_GLOBAL__N_135GammaBetaBackwardCUDAKernelTemplateIN3c108BFloat16EfLj64ELj8ELj64ELb0ELb0ELb0EEEvllPKT_S7_PKT0_SA_PS5_SB_
                                        ; -- End function
	.set _ZN2at6native12_GLOBAL__N_135GammaBetaBackwardCUDAKernelTemplateIN3c108BFloat16EfLj64ELj8ELj64ELb0ELb0ELb0EEEvllPKT_S7_PKT0_SA_PS5_SB_.num_vgpr, 105
	.set _ZN2at6native12_GLOBAL__N_135GammaBetaBackwardCUDAKernelTemplateIN3c108BFloat16EfLj64ELj8ELj64ELb0ELb0ELb0EEEvllPKT_S7_PKT0_SA_PS5_SB_.num_agpr, 0
	.set _ZN2at6native12_GLOBAL__N_135GammaBetaBackwardCUDAKernelTemplateIN3c108BFloat16EfLj64ELj8ELj64ELb0ELb0ELb0EEEvllPKT_S7_PKT0_SA_PS5_SB_.numbered_sgpr, 52
	.set _ZN2at6native12_GLOBAL__N_135GammaBetaBackwardCUDAKernelTemplateIN3c108BFloat16EfLj64ELj8ELj64ELb0ELb0ELb0EEEvllPKT_S7_PKT0_SA_PS5_SB_.num_named_barrier, 0
	.set _ZN2at6native12_GLOBAL__N_135GammaBetaBackwardCUDAKernelTemplateIN3c108BFloat16EfLj64ELj8ELj64ELb0ELb0ELb0EEEvllPKT_S7_PKT0_SA_PS5_SB_.private_seg_size, 0
	.set _ZN2at6native12_GLOBAL__N_135GammaBetaBackwardCUDAKernelTemplateIN3c108BFloat16EfLj64ELj8ELj64ELb0ELb0ELb0EEEvllPKT_S7_PKT0_SA_PS5_SB_.uses_vcc, 1
	.set _ZN2at6native12_GLOBAL__N_135GammaBetaBackwardCUDAKernelTemplateIN3c108BFloat16EfLj64ELj8ELj64ELb0ELb0ELb0EEEvllPKT_S7_PKT0_SA_PS5_SB_.uses_flat_scratch, 0
	.set _ZN2at6native12_GLOBAL__N_135GammaBetaBackwardCUDAKernelTemplateIN3c108BFloat16EfLj64ELj8ELj64ELb0ELb0ELb0EEEvllPKT_S7_PKT0_SA_PS5_SB_.has_dyn_sized_stack, 0
	.set _ZN2at6native12_GLOBAL__N_135GammaBetaBackwardCUDAKernelTemplateIN3c108BFloat16EfLj64ELj8ELj64ELb0ELb0ELb0EEEvllPKT_S7_PKT0_SA_PS5_SB_.has_recursion, 0
	.set _ZN2at6native12_GLOBAL__N_135GammaBetaBackwardCUDAKernelTemplateIN3c108BFloat16EfLj64ELj8ELj64ELb0ELb0ELb0EEEvllPKT_S7_PKT0_SA_PS5_SB_.has_indirect_call, 0
	.section	.AMDGPU.csdata,"",@progbits
; Kernel info:
; codeLenInByte = 9880
; TotalNumSgprs: 58
; NumVgprs: 105
; NumAgprs: 0
; TotalNumVgprs: 105
; ScratchSize: 0
; MemoryBound: 0
; FloatMode: 240
; IeeeMode: 1
; LDSByteSize: 0 bytes/workgroup (compile time only)
; SGPRBlocks: 7
; VGPRBlocks: 13
; NumSGPRsForWavesPerEU: 58
; NumVGPRsForWavesPerEU: 105
; AccumOffset: 108
; Occupancy: 4
; WaveLimiterHint : 0
; COMPUTE_PGM_RSRC2:SCRATCH_EN: 0
; COMPUTE_PGM_RSRC2:USER_SGPR: 2
; COMPUTE_PGM_RSRC2:TRAP_HANDLER: 0
; COMPUTE_PGM_RSRC2:TGID_X_EN: 1
; COMPUTE_PGM_RSRC2:TGID_Y_EN: 1
; COMPUTE_PGM_RSRC2:TGID_Z_EN: 0
; COMPUTE_PGM_RSRC2:TIDIG_COMP_CNT: 1
; COMPUTE_PGM_RSRC3_GFX90A:ACCUM_OFFSET: 26
; COMPUTE_PGM_RSRC3_GFX90A:TG_SPLIT: 0
	.section	.text._ZN2at6native12_GLOBAL__N_135GammaBetaBackwardCUDAKernelTemplateIN3c108BFloat16EfLj64ELj16ELj128ELb0ELb1ELb0EEEvllPKT_S7_PKT0_SA_PS5_SB_,"axG",@progbits,_ZN2at6native12_GLOBAL__N_135GammaBetaBackwardCUDAKernelTemplateIN3c108BFloat16EfLj64ELj16ELj128ELb0ELb1ELb0EEEvllPKT_S7_PKT0_SA_PS5_SB_,comdat
	.globl	_ZN2at6native12_GLOBAL__N_135GammaBetaBackwardCUDAKernelTemplateIN3c108BFloat16EfLj64ELj16ELj128ELb0ELb1ELb0EEEvllPKT_S7_PKT0_SA_PS5_SB_ ; -- Begin function _ZN2at6native12_GLOBAL__N_135GammaBetaBackwardCUDAKernelTemplateIN3c108BFloat16EfLj64ELj16ELj128ELb0ELb1ELb0EEEvllPKT_S7_PKT0_SA_PS5_SB_
	.p2align	8
	.type	_ZN2at6native12_GLOBAL__N_135GammaBetaBackwardCUDAKernelTemplateIN3c108BFloat16EfLj64ELj16ELj128ELb0ELb1ELb0EEEvllPKT_S7_PKT0_SA_PS5_SB_,@function
_ZN2at6native12_GLOBAL__N_135GammaBetaBackwardCUDAKernelTemplateIN3c108BFloat16EfLj64ELj16ELj128ELb0ELb1ELb0EEEvllPKT_S7_PKT0_SA_PS5_SB_: ; @_ZN2at6native12_GLOBAL__N_135GammaBetaBackwardCUDAKernelTemplateIN3c108BFloat16EfLj64ELj16ELj128ELb0ELb1ELb0EEEvllPKT_S7_PKT0_SA_PS5_SB_
; %bb.0:
	s_load_dwordx4 s[16:19], s[0:1], 0x0
	s_lshl_b32 s20, s3, 7
	s_mov_b32 s21, 0
	v_mov_b64_e32 v[2:3], s[20:21]
	v_bfe_u32 v12, v0, 10, 10
	s_waitcnt lgkmcnt(0)
	v_cmp_gt_i64_e32 vcc, s[16:17], v[2:3]
	s_cbranch_vccnz .LBB102_2
; %bb.1:
	s_mov_b64 s[4:5], 0
	v_bfe_u32 v2, v0, 10, 10
	s_branch .LBB102_3
.LBB102_2:
	s_mov_b64 s[4:5], -1
                                        ; implicit-def: $vgpr2
.LBB102_3:
	s_load_dwordx4 s[12:15], s[0:1], 0x30
	v_mov_b32_e32 v1, 0
	v_and_b32_e32 v10, 0x3ff, v0
	s_andn2_b64 vcc, exec, s[4:5]
	v_mbcnt_lo_u32_b32 v11, -1, 0
	v_mov_b32_e32 v0, v1
	s_cbranch_vccnz .LBB102_11
; %bb.4:
	s_load_dword s3, s[0:1], 0x4c
	s_load_dword s22, s[0:1], 0x44
	s_load_dwordx8 s[4:11], s[0:1], 0x10
	v_lshlrev_b32_e32 v0, 3, v12
	v_mbcnt_hi_u32_b32 v4, -1, v11
	s_waitcnt lgkmcnt(0)
	s_and_b32 s0, s3, 0xffff
	v_mad_u32_u24 v1, v12, s0, v10
	v_and_b32_e32 v2, 63, v1
	v_mov_b32_e32 v1, 0
	v_mov_b32_e32 v3, v1
	v_lshl_add_u64 v[8:9], v[0:1], 0, s[20:21]
	v_cmp_gt_u32_e64 s[0:1], 8, v2
	s_lshl_b32 s22, s22, 7
	v_lshl_add_u64 v[2:3], v[8:9], 0, v[2:3]
	v_mul_lo_u32 v0, s19, v8
	v_mul_lo_u32 v21, s18, v9
	v_mad_u64_u32 v[8:9], s[26:27], s18, v8, 0
	v_lshl_add_u32 v6, s2, 6, v10
	v_mov_b32_e32 v7, v1
	v_lshlrev_b32_e32 v4, 2, v4
	s_mul_i32 s3, s19, s22
	s_mul_hi_u32 s26, s18, s22
	s_mov_b32 s23, 0
	v_and_b32_e32 v13, 0x100, v4
	v_add3_u32 v9, v9, v21, v0
	v_lshlrev_b64 v[6:7], 1, v[6:7]
	s_add_i32 s27, s26, s3
	s_mul_i32 s26, s18, s22
	v_or_b32_e32 v14, 4, v13
	v_or_b32_e32 v15, 8, v13
	;; [unrolled: 1-line block ×7, first 2 shown]
	v_lshlrev_b64 v[4:5], 2, v[2:3]
	s_lshl_b64 s[24:25], s[22:23], 2
	v_lshl_add_u64 v[6:7], v[8:9], 1, v[6:7]
	s_lshl_b64 s[26:27], s[26:27], 1
	s_lshl_b64 s[18:19], s[18:19], 1
	v_mov_b64_e32 v[8:9], s[16:17]
	v_mov_b32_e32 v0, v1
	s_branch .LBB102_7
.LBB102_5:                              ;   in Loop: Header=BB102_7 Depth=1
	s_or_b64 exec, exec, s[30:31]
.LBB102_6:                              ;   in Loop: Header=BB102_7 Depth=1
	s_or_b64 exec, exec, s[28:29]
	v_lshl_add_u64 v[24:25], s[4:5], 0, v[6:7]
	v_lshl_add_u64 v[26:27], s[6:7], 0, v[6:7]
	global_load_ushort v23, v[24:25], off
	global_load_ushort v28, v[26:27], off
	v_lshl_add_u64 v[24:25], v[24:25], 0, s[18:19]
	v_lshl_add_u64 v[26:27], v[26:27], 0, s[18:19]
	global_load_ushort v29, v[24:25], off
	global_load_ushort v30, v[26:27], off
	;; [unrolled: 4-line block ×8, first 2 shown]
	s_waitcnt vmcnt(17)
	ds_bpermute_b32 v26, v13, v21
	ds_bpermute_b32 v43, v14, v21
	s_waitcnt vmcnt(16)
	ds_bpermute_b32 v25, v13, v22
	ds_bpermute_b32 v45, v15, v21
	;; [unrolled: 1-line block ×14, first 2 shown]
	s_add_u32 s20, s20, s22
	s_addc_u32 s21, s21, 0
	v_cmp_lt_i64_e32 vcc, s[20:21], v[8:9]
	v_lshl_add_u64 v[4:5], v[4:5], 0, s[24:25]
	v_lshl_add_u64 v[2:3], v[2:3], 0, s[22:23]
	;; [unrolled: 1-line block ×3, first 2 shown]
	s_and_b64 vcc, exec, vcc
	s_waitcnt vmcnt(15)
	v_lshlrev_b32_e32 v22, 16, v23
	s_waitcnt vmcnt(14)
	v_lshlrev_b32_e32 v23, 16, v28
	s_waitcnt lgkmcnt(14)
	v_sub_f32_e32 v23, v23, v26
	v_mul_f32_e32 v23, v23, v22
	s_waitcnt vmcnt(13)
	v_lshlrev_b32_e32 v24, 16, v29
	s_waitcnt vmcnt(12)
	v_lshlrev_b32_e32 v28, 16, v30
	v_sub_f32_e32 v30, v28, v43
	s_waitcnt lgkmcnt(13)
	v_mul_f32_e32 v23, v23, v25
	s_waitcnt vmcnt(11)
	v_lshlrev_b32_e32 v26, 16, v31
	s_waitcnt vmcnt(10)
	v_lshlrev_b32_e32 v29, 16, v32
	v_mul_f32_e32 v25, v30, v24
	s_waitcnt lgkmcnt(12)
	v_sub_f32_e32 v29, v29, v45
	s_waitcnt vmcnt(9)
	v_lshlrev_b32_e32 v28, 16, v33
	s_waitcnt vmcnt(8)
	v_lshlrev_b32_e32 v31, 16, v34
	s_waitcnt lgkmcnt(11)
	v_mul_f32_e32 v25, v25, v27
	v_mul_f32_e32 v27, v29, v26
	s_waitcnt lgkmcnt(10)
	v_sub_f32_e32 v29, v31, v47
	s_waitcnt vmcnt(6)
	v_lshlrev_b32_e32 v32, 16, v36
	v_pk_add_f32 v[0:1], v[0:1], v[22:23]
	v_lshlrev_b32_e32 v30, 16, v35
	s_waitcnt lgkmcnt(9)
	v_mul_f32_e32 v27, v27, v44
	s_waitcnt vmcnt(4)
	v_lshlrev_b32_e32 v23, 16, v38
	v_mul_f32_e32 v29, v29, v28
	s_waitcnt lgkmcnt(6)
	v_sub_f32_e32 v31, v32, v49
	v_pk_add_f32 v[0:1], v[0:1], v[24:25]
	v_lshlrev_b32_e32 v22, 16, v37
	s_waitcnt vmcnt(2)
	v_lshlrev_b32_e32 v25, 16, v40
	v_mul_f32_e32 v29, v29, v46
	v_mul_f32_e32 v31, v31, v30
	s_waitcnt lgkmcnt(2)
	v_sub_f32_e32 v23, v23, v51
	v_pk_add_f32 v[0:1], v[0:1], v[26:27]
	v_lshlrev_b32_e32 v24, 16, v39
	s_waitcnt vmcnt(0)
	v_lshlrev_b32_e32 v27, 16, v42
	v_mul_f32_e32 v31, v31, v48
	v_mul_f32_e32 v23, v23, v22
	s_waitcnt lgkmcnt(1)
	v_sub_f32_e32 v25, v25, v53
	v_pk_add_f32 v[0:1], v[0:1], v[28:29]
	v_lshlrev_b32_e32 v26, 16, v41
	v_mul_f32_e32 v23, v23, v50
	v_mul_f32_e32 v25, v25, v24
	v_pk_add_f32 v[0:1], v[0:1], v[30:31]
	s_waitcnt lgkmcnt(0)
	v_sub_f32_e32 v21, v27, v21
	v_mul_f32_e32 v25, v25, v52
	v_pk_add_f32 v[0:1], v[0:1], v[22:23]
	v_mul_f32_e32 v21, v21, v26
	v_pk_add_f32 v[0:1], v[0:1], v[24:25]
	;; [unrolled: 2-line block ×3, first 2 shown]
	s_cbranch_vccz .LBB102_10
.LBB102_7:                              ; =>This Inner Loop Header: Depth=1
	v_mov_b32_e32 v22, 0
	v_mov_b32_e32 v21, 0
	s_and_saveexec_b64 s[28:29], s[0:1]
	s_cbranch_execz .LBB102_6
; %bb.8:                                ;   in Loop: Header=BB102_7 Depth=1
	v_cmp_gt_i64_e32 vcc, s[16:17], v[2:3]
	v_mov_b32_e32 v21, 0
	v_mov_b32_e32 v22, 0
	s_and_saveexec_b64 s[30:31], vcc
	s_cbranch_execz .LBB102_5
; %bb.9:                                ;   in Loop: Header=BB102_7 Depth=1
	v_lshl_add_u64 v[26:27], s[8:9], 0, v[4:5]
	v_lshl_add_u64 v[24:25], s[10:11], 0, v[4:5]
	global_load_dword v21, v[26:27], off
	global_load_dword v22, v[24:25], off
	s_branch .LBB102_5
.LBB102_10:
	v_mov_b32_e32 v2, v12
.LBB102_11:
	s_movk_i32 s0, 0x41
	v_mad_u32_u24 v3, v2, s0, v10
	v_lshl_add_u32 v3, v3, 2, 0
	ds_write_b32 v3, v1
	ds_write_b32 v3, v0 offset:4160
	v_lshrrev_b32_e32 v0, 6, v10
	v_add_u32_e32 v0, v0, v2
	v_cmp_gt_u32_e32 vcc, 64, v0
	s_waitcnt lgkmcnt(0)
	s_barrier
	s_and_saveexec_b64 s[0:1], vcc
	s_cbranch_execz .LBB102_43
; %bb.12:
	v_and_b32_e32 v1, 63, v10
	v_cmp_lt_u32_e64 s[4:5], 15, v1
	v_cmp_gt_u32_e64 s[0:1], 16, v1
	v_mul_u32_u24_e32 v6, 0x41, v1
                                        ; implicit-def: $vgpr2
	s_and_saveexec_b64 s[6:7], s[0:1]
	s_cbranch_execz .LBB102_14
; %bb.13:
	v_add_u32_e32 v1, v0, v6
	v_lshl_add_u32 v1, v1, 2, 0
	ds_read_b32 v3, v1
	ds_read_b32 v2, v1 offset:4160
.LBB102_14:
	s_or_b64 exec, exec, s[6:7]
	v_mbcnt_hi_u32_b32 v1, -1, v11
	v_and_b32_e32 v4, 64, v1
	v_add_u32_e32 v11, 64, v4
	v_xor_b32_e32 v4, 8, v1
	v_cmp_lt_i32_e32 vcc, v4, v11
	v_xor_b32_e32 v8, 4, v1
	v_xor_b32_e32 v9, 2, v1
	v_cndmask_b32_e32 v4, v1, v4, vcc
	v_lshlrev_b32_e32 v7, 2, v4
	s_waitcnt lgkmcnt(1)
	ds_bpermute_b32 v5, v7, v3
	s_waitcnt lgkmcnt(1)
	ds_bpermute_b32 v4, v7, v2
	v_cmp_lt_i32_e32 vcc, v8, v11
	s_mov_b32 s3, 0
	s_lshl_b64 s[8:9], s[2:3], 6
	v_cndmask_b32_e32 v8, v1, v8, vcc
	v_lshlrev_b32_e32 v8, 2, v8
	s_waitcnt lgkmcnt(0)
	v_pk_add_f32 v[2:3], v[2:3], v[4:5]
	ds_bpermute_b32 v5, v8, v3
	ds_bpermute_b32 v4, v8, v2
	v_cmp_lt_i32_e32 vcc, v9, v11
	v_cmp_eq_u32_e64 s[2:3], 0, v10
	s_cmp_lg_u64 s[12:13], 0
	v_cndmask_b32_e32 v9, v1, v9, vcc
	v_lshlrev_b32_e32 v9, 2, v9
	s_waitcnt lgkmcnt(0)
	v_pk_add_f32 v[2:3], v[2:3], v[4:5]
	ds_bpermute_b32 v5, v9, v3
	ds_bpermute_b32 v4, v9, v2
	s_cselect_b64 s[10:11], -1, 0
	s_cmp_lg_u64 s[14:15], 0
	s_cselect_b64 s[6:7], -1, 0
	s_waitcnt lgkmcnt(0)
	v_pk_add_f32 v[2:3], v[2:3], v[4:5]
	v_xor_b32_e32 v4, 1, v1
	v_cmp_lt_i32_e32 vcc, v4, v11
	s_nop 1
	v_cndmask_b32_e32 v1, v1, v4, vcc
	v_lshlrev_b32_e32 v10, 2, v1
	ds_bpermute_b32 v5, v10, v3
	ds_bpermute_b32 v4, v10, v2
	v_mov_b32_e32 v1, 0
	s_waitcnt lgkmcnt(0)
	v_pk_add_f32 v[2:3], v[2:3], v[4:5]
	s_and_saveexec_b64 s[16:17], s[2:3]
	s_cbranch_execz .LBB102_19
; %bb.15:
	v_mov_b32_e32 v5, s9
	s_andn2_b64 vcc, exec, s[10:11]
	v_or_b32_e32 v4, s8, v0
	s_cbranch_vccnz .LBB102_17
; %bb.16:
	v_bfe_u32 v11, v3, 16, 1
	s_movk_i32 s18, 0x7fff
	v_add3_u32 v11, v3, v11, s18
	v_cmp_o_f32_e32 vcc, v3, v3
	v_mov_b32_e32 v12, 0x7fc0
	s_nop 0
	v_cndmask_b32_sdwa v11, v12, v11, vcc dst_sel:DWORD dst_unused:UNUSED_PAD src0_sel:DWORD src1_sel:WORD_1
	v_lshl_add_u64 v[12:13], v[4:5], 1, s[12:13]
	global_store_short v[12:13], v11, off
.LBB102_17:
	s_andn2_b64 vcc, exec, s[6:7]
	s_cbranch_vccnz .LBB102_19
; %bb.18:
	v_bfe_u32 v11, v2, 16, 1
	s_movk_i32 s18, 0x7fff
	v_add3_u32 v11, v2, v11, s18
	v_cmp_o_f32_e32 vcc, v2, v2
	v_mov_b32_e32 v12, 0x7fc0
	v_lshl_add_u64 v[4:5], v[4:5], 1, s[14:15]
	v_cndmask_b32_sdwa v11, v12, v11, vcc dst_sel:DWORD dst_unused:UNUSED_PAD src0_sel:DWORD src1_sel:WORD_1
	global_store_short v[4:5], v11, off
.LBB102_19:
	s_or_b64 exec, exec, s[16:17]
	v_cmp_gt_u32_e32 vcc, 48, v0
	s_and_b64 exec, exec, vcc
	s_cbranch_execz .LBB102_43
; %bb.20:
	s_and_saveexec_b64 s[16:17], s[4:5]
	s_xor_b64 s[16:17], exec, s[16:17]
	s_andn2_saveexec_b64 s[16:17], s[16:17]
	s_cbranch_execz .LBB102_22
; %bb.21:
	v_add_u32_e32 v2, v0, v6
	v_lshl_add_u32 v2, v2, 2, 0
	ds_read_b32 v3, v2 offset:64
	ds_read_b32 v2, v2 offset:4224
.LBB102_22:
	s_or_b64 exec, exec, s[16:17]
	s_waitcnt lgkmcnt(1)
	ds_bpermute_b32 v5, v7, v3
	s_waitcnt lgkmcnt(1)
	ds_bpermute_b32 v4, v7, v2
	s_waitcnt lgkmcnt(0)
	v_pk_add_f32 v[2:3], v[2:3], v[4:5]
	ds_bpermute_b32 v5, v8, v3
	ds_bpermute_b32 v4, v8, v2
	s_waitcnt lgkmcnt(0)
	v_pk_add_f32 v[2:3], v[2:3], v[4:5]
	ds_bpermute_b32 v5, v9, v3
	;; [unrolled: 4-line block ×3, first 2 shown]
	ds_bpermute_b32 v4, v10, v2
	s_waitcnt lgkmcnt(0)
	v_pk_add_f32 v[2:3], v[2:3], v[4:5]
	s_and_saveexec_b64 s[16:17], s[2:3]
	s_cbranch_execz .LBB102_27
; %bb.23:
	s_andn2_b64 vcc, exec, s[10:11]
	s_cbranch_vccnz .LBB102_25
; %bb.24:
	v_bfe_u32 v4, v3, 16, 1
	s_movk_i32 s18, 0x7fff
	v_add3_u32 v4, v3, v4, s18
	v_cmp_o_f32_e32 vcc, v3, v3
	v_mov_b32_e32 v5, 0x7fc0
	s_nop 0
	v_cndmask_b32_sdwa v11, v5, v4, vcc dst_sel:DWORD dst_unused:UNUSED_PAD src0_sel:DWORD src1_sel:WORD_1
	v_lshl_add_u64 v[4:5], s[8:9], 0, v[0:1]
	v_lshl_add_u64 v[4:5], v[4:5], 1, s[12:13]
	global_store_short v[4:5], v11, off offset:32
.LBB102_25:
	s_andn2_b64 vcc, exec, s[6:7]
	s_cbranch_vccnz .LBB102_27
; %bb.26:
	v_bfe_u32 v4, v2, 16, 1
	s_movk_i32 s18, 0x7fff
	v_add3_u32 v4, v2, v4, s18
	v_cmp_o_f32_e32 vcc, v2, v2
	v_mov_b32_e32 v5, 0x7fc0
	s_nop 0
	v_cndmask_b32_sdwa v11, v5, v4, vcc dst_sel:DWORD dst_unused:UNUSED_PAD src0_sel:DWORD src1_sel:WORD_1
	v_lshl_add_u64 v[4:5], s[8:9], 0, v[0:1]
	v_lshl_add_u64 v[4:5], v[4:5], 1, s[14:15]
	global_store_short v[4:5], v11, off offset:32
.LBB102_27:
	s_or_b64 exec, exec, s[16:17]
	v_cmp_gt_u32_e32 vcc, 32, v0
	s_and_b64 exec, exec, vcc
	s_cbranch_execz .LBB102_43
; %bb.28:
	s_and_saveexec_b64 s[16:17], s[4:5]
	s_xor_b64 s[4:5], exec, s[16:17]
	s_andn2_saveexec_b64 s[4:5], s[4:5]
	s_cbranch_execz .LBB102_30
; %bb.29:
	v_add_u32_e32 v2, v0, v6
	v_lshl_add_u32 v2, v2, 2, 0
	ds_read_b32 v3, v2 offset:128
	ds_read_b32 v2, v2 offset:4288
.LBB102_30:
	s_or_b64 exec, exec, s[4:5]
	s_waitcnt lgkmcnt(1)
	ds_bpermute_b32 v5, v7, v3
	s_waitcnt lgkmcnt(1)
	ds_bpermute_b32 v4, v7, v2
	s_waitcnt lgkmcnt(0)
	v_pk_add_f32 v[2:3], v[2:3], v[4:5]
	ds_bpermute_b32 v5, v8, v3
	ds_bpermute_b32 v4, v8, v2
	s_waitcnt lgkmcnt(0)
	v_pk_add_f32 v[2:3], v[2:3], v[4:5]
	ds_bpermute_b32 v5, v9, v3
	;; [unrolled: 4-line block ×3, first 2 shown]
	ds_bpermute_b32 v4, v10, v2
	s_waitcnt lgkmcnt(0)
	v_pk_add_f32 v[2:3], v[2:3], v[4:5]
	s_and_saveexec_b64 s[4:5], s[2:3]
	s_cbranch_execz .LBB102_35
; %bb.31:
	s_andn2_b64 vcc, exec, s[10:11]
	s_cbranch_vccnz .LBB102_33
; %bb.32:
	v_bfe_u32 v4, v3, 16, 1
	s_movk_i32 s16, 0x7fff
	v_add3_u32 v4, v3, v4, s16
	v_cmp_o_f32_e32 vcc, v3, v3
	v_mov_b32_e32 v5, 0x7fc0
	s_nop 0
	v_cndmask_b32_sdwa v11, v5, v4, vcc dst_sel:DWORD dst_unused:UNUSED_PAD src0_sel:DWORD src1_sel:WORD_1
	v_lshl_add_u64 v[4:5], s[8:9], 0, v[0:1]
	v_lshl_add_u64 v[4:5], v[4:5], 1, s[12:13]
	global_store_short v[4:5], v11, off offset:64
.LBB102_33:
	s_andn2_b64 vcc, exec, s[6:7]
	s_cbranch_vccnz .LBB102_35
; %bb.34:
	v_bfe_u32 v4, v2, 16, 1
	s_movk_i32 s16, 0x7fff
	v_add3_u32 v4, v2, v4, s16
	v_cmp_o_f32_e32 vcc, v2, v2
	v_mov_b32_e32 v5, 0x7fc0
	s_nop 0
	v_cndmask_b32_sdwa v11, v5, v4, vcc dst_sel:DWORD dst_unused:UNUSED_PAD src0_sel:DWORD src1_sel:WORD_1
	v_lshl_add_u64 v[4:5], s[8:9], 0, v[0:1]
	v_lshl_add_u64 v[4:5], v[4:5], 1, s[14:15]
	global_store_short v[4:5], v11, off offset:64
.LBB102_35:
	s_or_b64 exec, exec, s[4:5]
	v_cmp_gt_u32_e32 vcc, 16, v0
	s_and_b64 exec, exec, vcc
	s_cbranch_execz .LBB102_43
; %bb.36:
	s_and_saveexec_b64 s[4:5], s[0:1]
	s_cbranch_execz .LBB102_38
; %bb.37:
	v_add_u32_e32 v2, v0, v6
	v_lshl_add_u32 v2, v2, 2, 0
	ds_read_b32 v3, v2 offset:192
	ds_read_b32 v2, v2 offset:4352
.LBB102_38:
	s_or_b64 exec, exec, s[4:5]
	s_waitcnt lgkmcnt(1)
	ds_bpermute_b32 v4, v7, v3
	s_waitcnt lgkmcnt(1)
	ds_bpermute_b32 v5, v7, v2
	s_waitcnt lgkmcnt(1)
	v_add_f32_e32 v3, v3, v4
	s_waitcnt lgkmcnt(0)
	v_add_f32_e32 v2, v2, v5
	ds_bpermute_b32 v4, v8, v3
	ds_bpermute_b32 v5, v8, v2
	s_waitcnt lgkmcnt(1)
	v_add_f32_e32 v3, v3, v4
	s_waitcnt lgkmcnt(0)
	v_add_f32_e32 v2, v2, v5
	ds_bpermute_b32 v4, v9, v3
	;; [unrolled: 6-line block ×3, first 2 shown]
	ds_bpermute_b32 v3, v10, v2
	s_and_b64 exec, exec, s[2:3]
	s_cbranch_execz .LBB102_43
; %bb.39:
	s_andn2_b64 vcc, exec, s[10:11]
	v_lshl_add_u64 v[0:1], s[8:9], 0, v[0:1]
	s_cbranch_vccnz .LBB102_41
; %bb.40:
	s_waitcnt lgkmcnt(1)
	v_add_f32_e32 v4, v4, v5
	v_bfe_u32 v5, v4, 16, 1
	s_movk_i32 s0, 0x7fff
	v_add3_u32 v5, v4, v5, s0
	v_cmp_o_f32_e32 vcc, v4, v4
	v_mov_b32_e32 v4, 0x7fc0
	s_nop 0
	v_cndmask_b32_sdwa v6, v4, v5, vcc dst_sel:DWORD dst_unused:UNUSED_PAD src0_sel:DWORD src1_sel:WORD_1
	v_lshl_add_u64 v[4:5], v[0:1], 1, s[12:13]
	global_store_short v[4:5], v6, off offset:96
.LBB102_41:
	s_andn2_b64 vcc, exec, s[6:7]
	s_cbranch_vccnz .LBB102_43
; %bb.42:
	s_waitcnt lgkmcnt(0)
	v_add_f32_e32 v2, v2, v3
	v_bfe_u32 v3, v2, 16, 1
	s_movk_i32 s0, 0x7fff
	v_add3_u32 v3, v2, v3, s0
	v_cmp_o_f32_e32 vcc, v2, v2
	v_mov_b32_e32 v2, 0x7fc0
	v_lshl_add_u64 v[0:1], v[0:1], 1, s[14:15]
	v_cndmask_b32_sdwa v2, v2, v3, vcc dst_sel:DWORD dst_unused:UNUSED_PAD src0_sel:DWORD src1_sel:WORD_1
	global_store_short v[0:1], v2, off offset:96
.LBB102_43:
	s_endpgm
	.section	.rodata,"a",@progbits
	.p2align	6, 0x0
	.amdhsa_kernel _ZN2at6native12_GLOBAL__N_135GammaBetaBackwardCUDAKernelTemplateIN3c108BFloat16EfLj64ELj16ELj128ELb0ELb1ELb0EEEvllPKT_S7_PKT0_SA_PS5_SB_
		.amdhsa_group_segment_fixed_size 0
		.amdhsa_private_segment_fixed_size 0
		.amdhsa_kernarg_size 320
		.amdhsa_user_sgpr_count 2
		.amdhsa_user_sgpr_dispatch_ptr 0
		.amdhsa_user_sgpr_queue_ptr 0
		.amdhsa_user_sgpr_kernarg_segment_ptr 1
		.amdhsa_user_sgpr_dispatch_id 0
		.amdhsa_user_sgpr_kernarg_preload_length 0
		.amdhsa_user_sgpr_kernarg_preload_offset 0
		.amdhsa_user_sgpr_private_segment_size 0
		.amdhsa_uses_dynamic_stack 0
		.amdhsa_enable_private_segment 0
		.amdhsa_system_sgpr_workgroup_id_x 1
		.amdhsa_system_sgpr_workgroup_id_y 1
		.amdhsa_system_sgpr_workgroup_id_z 0
		.amdhsa_system_sgpr_workgroup_info 0
		.amdhsa_system_vgpr_workitem_id 1
		.amdhsa_next_free_vgpr 55
		.amdhsa_next_free_sgpr 32
		.amdhsa_accum_offset 56
		.amdhsa_reserve_vcc 1
		.amdhsa_float_round_mode_32 0
		.amdhsa_float_round_mode_16_64 0
		.amdhsa_float_denorm_mode_32 3
		.amdhsa_float_denorm_mode_16_64 3
		.amdhsa_dx10_clamp 1
		.amdhsa_ieee_mode 1
		.amdhsa_fp16_overflow 0
		.amdhsa_tg_split 0
		.amdhsa_exception_fp_ieee_invalid_op 0
		.amdhsa_exception_fp_denorm_src 0
		.amdhsa_exception_fp_ieee_div_zero 0
		.amdhsa_exception_fp_ieee_overflow 0
		.amdhsa_exception_fp_ieee_underflow 0
		.amdhsa_exception_fp_ieee_inexact 0
		.amdhsa_exception_int_div_zero 0
	.end_amdhsa_kernel
	.section	.text._ZN2at6native12_GLOBAL__N_135GammaBetaBackwardCUDAKernelTemplateIN3c108BFloat16EfLj64ELj16ELj128ELb0ELb1ELb0EEEvllPKT_S7_PKT0_SA_PS5_SB_,"axG",@progbits,_ZN2at6native12_GLOBAL__N_135GammaBetaBackwardCUDAKernelTemplateIN3c108BFloat16EfLj64ELj16ELj128ELb0ELb1ELb0EEEvllPKT_S7_PKT0_SA_PS5_SB_,comdat
.Lfunc_end102:
	.size	_ZN2at6native12_GLOBAL__N_135GammaBetaBackwardCUDAKernelTemplateIN3c108BFloat16EfLj64ELj16ELj128ELb0ELb1ELb0EEEvllPKT_S7_PKT0_SA_PS5_SB_, .Lfunc_end102-_ZN2at6native12_GLOBAL__N_135GammaBetaBackwardCUDAKernelTemplateIN3c108BFloat16EfLj64ELj16ELj128ELb0ELb1ELb0EEEvllPKT_S7_PKT0_SA_PS5_SB_
                                        ; -- End function
	.set _ZN2at6native12_GLOBAL__N_135GammaBetaBackwardCUDAKernelTemplateIN3c108BFloat16EfLj64ELj16ELj128ELb0ELb1ELb0EEEvllPKT_S7_PKT0_SA_PS5_SB_.num_vgpr, 55
	.set _ZN2at6native12_GLOBAL__N_135GammaBetaBackwardCUDAKernelTemplateIN3c108BFloat16EfLj64ELj16ELj128ELb0ELb1ELb0EEEvllPKT_S7_PKT0_SA_PS5_SB_.num_agpr, 0
	.set _ZN2at6native12_GLOBAL__N_135GammaBetaBackwardCUDAKernelTemplateIN3c108BFloat16EfLj64ELj16ELj128ELb0ELb1ELb0EEEvllPKT_S7_PKT0_SA_PS5_SB_.numbered_sgpr, 32
	.set _ZN2at6native12_GLOBAL__N_135GammaBetaBackwardCUDAKernelTemplateIN3c108BFloat16EfLj64ELj16ELj128ELb0ELb1ELb0EEEvllPKT_S7_PKT0_SA_PS5_SB_.num_named_barrier, 0
	.set _ZN2at6native12_GLOBAL__N_135GammaBetaBackwardCUDAKernelTemplateIN3c108BFloat16EfLj64ELj16ELj128ELb0ELb1ELb0EEEvllPKT_S7_PKT0_SA_PS5_SB_.private_seg_size, 0
	.set _ZN2at6native12_GLOBAL__N_135GammaBetaBackwardCUDAKernelTemplateIN3c108BFloat16EfLj64ELj16ELj128ELb0ELb1ELb0EEEvllPKT_S7_PKT0_SA_PS5_SB_.uses_vcc, 1
	.set _ZN2at6native12_GLOBAL__N_135GammaBetaBackwardCUDAKernelTemplateIN3c108BFloat16EfLj64ELj16ELj128ELb0ELb1ELb0EEEvllPKT_S7_PKT0_SA_PS5_SB_.uses_flat_scratch, 0
	.set _ZN2at6native12_GLOBAL__N_135GammaBetaBackwardCUDAKernelTemplateIN3c108BFloat16EfLj64ELj16ELj128ELb0ELb1ELb0EEEvllPKT_S7_PKT0_SA_PS5_SB_.has_dyn_sized_stack, 0
	.set _ZN2at6native12_GLOBAL__N_135GammaBetaBackwardCUDAKernelTemplateIN3c108BFloat16EfLj64ELj16ELj128ELb0ELb1ELb0EEEvllPKT_S7_PKT0_SA_PS5_SB_.has_recursion, 0
	.set _ZN2at6native12_GLOBAL__N_135GammaBetaBackwardCUDAKernelTemplateIN3c108BFloat16EfLj64ELj16ELj128ELb0ELb1ELb0EEEvllPKT_S7_PKT0_SA_PS5_SB_.has_indirect_call, 0
	.section	.AMDGPU.csdata,"",@progbits
; Kernel info:
; codeLenInByte = 2732
; TotalNumSgprs: 38
; NumVgprs: 55
; NumAgprs: 0
; TotalNumVgprs: 55
; ScratchSize: 0
; MemoryBound: 0
; FloatMode: 240
; IeeeMode: 1
; LDSByteSize: 0 bytes/workgroup (compile time only)
; SGPRBlocks: 4
; VGPRBlocks: 6
; NumSGPRsForWavesPerEU: 38
; NumVGPRsForWavesPerEU: 55
; AccumOffset: 56
; Occupancy: 8
; WaveLimiterHint : 0
; COMPUTE_PGM_RSRC2:SCRATCH_EN: 0
; COMPUTE_PGM_RSRC2:USER_SGPR: 2
; COMPUTE_PGM_RSRC2:TRAP_HANDLER: 0
; COMPUTE_PGM_RSRC2:TGID_X_EN: 1
; COMPUTE_PGM_RSRC2:TGID_Y_EN: 1
; COMPUTE_PGM_RSRC2:TGID_Z_EN: 0
; COMPUTE_PGM_RSRC2:TIDIG_COMP_CNT: 1
; COMPUTE_PGM_RSRC3_GFX90A:ACCUM_OFFSET: 13
; COMPUTE_PGM_RSRC3_GFX90A:TG_SPLIT: 0
	.section	.text._ZN2at6native12_GLOBAL__N_135GammaBetaBackwardCUDAKernelTemplateIN3c108BFloat16EfLj64ELj16ELj128ELb0ELb0ELb0EEEvllPKT_S7_PKT0_SA_PS5_SB_,"axG",@progbits,_ZN2at6native12_GLOBAL__N_135GammaBetaBackwardCUDAKernelTemplateIN3c108BFloat16EfLj64ELj16ELj128ELb0ELb0ELb0EEEvllPKT_S7_PKT0_SA_PS5_SB_,comdat
	.globl	_ZN2at6native12_GLOBAL__N_135GammaBetaBackwardCUDAKernelTemplateIN3c108BFloat16EfLj64ELj16ELj128ELb0ELb0ELb0EEEvllPKT_S7_PKT0_SA_PS5_SB_ ; -- Begin function _ZN2at6native12_GLOBAL__N_135GammaBetaBackwardCUDAKernelTemplateIN3c108BFloat16EfLj64ELj16ELj128ELb0ELb0ELb0EEEvllPKT_S7_PKT0_SA_PS5_SB_
	.p2align	8
	.type	_ZN2at6native12_GLOBAL__N_135GammaBetaBackwardCUDAKernelTemplateIN3c108BFloat16EfLj64ELj16ELj128ELb0ELb0ELb0EEEvllPKT_S7_PKT0_SA_PS5_SB_,@function
_ZN2at6native12_GLOBAL__N_135GammaBetaBackwardCUDAKernelTemplateIN3c108BFloat16EfLj64ELj16ELj128ELb0ELb0ELb0EEEvllPKT_S7_PKT0_SA_PS5_SB_: ; @_ZN2at6native12_GLOBAL__N_135GammaBetaBackwardCUDAKernelTemplateIN3c108BFloat16EfLj64ELj16ELj128ELb0ELb0ELb0EEEvllPKT_S7_PKT0_SA_PS5_SB_
; %bb.0:
	s_load_dwordx8 s[8:15], s[0:1], 0x0
	s_load_dwordx4 s[16:19], s[0:1], 0x20
	s_lshl_b32 s33, s2, 6
	s_mov_b32 s21, 0
	s_lshl_b32 s20, s3, 7
	s_or_b32 s4, s33, 63
	v_mov_b64_e32 v[2:3], s[20:21]
	v_mov_b32_e32 v26, s4
	v_mov_b32_e32 v27, 0
	s_waitcnt lgkmcnt(0)
	v_cmp_gt_i64_e64 s[4:5], s[8:9], v[2:3]
	v_cmp_le_i64_e32 vcc, s[10:11], v[26:27]
	s_nop 0
	v_cndmask_b32_e64 v1, 0, 1, s[4:5]
	v_cmp_ne_u32_e64 s[4:5], 1, v1
	s_cbranch_vccz .LBB103_48
; %bb.1:
	s_and_b64 vcc, exec, s[4:5]
	v_mov_b32_e32 v26, 0
	s_cbranch_vccnz .LBB103_49
; %bb.2:
	v_and_b32_e32 v1, 0x3ff, v0
	v_mov_b32_e32 v2, 0
	v_bfe_u32 v62, v0, 10, 10
	v_add_u32_e32 v4, s33, v1
	v_mov_b32_e32 v5, v2
	v_lshlrev_b32_e32 v20, 3, v62
	v_mov_b32_e32 v21, v2
	v_cmp_gt_i64_e64 s[6:7], s[10:11], v[4:5]
	v_lshlrev_b64 v[22:23], 1, v[4:5]
	v_lshl_add_u64 v[4:5], v[20:21], 0, s[20:21]
	v_mul_lo_u32 v3, s11, v4
	v_mul_lo_u32 v8, s10, v5
	v_mad_u64_u32 v[6:7], s[24:25], s10, v4, 0
	v_add3_u32 v7, v7, v8, v3
	v_lshlrev_b64 v[6:7], 1, v[6:7]
	v_lshl_add_u64 v[24:25], s[12:13], 0, v[6:7]
	v_lshl_add_u64 v[28:29], s[14:15], 0, v[6:7]
	v_lshl_add_u64 v[6:7], v[4:5], 0, 7
	v_mul_lo_u32 v9, s11, v6
	v_mul_lo_u32 v10, s10, v7
	v_mad_u64_u32 v[6:7], s[26:27], s10, v6, 0
	v_add3_u32 v7, v7, v10, v9
	v_lshlrev_b64 v[6:7], 1, v[6:7]
	v_lshl_add_u64 v[30:31], s[12:13], 0, v[6:7]
	v_lshl_add_u64 v[32:33], s[14:15], 0, v[6:7]
	v_lshl_add_u64 v[6:7], v[4:5], 0, 6
	v_mul_lo_u32 v9, s11, v6
	v_mul_lo_u32 v10, s10, v7
	v_mad_u64_u32 v[6:7], s[26:27], s10, v6, 0
	v_add3_u32 v7, v7, v10, v9
	v_lshlrev_b64 v[6:7], 1, v[6:7]
	v_lshl_add_u64 v[34:35], s[12:13], 0, v[6:7]
	v_lshl_add_u64 v[36:37], s[14:15], 0, v[6:7]
	v_lshl_add_u64 v[6:7], v[4:5], 0, 5
	v_mul_lo_u32 v9, s11, v6
	v_mul_lo_u32 v10, s10, v7
	v_mad_u64_u32 v[6:7], s[26:27], s10, v6, 0
	v_add3_u32 v7, v7, v10, v9
	v_lshlrev_b64 v[6:7], 1, v[6:7]
	v_lshl_add_u64 v[38:39], s[12:13], 0, v[6:7]
	v_lshl_add_u64 v[40:41], s[14:15], 0, v[6:7]
	v_lshl_add_u64 v[6:7], v[4:5], 0, 4
	v_mul_lo_u32 v9, s11, v6
	v_mul_lo_u32 v10, s10, v7
	v_mad_u64_u32 v[6:7], s[26:27], s10, v6, 0
	v_add3_u32 v7, v7, v10, v9
	v_lshlrev_b64 v[6:7], 1, v[6:7]
	v_lshl_add_u64 v[42:43], s[12:13], 0, v[6:7]
	v_lshl_add_u64 v[44:45], s[14:15], 0, v[6:7]
	v_lshl_add_u64 v[6:7], v[4:5], 0, 3
	v_mul_lo_u32 v9, s11, v6
	v_mul_lo_u32 v10, s10, v7
	v_mad_u64_u32 v[6:7], s[26:27], s10, v6, 0
	v_add3_u32 v7, v7, v10, v9
	s_load_dword s3, s[0:1], 0x44
	v_lshlrev_b64 v[6:7], 1, v[6:7]
	v_lshl_add_u64 v[46:47], s[12:13], 0, v[6:7]
	v_lshl_add_u64 v[48:49], s[14:15], 0, v[6:7]
	;; [unrolled: 1-line block ×3, first 2 shown]
	v_mul_lo_u32 v5, s11, v6
	v_mul_lo_u32 v9, s10, v7
	v_mad_u64_u32 v[6:7], s[26:27], s10, v6, 0
	v_add3_u32 v7, v7, v9, v5
	s_add_u32 s22, s0, 64
	v_lshlrev_b64 v[6:7], 1, v[6:7]
	s_addc_u32 s23, s1, 0
	s_waitcnt lgkmcnt(0)
	s_lshl_b32 s3, s3, 7
	v_lshl_add_u64 v[50:51], s[12:13], 0, v[6:7]
	v_lshl_add_u64 v[52:53], s[14:15], 0, v[6:7]
	v_mov_b64_e32 v[6:7], s[10:11]
	s_mul_i32 s24, s11, s3
	s_mul_hi_u32 s25, s10, s3
	v_mad_u64_u32 v[4:5], s[26:27], s10, v4, v[6:7]
	s_add_i32 s25, s25, s24
	s_mul_i32 s24, s10, s3
	v_add3_u32 v5, v3, v5, v8
	v_mbcnt_lo_u32_b32 v3, -1, 0
	s_lshl_b64 s[24:25], s[24:25], 1
	v_mbcnt_hi_u32_b32 v3, -1, v3
	v_lshlrev_b64 v[4:5], 1, v[4:5]
	s_add_u32 s26, s20, 0x7f
	s_movk_i32 s28, 0xff81
	s_movk_i32 s30, 0xff82
	;; [unrolled: 1-line block ×8, first 2 shown]
	v_lshlrev_b32_e32 v3, 2, v3
	v_lshl_add_u64 v[54:55], s[12:13], 0, v[4:5]
	v_lshl_add_u64 v[56:57], s[14:15], 0, v[4:5]
	s_addc_u32 s27, 0, 0
	s_mov_b32 s29, -1
	s_mov_b32 s31, -1
	;; [unrolled: 1-line block ×8, first 2 shown]
	v_and_b32_e32 v63, 0x100, v3
	s_mov_b64 s[46:47], s[20:21]
	v_mov_b32_e32 v26, 0
	v_mov_b32_e32 v27, v2
	s_branch .LBB103_5
.LBB103_3:                              ;   in Loop: Header=BB103_5 Depth=1
	s_or_b64 exec, exec, s[48:49]
	s_waitcnt vmcnt(1)
	ds_bpermute_b32 v3, v63, v61
	ds_bpermute_b32 v58, v63, v61 offset:4
	s_waitcnt vmcnt(0)
	ds_bpermute_b32 v59, v63, v60
	ds_bpermute_b32 v64, v63, v60 offset:4
	v_mov_b32_e32 v66, v8
	s_waitcnt lgkmcnt(3)
	v_sub_f32_e32 v3, v12, v3
	v_mul_f32_e32 v3, v4, v3
	s_waitcnt lgkmcnt(2)
	v_sub_f32_e32 v12, v13, v58
	s_waitcnt lgkmcnt(1)
	v_mul_f32_e32 v13, v3, v59
	ds_bpermute_b32 v3, v63, v61 offset:8
	v_mul_f32_e32 v12, v5, v12
	s_waitcnt lgkmcnt(1)
	v_mul_f32_e32 v59, v12, v64
	ds_bpermute_b32 v12, v63, v60 offset:8
	ds_bpermute_b32 v58, v63, v61 offset:12
	s_waitcnt lgkmcnt(2)
	v_sub_f32_e32 v3, v14, v3
	ds_bpermute_b32 v14, v63, v60 offset:12
	v_mul_f32_e32 v3, v6, v3
	s_waitcnt lgkmcnt(2)
	v_mul_f32_e32 v65, v3, v12
	s_waitcnt lgkmcnt(1)
	v_sub_f32_e32 v3, v15, v58
	ds_bpermute_b32 v12, v63, v61 offset:16
	v_mul_f32_e32 v3, v7, v3
	s_waitcnt lgkmcnt(1)
	v_mul_f32_e32 v15, v3, v14
	ds_bpermute_b32 v3, v63, v60 offset:16
	ds_bpermute_b32 v14, v63, v61 offset:20
	s_waitcnt lgkmcnt(2)
	v_sub_f32_e32 v12, v16, v12
	ds_bpermute_b32 v16, v63, v60 offset:20
	v_mul_f32_e32 v12, v8, v12
	s_waitcnt lgkmcnt(2)
	v_mul_f32_e32 v67, v12, v3
	v_mov_b32_e32 v12, v4
	s_waitcnt lgkmcnt(1)
	v_sub_f32_e32 v3, v17, v14
	v_pk_add_f32 v[12:13], v[26:27], v[12:13]
	v_mov_b32_e32 v58, v5
	v_mul_f32_e32 v3, v9, v3
	v_pk_add_f32 v[4:5], v[58:59], v[12:13]
	v_mov_b32_e32 v64, v6
	s_waitcnt lgkmcnt(0)
	v_mul_f32_e32 v17, v3, v16
	v_pk_add_f32 v[4:5], v[64:65], v[4:5]
	v_mov_b32_e32 v14, v7
	ds_bpermute_b32 v3, v63, v61 offset:24
	v_pk_add_f32 v[4:5], v[14:15], v[4:5]
	v_mov_b32_e32 v16, v9
	v_pk_add_f32 v[4:5], v[66:67], v[4:5]
	s_waitcnt lgkmcnt(0)
	v_sub_f32_e32 v8, v18, v3
	v_pk_add_f32 v[6:7], v[16:17], v[4:5]
	ds_bpermute_b32 v5, v63, v60 offset:24
	ds_bpermute_b32 v3, v63, v60 offset:28
	;; [unrolled: 1-line block ×3, first 2 shown]
	v_mul_f32_e32 v8, v10, v8
	s_waitcnt lgkmcnt(2)
	v_mul_f32_e32 v9, v8, v5
	v_mov_b32_e32 v8, v10
	v_pk_add_f32 v[60:61], v[8:9], v[6:7]
.LBB103_4:                              ;   in Loop: Header=BB103_5 Depth=1
	s_waitcnt lgkmcnt(0)
	v_sub_f32_e32 v4, v19, v4
	v_mul_f32_e32 v4, v11, v4
	v_mul_f32_e32 v5, v4, v3
	v_mov_b32_e32 v4, v11
	s_add_u32 s46, s46, s3
	v_pk_add_f32 v[26:27], v[60:61], v[4:5]
	s_addc_u32 s47, s47, 0
	v_mov_b64_e32 v[4:5], s[8:9]
	s_add_u32 s26, s26, s3
	v_cmp_lt_i64_e32 vcc, s[46:47], v[4:5]
	v_lshl_add_u64 v[24:25], v[24:25], 0, s[24:25]
	v_lshl_add_u64 v[28:29], v[28:29], 0, s[24:25]
	;; [unrolled: 1-line block ×16, first 2 shown]
	s_addc_u32 s27, s27, 0
	s_cbranch_vccz .LBB103_49
.LBB103_5:                              ; =>This Inner Loop Header: Depth=1
	v_mov_b64_e32 v[4:5], s[8:9]
	v_cmp_ge_i64_e32 vcc, s[26:27], v[4:5]
	v_lshl_add_u64 v[58:59], v[20:21], 0, s[26:27]
	s_mov_b64 s[48:49], -1
	s_and_b64 vcc, exec, vcc
                                        ; implicit-def: $vgpr4_vgpr5_vgpr6_vgpr7_vgpr8_vgpr9_vgpr10_vgpr11
                                        ; implicit-def: $vgpr60_vgpr61
                                        ; implicit-def: $vgpr3
                                        ; implicit-def: $vgpr12_vgpr13_vgpr14_vgpr15_vgpr16_vgpr17_vgpr18_vgpr19
                                        ; implicit-def: $vgpr4
	s_cbranch_vccz .LBB103_27
; %bb.6:                                ;   in Loop: Header=BB103_5 Depth=1
	s_load_dword s48, s[22:23], 0xc
	v_mov_b32_e32 v60, 0
	v_mov_b32_e32 v61, 0
	s_waitcnt lgkmcnt(0)
	s_and_b32 s48, s48, 0xffff
	v_mad_u32_u24 v3, v62, s48, v1
	v_and_b32_e32 v4, 63, v3
	v_cmp_gt_u32_e32 vcc, 8, v4
	s_and_saveexec_b64 s[48:49], vcc
	s_cbranch_execz .LBB103_10
; %bb.7:                                ;   in Loop: Header=BB103_5 Depth=1
	v_mov_b32_e32 v5, v2
	v_lshl_add_u64 v[4:5], v[58:59], 0, v[4:5]
	v_lshl_add_u64 v[4:5], v[4:5], 0, s[28:29]
	v_cmp_gt_i64_e32 vcc, s[8:9], v[4:5]
	v_mov_b32_e32 v61, 0
	v_mov_b32_e32 v60, 0
	s_and_saveexec_b64 s[50:51], vcc
	s_cbranch_execz .LBB103_9
; %bb.8:                                ;   in Loop: Header=BB103_5 Depth=1
	v_lshlrev_b64 v[4:5], 2, v[4:5]
	v_lshl_add_u64 v[6:7], s[18:19], 0, v[4:5]
	v_lshl_add_u64 v[4:5], s[16:17], 0, v[4:5]
	global_load_dword v61, v[4:5], off
	global_load_dword v60, v[6:7], off
.LBB103_9:                              ;   in Loop: Header=BB103_5 Depth=1
	s_or_b64 exec, exec, s[50:51]
.LBB103_10:                             ;   in Loop: Header=BB103_5 Depth=1
	s_or_b64 exec, exec, s[48:49]
	v_lshl_add_u64 v[4:5], v[58:59], 0, s[28:29]
	v_mov_b32_e32 v8, v2
	v_mov_b32_e32 v9, v2
	v_cmp_gt_i64_e32 vcc, s[8:9], v[4:5]
	v_mov_b32_e32 v3, v2
	v_mov_b32_e32 v4, v2
	;; [unrolled: 1-line block ×5, first 2 shown]
	v_mov_b64_e32 v[18:19], v[8:9]
	v_mov_b64_e32 v[16:17], v[6:7]
	;; [unrolled: 1-line block ×5, first 2 shown]
	s_and_b64 s[50:51], s[6:7], vcc
	v_mov_b64_e32 v[8:9], v[6:7]
	v_mov_b64_e32 v[6:7], v[4:5]
	;; [unrolled: 1-line block ×3, first 2 shown]
	s_and_saveexec_b64 s[48:49], s[50:51]
	s_cbranch_execz .LBB103_12
; %bb.11:                               ;   in Loop: Header=BB103_5 Depth=1
	v_lshl_add_u64 v[4:5], v[24:25], 0, v[22:23]
	global_load_ushort v3, v[4:5], off
	v_lshl_add_u64 v[4:5], v[28:29], 0, v[22:23]
	global_load_ushort v12, v[4:5], off
	v_mov_b32_e32 v5, v2
	v_mov_b32_e32 v6, v2
	;; [unrolled: 1-line block ×14, first 2 shown]
	s_waitcnt vmcnt(1)
	v_lshlrev_b32_e32 v4, 16, v3
	s_waitcnt vmcnt(0)
	v_lshlrev_b32_e32 v12, 16, v12
.LBB103_12:                             ;   in Loop: Header=BB103_5 Depth=1
	s_or_b64 exec, exec, s[48:49]
	v_lshl_add_u64 v[64:65], v[58:59], 0, s[30:31]
	v_cmp_gt_i64_e32 vcc, s[8:9], v[64:65]
	s_and_b64 s[50:51], s[6:7], vcc
	s_and_saveexec_b64 s[48:49], s[50:51]
	s_cbranch_execz .LBB103_14
; %bb.13:                               ;   in Loop: Header=BB103_5 Depth=1
	v_lshl_add_u64 v[64:65], v[54:55], 0, v[22:23]
	global_load_ushort v3, v[64:65], off
	v_lshl_add_u64 v[64:65], v[56:57], 0, v[22:23]
	global_load_ushort v13, v[64:65], off
	s_waitcnt vmcnt(1)
	v_lshlrev_b32_e32 v5, 16, v3
	s_waitcnt vmcnt(0)
	v_lshlrev_b32_e32 v13, 16, v13
.LBB103_14:                             ;   in Loop: Header=BB103_5 Depth=1
	s_or_b64 exec, exec, s[48:49]
	v_lshl_add_u64 v[64:65], v[58:59], 0, s[34:35]
	v_cmp_gt_i64_e32 vcc, s[8:9], v[64:65]
	s_and_b64 s[50:51], s[6:7], vcc
	s_and_saveexec_b64 s[48:49], s[50:51]
	s_cbranch_execz .LBB103_16
; %bb.15:                               ;   in Loop: Header=BB103_5 Depth=1
	v_lshl_add_u64 v[64:65], v[50:51], 0, v[22:23]
	global_load_ushort v3, v[64:65], off
	v_lshl_add_u64 v[64:65], v[52:53], 0, v[22:23]
	global_load_ushort v14, v[64:65], off
	s_waitcnt vmcnt(1)
	v_lshlrev_b32_e32 v6, 16, v3
	s_waitcnt vmcnt(0)
	v_lshlrev_b32_e32 v14, 16, v14
.LBB103_16:                             ;   in Loop: Header=BB103_5 Depth=1
	;; [unrolled: 16-line block ×7, first 2 shown]
	s_or_b64 exec, exec, s[48:49]
	s_waitcnt vmcnt(1)
	ds_bpermute_b32 v3, v63, v61
	ds_bpermute_b32 v64, v63, v61 offset:4
	s_waitcnt vmcnt(0)
	ds_bpermute_b32 v65, v63, v60
	ds_bpermute_b32 v66, v63, v60 offset:4
	v_mov_b32_e32 v68, v8
	s_waitcnt lgkmcnt(3)
	v_sub_f32_e32 v3, v12, v3
	v_mul_f32_e32 v3, v4, v3
	s_waitcnt lgkmcnt(2)
	v_sub_f32_e32 v12, v13, v64
	s_waitcnt lgkmcnt(1)
	v_mul_f32_e32 v13, v3, v65
	ds_bpermute_b32 v3, v63, v61 offset:8
	v_mul_f32_e32 v12, v5, v12
	s_waitcnt lgkmcnt(1)
	v_mul_f32_e32 v65, v12, v66
	ds_bpermute_b32 v12, v63, v60 offset:8
	ds_bpermute_b32 v64, v63, v61 offset:12
	s_waitcnt lgkmcnt(2)
	v_sub_f32_e32 v3, v14, v3
	ds_bpermute_b32 v14, v63, v60 offset:12
	v_mul_f32_e32 v3, v6, v3
	s_waitcnt lgkmcnt(2)
	v_mul_f32_e32 v67, v3, v12
	ds_bpermute_b32 v12, v63, v61 offset:16
	s_waitcnt lgkmcnt(2)
	v_sub_f32_e32 v3, v15, v64
	v_mul_f32_e32 v3, v7, v3
	s_waitcnt lgkmcnt(1)
	v_mul_f32_e32 v15, v3, v14
	ds_bpermute_b32 v3, v63, v60 offset:16
	ds_bpermute_b32 v14, v63, v61 offset:20
	s_waitcnt lgkmcnt(2)
	v_sub_f32_e32 v12, v16, v12
	ds_bpermute_b32 v16, v63, v60 offset:20
	v_mul_f32_e32 v12, v8, v12
	s_waitcnt lgkmcnt(2)
	v_mul_f32_e32 v69, v12, v3
	s_waitcnt lgkmcnt(1)
	v_sub_f32_e32 v3, v17, v14
	v_mov_b32_e32 v12, v4
	v_mul_f32_e32 v3, v9, v3
	v_pk_add_f32 v[12:13], v[26:27], v[12:13]
	v_mov_b32_e32 v64, v5
	s_waitcnt lgkmcnt(0)
	v_mul_f32_e32 v17, v3, v16
	v_pk_add_f32 v[4:5], v[64:65], v[12:13]
	v_mov_b32_e32 v66, v6
	ds_bpermute_b32 v3, v63, v61 offset:24
	v_pk_add_f32 v[4:5], v[66:67], v[4:5]
	v_mov_b32_e32 v14, v7
	v_pk_add_f32 v[4:5], v[14:15], v[4:5]
	v_mov_b32_e32 v16, v9
	v_pk_add_f32 v[4:5], v[68:69], v[4:5]
	s_waitcnt lgkmcnt(0)
	v_sub_f32_e32 v3, v18, v3
	v_pk_add_f32 v[6:7], v[16:17], v[4:5]
	ds_bpermute_b32 v5, v63, v60 offset:24
	v_mul_f32_e32 v8, v10, v3
	ds_bpermute_b32 v3, v63, v60 offset:28
	ds_bpermute_b32 v4, v63, v61 offset:28
	s_mov_b64 s[48:49], 0
	s_waitcnt lgkmcnt(2)
	v_mul_f32_e32 v9, v8, v5
	v_mov_b32_e32 v8, v10
	v_pk_add_f32 v[60:61], v[8:9], v[6:7]
.LBB103_27:                             ;   in Loop: Header=BB103_5 Depth=1
	s_and_b64 vcc, exec, s[48:49]
	s_cbranch_vccz .LBB103_4
; %bb.28:                               ;   in Loop: Header=BB103_5 Depth=1
	s_load_dword s48, s[22:23], 0x0
	v_mov_b32_e32 v60, 0
	v_mov_b32_e32 v61, 0
	s_waitcnt lgkmcnt(0)
	s_cmp_lt_u32 s2, s48
	s_cselect_b32 s48, 12, 18
	s_add_u32 s48, s22, s48
	s_addc_u32 s49, s23, 0
	global_load_ushort v3, v2, s[48:49]
	s_waitcnt vmcnt(0)
	v_mad_u32_u24 v3, v62, v3, v1
	v_and_b32_e32 v4, 63, v3
	v_cmp_gt_u32_e32 vcc, 8, v4
	s_and_saveexec_b64 s[48:49], vcc
	s_cbranch_execz .LBB103_32
; %bb.29:                               ;   in Loop: Header=BB103_5 Depth=1
	v_mov_b32_e32 v5, v2
	v_lshl_add_u64 v[4:5], v[58:59], 0, v[4:5]
	v_lshl_add_u64 v[4:5], v[4:5], 0, s[28:29]
	v_cmp_gt_i64_e32 vcc, s[8:9], v[4:5]
	v_mov_b32_e32 v61, 0
	v_mov_b32_e32 v60, 0
	s_and_saveexec_b64 s[50:51], vcc
	s_cbranch_execz .LBB103_31
; %bb.30:                               ;   in Loop: Header=BB103_5 Depth=1
	v_lshlrev_b64 v[4:5], 2, v[4:5]
	v_lshl_add_u64 v[6:7], s[18:19], 0, v[4:5]
	v_lshl_add_u64 v[4:5], s[16:17], 0, v[4:5]
	global_load_dword v61, v[4:5], off
	global_load_dword v60, v[6:7], off
.LBB103_31:                             ;   in Loop: Header=BB103_5 Depth=1
	s_or_b64 exec, exec, s[50:51]
.LBB103_32:                             ;   in Loop: Header=BB103_5 Depth=1
	s_or_b64 exec, exec, s[48:49]
	v_mov_b32_e32 v8, v2
	v_mov_b32_e32 v9, v2
	;; [unrolled: 1-line block ×7, first 2 shown]
	v_mov_b64_e32 v[18:19], v[8:9]
	v_mov_b64_e32 v[16:17], v[6:7]
	;; [unrolled: 1-line block ×8, first 2 shown]
	s_and_saveexec_b64 s[48:49], s[6:7]
	s_cbranch_execnz .LBB103_40
; %bb.33:                               ;   in Loop: Header=BB103_5 Depth=1
	s_or_b64 exec, exec, s[48:49]
	s_and_saveexec_b64 s[48:49], s[6:7]
	s_cbranch_execnz .LBB103_41
.LBB103_34:                             ;   in Loop: Header=BB103_5 Depth=1
	s_or_b64 exec, exec, s[48:49]
	s_and_saveexec_b64 s[48:49], s[6:7]
	s_cbranch_execnz .LBB103_42
.LBB103_35:                             ;   in Loop: Header=BB103_5 Depth=1
	s_or_b64 exec, exec, s[48:49]
	s_and_saveexec_b64 s[48:49], s[6:7]
	s_cbranch_execnz .LBB103_43
.LBB103_36:                             ;   in Loop: Header=BB103_5 Depth=1
	s_or_b64 exec, exec, s[48:49]
	s_and_saveexec_b64 s[48:49], s[6:7]
	s_cbranch_execnz .LBB103_44
.LBB103_37:                             ;   in Loop: Header=BB103_5 Depth=1
	s_or_b64 exec, exec, s[48:49]
	s_and_saveexec_b64 s[48:49], s[6:7]
	s_cbranch_execnz .LBB103_45
.LBB103_38:                             ;   in Loop: Header=BB103_5 Depth=1
	s_or_b64 exec, exec, s[48:49]
	s_and_saveexec_b64 s[48:49], s[6:7]
	s_cbranch_execnz .LBB103_46
.LBB103_39:                             ;   in Loop: Header=BB103_5 Depth=1
	s_or_b64 exec, exec, s[48:49]
	s_and_saveexec_b64 s[48:49], s[6:7]
	s_cbranch_execz .LBB103_3
	s_branch .LBB103_47
.LBB103_40:                             ;   in Loop: Header=BB103_5 Depth=1
	v_lshl_add_u64 v[4:5], v[24:25], 0, v[22:23]
	global_load_ushort v3, v[4:5], off
	v_lshl_add_u64 v[4:5], v[28:29], 0, v[22:23]
	global_load_ushort v12, v[4:5], off
	v_mov_b32_e32 v5, v2
	v_mov_b32_e32 v6, v2
	;; [unrolled: 1-line block ×14, first 2 shown]
	s_waitcnt vmcnt(1)
	v_lshlrev_b32_e32 v4, 16, v3
	s_waitcnt vmcnt(0)
	v_lshlrev_b32_e32 v12, 16, v12
	s_or_b64 exec, exec, s[48:49]
	s_and_saveexec_b64 s[48:49], s[6:7]
	s_cbranch_execz .LBB103_34
.LBB103_41:                             ;   in Loop: Header=BB103_5 Depth=1
	v_lshl_add_u64 v[58:59], v[54:55], 0, v[22:23]
	global_load_ushort v3, v[58:59], off
	v_lshl_add_u64 v[58:59], v[56:57], 0, v[22:23]
	global_load_ushort v13, v[58:59], off
	s_waitcnt vmcnt(1)
	v_lshlrev_b32_e32 v5, 16, v3
	s_waitcnt vmcnt(0)
	v_lshlrev_b32_e32 v13, 16, v13
	s_or_b64 exec, exec, s[48:49]
	s_and_saveexec_b64 s[48:49], s[6:7]
	s_cbranch_execz .LBB103_35
.LBB103_42:                             ;   in Loop: Header=BB103_5 Depth=1
	v_lshl_add_u64 v[58:59], v[50:51], 0, v[22:23]
	global_load_ushort v3, v[58:59], off
	v_lshl_add_u64 v[58:59], v[52:53], 0, v[22:23]
	global_load_ushort v14, v[58:59], off
	s_waitcnt vmcnt(1)
	v_lshlrev_b32_e32 v6, 16, v3
	s_waitcnt vmcnt(0)
	v_lshlrev_b32_e32 v14, 16, v14
	s_or_b64 exec, exec, s[48:49]
	s_and_saveexec_b64 s[48:49], s[6:7]
	s_cbranch_execz .LBB103_36
.LBB103_43:                             ;   in Loop: Header=BB103_5 Depth=1
	v_lshl_add_u64 v[58:59], v[46:47], 0, v[22:23]
	global_load_ushort v3, v[58:59], off
	v_lshl_add_u64 v[58:59], v[48:49], 0, v[22:23]
	global_load_ushort v15, v[58:59], off
	s_waitcnt vmcnt(1)
	v_lshlrev_b32_e32 v7, 16, v3
	s_waitcnt vmcnt(0)
	v_lshlrev_b32_e32 v15, 16, v15
	s_or_b64 exec, exec, s[48:49]
	s_and_saveexec_b64 s[48:49], s[6:7]
	s_cbranch_execz .LBB103_37
.LBB103_44:                             ;   in Loop: Header=BB103_5 Depth=1
	v_lshl_add_u64 v[58:59], v[42:43], 0, v[22:23]
	global_load_ushort v3, v[58:59], off
	v_lshl_add_u64 v[58:59], v[44:45], 0, v[22:23]
	global_load_ushort v16, v[58:59], off
	s_waitcnt vmcnt(1)
	v_lshlrev_b32_e32 v8, 16, v3
	s_waitcnt vmcnt(0)
	v_lshlrev_b32_e32 v16, 16, v16
	s_or_b64 exec, exec, s[48:49]
	s_and_saveexec_b64 s[48:49], s[6:7]
	s_cbranch_execz .LBB103_38
.LBB103_45:                             ;   in Loop: Header=BB103_5 Depth=1
	v_lshl_add_u64 v[58:59], v[38:39], 0, v[22:23]
	global_load_ushort v3, v[58:59], off
	v_lshl_add_u64 v[58:59], v[40:41], 0, v[22:23]
	global_load_ushort v17, v[58:59], off
	s_waitcnt vmcnt(1)
	v_lshlrev_b32_e32 v9, 16, v3
	s_waitcnt vmcnt(0)
	v_lshlrev_b32_e32 v17, 16, v17
	s_or_b64 exec, exec, s[48:49]
	s_and_saveexec_b64 s[48:49], s[6:7]
	s_cbranch_execz .LBB103_39
.LBB103_46:                             ;   in Loop: Header=BB103_5 Depth=1
	v_lshl_add_u64 v[58:59], v[34:35], 0, v[22:23]
	global_load_ushort v3, v[58:59], off
	v_lshl_add_u64 v[58:59], v[36:37], 0, v[22:23]
	global_load_ushort v18, v[58:59], off
	s_waitcnt vmcnt(1)
	v_lshlrev_b32_e32 v10, 16, v3
	s_waitcnt vmcnt(0)
	v_lshlrev_b32_e32 v18, 16, v18
	s_or_b64 exec, exec, s[48:49]
	s_and_saveexec_b64 s[48:49], s[6:7]
	s_cbranch_execz .LBB103_3
.LBB103_47:                             ;   in Loop: Header=BB103_5 Depth=1
	v_lshl_add_u64 v[58:59], v[30:31], 0, v[22:23]
	global_load_ushort v3, v[58:59], off
	v_lshl_add_u64 v[58:59], v[32:33], 0, v[22:23]
	global_load_ushort v19, v[58:59], off
	s_waitcnt vmcnt(1)
	v_lshlrev_b32_e32 v11, 16, v3
	s_waitcnt vmcnt(0)
	v_lshlrev_b32_e32 v19, 16, v19
	s_branch .LBB103_3
.LBB103_48:
                                        ; implicit-def: $vgpr27
	s_branch .LBB103_50
.LBB103_49:
	s_cbranch_execnz .LBB103_81
.LBB103_50:
	v_mov_b32_e32 v27, 0
	s_and_b64 vcc, exec, s[4:5]
	v_mov_b32_e32 v26, v27
	s_cbranch_vccnz .LBB103_81
; %bb.51:
	v_mov_b32_e32 v2, 0
	v_bfe_u32 v90, v0, 10, 10
	v_lshlrev_b32_e32 v6, 4, v90
	v_mov_b32_e32 v7, v2
	v_lshl_add_u64 v[6:7], s[20:21], 1, v[6:7]
	v_lshl_add_u64 v[8:9], v[6:7], 0, 2
	v_mov_b64_e32 v[10:11], s[12:13]
	v_lshl_add_u64 v[12:13], v[6:7], 0, 4
	v_lshl_add_u64 v[14:15], v[6:7], 0, 6
	;; [unrolled: 1-line block ×6, first 2 shown]
	v_mad_u64_u32 v[22:23], s[4:5], s10, v8, v[10:11]
	v_mad_u64_u32 v[24:25], s[4:5], s10, v12, v[10:11]
	v_mad_u64_u32 v[28:29], s[4:5], s10, v14, v[10:11]
	v_mad_u64_u32 v[30:31], s[4:5], s10, v16, v[10:11]
	v_mad_u64_u32 v[32:33], s[4:5], s10, v18, v[10:11]
	v_mad_u64_u32 v[34:35], s[4:5], s10, v26, v[10:11]
	v_mad_u64_u32 v[36:37], s[4:5], s10, v6, v[10:11]
	v_mov_b64_e32 v[10:11], s[14:15]
	v_mul_lo_u32 v9, s10, v9
	v_mul_lo_u32 v40, s11, v8
	v_mad_u64_u32 v[38:39], s[4:5], s10, v8, v[10:11]
	v_add3_u32 v23, v40, v23, v9
	v_mul_lo_u32 v13, s10, v13
	v_mul_lo_u32 v42, s11, v12
	v_add3_u32 v39, v40, v39, v9
	v_mad_u64_u32 v[40:41], s[4:5], s10, v12, v[10:11]
	v_add3_u32 v25, v42, v25, v13
	v_mul_lo_u32 v15, s10, v15
	v_mul_lo_u32 v44, s11, v14
	v_add3_u32 v41, v42, v41, v13
	;; [unrolled: 5-line block ×4, first 2 shown]
	v_mad_u64_u32 v[46:47], s[4:5], s10, v18, v[10:11]
	v_lshlrev_b32_e32 v20, 3, v90
	v_mov_b32_e32 v21, v2
	v_add3_u32 v33, v48, v33, v19
	v_mul_lo_u32 v27, s10, v27
	v_mul_lo_u32 v50, s11, v26
	v_add3_u32 v47, v48, v47, v19
	v_mad_u64_u32 v[48:49], s[4:5], s10, v26, v[10:11]
	v_lshl_add_u64 v[4:5], v[20:21], 0, s[20:21]
	v_add3_u32 v35, v50, v35, v27
	v_mul_lo_u32 v7, s10, v7
	v_mul_lo_u32 v8, s11, v6
	v_add3_u32 v49, v50, v49, v27
	v_mad_u64_u32 v[50:51], s[4:5], s10, v6, v[10:11]
	v_add3_u32 v37, v8, v37, v7
	v_add3_u32 v51, v8, v51, v7
	v_lshl_add_u64 v[6:7], v[4:5], 0, 7
	v_mul_lo_u32 v8, s11, v6
	v_mul_lo_u32 v9, s10, v7
	v_mad_u64_u32 v[6:7], s[4:5], s10, v6, 0
	v_add3_u32 v7, v7, v9, v8
	v_lshl_add_u64 v[8:9], v[4:5], 0, 6
	v_mul_lo_u32 v10, s11, v8
	v_mul_lo_u32 v11, s10, v9
	v_mad_u64_u32 v[8:9], s[4:5], s10, v8, 0
	v_add3_u32 v9, v9, v11, v10
	v_lshl_add_u64 v[10:11], v[4:5], 0, 5
	v_mul_lo_u32 v12, s11, v10
	v_mul_lo_u32 v13, s10, v11
	v_mad_u64_u32 v[10:11], s[4:5], s10, v10, 0
	v_add3_u32 v11, v11, v13, v12
	v_lshl_add_u64 v[12:13], v[4:5], 0, 4
	v_mul_lo_u32 v14, s11, v12
	v_mul_lo_u32 v15, s10, v13
	v_mad_u64_u32 v[12:13], s[4:5], s10, v12, 0
	v_add3_u32 v13, v13, v15, v14
	v_lshl_add_u64 v[14:15], v[4:5], 0, 3
	v_mul_lo_u32 v16, s11, v14
	v_mul_lo_u32 v17, s10, v15
	v_mad_u64_u32 v[14:15], s[4:5], s10, v14, 0
	v_add3_u32 v15, v15, v17, v16
	v_lshl_add_u64 v[16:17], v[4:5], 0, 2
	v_mul_lo_u32 v52, s10, v5
	v_mul_lo_u32 v5, s11, v16
	v_mul_lo_u32 v18, s10, v17
	v_mad_u64_u32 v[16:17], s[4:5], s10, v16, 0
	v_add3_u32 v17, v17, v18, v5
	v_mov_b64_e32 v[18:19], s[10:11]
	v_mul_lo_u32 v3, s11, v4
	v_mad_u64_u32 v[18:19], s[4:5], s10, v4, v[18:19]
	v_mad_u64_u32 v[4:5], s[4:5], s10, v4, 0
	s_load_dword s3, s[0:1], 0x44
	v_add3_u32 v5, v5, v52, v3
	v_lshlrev_b64 v[4:5], 1, v[4:5]
	v_lshl_add_u64 v[54:55], s[12:13], 0, v[4:5]
	v_lshl_add_u64 v[56:57], s[14:15], 0, v[4:5]
	v_lshlrev_b64 v[4:5], 1, v[6:7]
	v_lshl_add_u64 v[58:59], s[12:13], 0, v[4:5]
	v_lshl_add_u64 v[60:61], s[14:15], 0, v[4:5]
	v_lshlrev_b64 v[4:5], 1, v[8:9]
	s_add_u32 s4, s0, 64
	v_lshl_add_u64 v[62:63], s[12:13], 0, v[4:5]
	v_lshl_add_u64 v[64:65], s[14:15], 0, v[4:5]
	v_lshlrev_b64 v[4:5], 1, v[10:11]
	s_addc_u32 s5, s1, 0
	s_waitcnt lgkmcnt(0)
	s_lshl_b32 s3, s3, 7
	v_lshl_add_u64 v[66:67], s[12:13], 0, v[4:5]
	v_lshl_add_u64 v[68:69], s[14:15], 0, v[4:5]
	v_lshlrev_b64 v[4:5], 1, v[12:13]
	s_mul_i32 s6, s11, s3
	s_mul_hi_u32 s7, s10, s3
	v_lshl_add_u64 v[70:71], s[12:13], 0, v[4:5]
	v_lshl_add_u64 v[72:73], s[14:15], 0, v[4:5]
	v_lshlrev_b64 v[4:5], 1, v[14:15]
	v_add3_u32 v19, v3, v19, v52
	s_add_i32 s7, s7, s6
	s_mul_i32 s6, s10, s3
	v_lshl_add_u64 v[74:75], s[12:13], 0, v[4:5]
	v_lshl_add_u64 v[76:77], s[14:15], 0, v[4:5]
	v_lshlrev_b64 v[4:5], 1, v[16:17]
	v_mbcnt_lo_u32_b32 v3, -1, 0
	v_and_b32_e32 v1, 0x3ff, v0
	s_lshl_b64 s[6:7], s[6:7], 1
	v_lshl_add_u64 v[78:79], s[12:13], 0, v[4:5]
	v_lshl_add_u64 v[80:81], s[14:15], 0, v[4:5]
	v_lshlrev_b64 v[4:5], 1, v[18:19]
	v_mbcnt_hi_u32_b32 v3, -1, v3
	v_add_u32_e32 v26, s33, v1
	v_mov_b32_e32 v27, v2
	s_add_u32 s22, s20, 0x7f
	v_lshl_add_u64 v[82:83], s[12:13], 0, v[4:5]
	v_lshl_add_u64 v[84:85], s[14:15], 0, v[4:5]
	s_movk_i32 s12, 0xff81
	s_movk_i32 s14, 0xff82
	;; [unrolled: 1-line block ×8, first 2 shown]
	v_lshlrev_b32_e32 v3, 2, v3
	v_lshlrev_b64 v[52:53], 1, v[26:27]
	s_addc_u32 s23, 0, 0
	s_mov_b32 s13, -1
	s_mov_b32 s15, -1
	;; [unrolled: 1-line block ×8, first 2 shown]
	v_and_b32_e32 v91, 0x100, v3
	v_mov_b32_e32 v26, 0
	s_branch .LBB103_55
.LBB103_52:                             ;   in Loop: Header=BB103_55 Depth=1
	s_or_b64 exec, exec, s[40:41]
.LBB103_53:                             ;   in Loop: Header=BB103_55 Depth=1
	s_or_b64 exec, exec, s[38:39]
	v_lshl_add_u64 v[4:5], v[54:55], 0, v[52:53]
	global_load_ushort v7, v[4:5], off
	v_lshl_add_u64 v[4:5], v[56:57], 0, v[52:53]
	global_load_ushort v8, v[4:5], off
	;; [unrolled: 2-line block ×16, first 2 shown]
	s_waitcnt vmcnt(17)
	ds_bpermute_b32 v89, v91, v6
	ds_bpermute_b32 v93, v91, v6 offset:4
	s_waitcnt vmcnt(16)
	ds_bpermute_b32 v88, v91, v3
	ds_bpermute_b32 v95, v91, v6 offset:8
	ds_bpermute_b32 v92, v91, v3 offset:4
	;; [unrolled: 1-line block ×13, first 2 shown]
	s_waitcnt vmcnt(15)
	v_lshlrev_b32_e32 v4, 16, v7
	s_waitcnt vmcnt(14)
	v_lshlrev_b32_e32 v7, 16, v8
	s_waitcnt vmcnt(13)
	v_lshlrev_b32_e32 v6, 16, v9
	s_waitcnt vmcnt(12)
	v_lshlrev_b32_e32 v9, 16, v10
	s_waitcnt vmcnt(11)
	v_lshlrev_b32_e32 v8, 16, v11
	s_waitcnt vmcnt(10)
	v_lshlrev_b32_e32 v11, 16, v12
	s_waitcnt vmcnt(9)
	v_lshlrev_b32_e32 v10, 16, v13
	s_waitcnt vmcnt(8)
	v_lshlrev_b32_e32 v13, 16, v14
	s_waitcnt vmcnt(7)
	v_lshlrev_b32_e32 v12, 16, v15
	s_waitcnt vmcnt(6)
	v_lshlrev_b32_e32 v15, 16, v16
	s_waitcnt vmcnt(5)
	v_lshlrev_b32_e32 v14, 16, v17
	s_waitcnt vmcnt(4)
	v_lshlrev_b32_e32 v17, 16, v18
	s_waitcnt vmcnt(3)
	v_lshlrev_b32_e32 v16, 16, v19
	s_waitcnt vmcnt(2)
	v_lshlrev_b32_e32 v19, 16, v26
	s_waitcnt vmcnt(1)
	v_lshlrev_b32_e32 v18, 16, v27
	s_waitcnt vmcnt(0)
	v_lshlrev_b32_e32 v26, 16, v5
	s_waitcnt lgkmcnt(14)
	v_sub_f32_e32 v5, v7, v89
	v_sub_f32_e32 v7, v9, v93
	v_mul_f32_e32 v5, v5, v4
	s_waitcnt lgkmcnt(12)
	v_sub_f32_e32 v9, v11, v95
	v_mul_f32_e32 v7, v7, v6
	v_mul_f32_e32 v5, v5, v88
	s_waitcnt lgkmcnt(10)
	v_sub_f32_e32 v11, v13, v97
	v_mul_f32_e32 v9, v9, v8
	v_mul_f32_e32 v7, v7, v92
	v_pk_add_f32 v[4:5], v[86:87], v[4:5]
	s_waitcnt lgkmcnt(8)
	v_sub_f32_e32 v13, v15, v99
	v_mul_f32_e32 v11, v11, v10
	v_mul_f32_e32 v9, v9, v94
	v_pk_add_f32 v[4:5], v[4:5], v[6:7]
	s_waitcnt lgkmcnt(6)
	v_sub_f32_e32 v15, v17, v101
	v_mul_f32_e32 v13, v13, v12
	v_mul_f32_e32 v11, v11, v96
	v_pk_add_f32 v[4:5], v[4:5], v[8:9]
	s_waitcnt lgkmcnt(5)
	v_sub_f32_e32 v17, v19, v103
	v_mul_f32_e32 v15, v15, v14
	s_waitcnt lgkmcnt(3)
	v_mul_f32_e32 v13, v13, v98
	v_pk_add_f32 v[4:5], v[4:5], v[10:11]
	v_mul_f32_e32 v17, v17, v16
	s_waitcnt lgkmcnt(2)
	v_mul_f32_e32 v15, v15, v100
	v_pk_add_f32 v[4:5], v[4:5], v[12:13]
	v_sub_f32_e32 v6, v26, v104
	s_waitcnt lgkmcnt(1)
	v_mul_f32_e32 v17, v17, v102
	v_pk_add_f32 v[4:5], v[4:5], v[14:15]
	v_mul_f32_e32 v6, v6, v18
	v_pk_add_f32 v[4:5], v[4:5], v[16:17]
	s_waitcnt lgkmcnt(0)
	v_mul_f32_e32 v19, v6, v3
	v_pk_add_f32 v[26:27], v[4:5], v[18:19]
.LBB103_54:                             ;   in Loop: Header=BB103_55 Depth=1
	s_add_u32 s20, s20, s3
	s_addc_u32 s21, s21, 0
	v_mov_b64_e32 v[4:5], s[8:9]
	s_add_u32 s22, s22, s3
	v_cmp_ge_i64_e32 vcc, s[20:21], v[4:5]
	v_lshl_add_u64 v[54:55], v[54:55], 0, s[6:7]
	v_lshl_add_u64 v[56:57], v[56:57], 0, s[6:7]
	s_addc_u32 s23, s23, 0
	v_lshl_add_u64 v[22:23], v[22:23], 0, s[6:7]
	v_lshl_add_u64 v[24:25], v[24:25], 0, s[6:7]
	;; [unrolled: 1-line block ×28, first 2 shown]
	s_cbranch_vccnz .LBB103_81
.LBB103_55:                             ; =>This Inner Loop Header: Depth=1
	v_mov_b64_e32 v[4:5], s[8:9]
	v_cmp_ge_i64_e32 vcc, s[22:23], v[4:5]
	v_mov_b32_e32 v86, v26
	v_mov_b32_e32 v87, v27
	v_lshl_add_u64 v[88:89], v[20:21], 0, s[22:23]
	s_mov_b64 s[38:39], -1
                                        ; implicit-def: $vgpr27
	s_cbranch_vccz .LBB103_77
; %bb.56:                               ;   in Loop: Header=BB103_55 Depth=1
	s_load_dword s33, s[4:5], 0xc
	v_mov_b32_e32 v26, 0
	v_mov_b32_e32 v27, 0
	s_waitcnt lgkmcnt(0)
	s_and_b32 s33, s33, 0xffff
	v_mad_u32_u24 v3, v90, s33, v1
	v_and_b32_e32 v4, 63, v3
	v_cmp_gt_u32_e32 vcc, 8, v4
	s_and_saveexec_b64 s[38:39], vcc
	s_cbranch_execz .LBB103_60
; %bb.57:                               ;   in Loop: Header=BB103_55 Depth=1
	v_mov_b32_e32 v5, v2
	v_lshl_add_u64 v[4:5], v[88:89], 0, v[4:5]
	v_lshl_add_u64 v[4:5], v[4:5], 0, s[12:13]
	v_cmp_gt_i64_e32 vcc, s[8:9], v[4:5]
	v_mov_b32_e32 v27, 0
	v_mov_b32_e32 v26, 0
	s_and_saveexec_b64 s[40:41], vcc
	s_cbranch_execz .LBB103_59
; %bb.58:                               ;   in Loop: Header=BB103_55 Depth=1
	v_lshlrev_b64 v[4:5], 2, v[4:5]
	v_lshl_add_u64 v[6:7], s[18:19], 0, v[4:5]
	v_lshl_add_u64 v[4:5], s[16:17], 0, v[4:5]
	global_load_dword v27, v[4:5], off
	global_load_dword v26, v[6:7], off
.LBB103_59:                             ;   in Loop: Header=BB103_55 Depth=1
	s_or_b64 exec, exec, s[40:41]
.LBB103_60:                             ;   in Loop: Header=BB103_55 Depth=1
	s_or_b64 exec, exec, s[38:39]
	v_lshl_add_u64 v[4:5], v[88:89], 0, s[12:13]
	v_mov_b32_e32 v8, v2
	v_mov_b32_e32 v9, v2
	v_cmp_gt_i64_e32 vcc, s[8:9], v[4:5]
	v_mov_b32_e32 v3, v2
	v_mov_b32_e32 v4, v2
	;; [unrolled: 1-line block ×5, first 2 shown]
	v_mov_b64_e32 v[18:19], v[8:9]
	v_mov_b64_e32 v[16:17], v[6:7]
	v_mov_b64_e32 v[14:15], v[4:5]
	v_mov_b64_e32 v[12:13], v[2:3]
	v_mov_b64_e32 v[10:11], v[8:9]
	v_mov_b64_e32 v[8:9], v[6:7]
	v_mov_b64_e32 v[6:7], v[4:5]
	v_mov_b64_e32 v[4:5], v[2:3]
	s_and_saveexec_b64 s[38:39], vcc
	s_cbranch_execz .LBB103_62
; %bb.61:                               ;   in Loop: Header=BB103_55 Depth=1
	v_lshl_add_u64 v[4:5], v[54:55], 0, v[52:53]
	global_load_ushort v3, v[4:5], off
	v_lshl_add_u64 v[4:5], v[56:57], 0, v[52:53]
	global_load_ushort v12, v[4:5], off
	v_mov_b32_e32 v5, v2
	v_mov_b32_e32 v6, v2
	;; [unrolled: 1-line block ×14, first 2 shown]
	s_waitcnt vmcnt(1)
	v_lshlrev_b32_e32 v4, 16, v3
	s_waitcnt vmcnt(0)
	v_lshlrev_b32_e32 v12, 16, v12
.LBB103_62:                             ;   in Loop: Header=BB103_55 Depth=1
	s_or_b64 exec, exec, s[38:39]
	v_lshl_add_u64 v[92:93], v[88:89], 0, s[14:15]
	v_cmp_gt_i64_e32 vcc, s[8:9], v[92:93]
	s_and_saveexec_b64 s[38:39], vcc
	s_cbranch_execz .LBB103_64
; %bb.63:                               ;   in Loop: Header=BB103_55 Depth=1
	v_lshl_add_u64 v[92:93], v[82:83], 0, v[52:53]
	global_load_ushort v3, v[92:93], off
	v_lshl_add_u64 v[92:93], v[84:85], 0, v[52:53]
	global_load_ushort v13, v[92:93], off
	s_waitcnt vmcnt(1)
	v_lshlrev_b32_e32 v5, 16, v3
	s_waitcnt vmcnt(0)
	v_lshlrev_b32_e32 v13, 16, v13
.LBB103_64:                             ;   in Loop: Header=BB103_55 Depth=1
	s_or_b64 exec, exec, s[38:39]
	v_lshl_add_u64 v[92:93], v[88:89], 0, s[24:25]
	v_cmp_gt_i64_e32 vcc, s[8:9], v[92:93]
	s_and_saveexec_b64 s[38:39], vcc
	s_cbranch_execz .LBB103_66
; %bb.65:                               ;   in Loop: Header=BB103_55 Depth=1
	v_lshl_add_u64 v[92:93], v[78:79], 0, v[52:53]
	global_load_ushort v3, v[92:93], off
	v_lshl_add_u64 v[92:93], v[80:81], 0, v[52:53]
	global_load_ushort v14, v[92:93], off
	s_waitcnt vmcnt(1)
	v_lshlrev_b32_e32 v6, 16, v3
	s_waitcnt vmcnt(0)
	v_lshlrev_b32_e32 v14, 16, v14
.LBB103_66:                             ;   in Loop: Header=BB103_55 Depth=1
	;; [unrolled: 15-line block ×7, first 2 shown]
	s_or_b64 exec, exec, s[38:39]
	s_waitcnt vmcnt(1)
	ds_bpermute_b32 v3, v91, v27
	s_waitcnt vmcnt(0)
	ds_bpermute_b32 v92, v91, v26
	ds_bpermute_b32 v95, v91, v27 offset:4
	ds_bpermute_b32 v94, v91, v26 offset:4
	;; [unrolled: 1-line block ×3, first 2 shown]
	s_waitcnt lgkmcnt(4)
	v_sub_f32_e32 v3, v12, v3
	v_mul_f32_e32 v3, v4, v3
	ds_bpermute_b32 v12, v91, v26 offset:8
	s_waitcnt lgkmcnt(4)
	v_mul_f32_e32 v93, v3, v92
	s_waitcnt lgkmcnt(3)
	v_sub_f32_e32 v3, v13, v95
	v_mul_f32_e32 v3, v5, v3
	s_waitcnt lgkmcnt(2)
	v_mul_f32_e32 v13, v3, v94
	s_waitcnt lgkmcnt(1)
	v_sub_f32_e32 v3, v14, v96
	ds_bpermute_b32 v14, v91, v27 offset:12
	v_mul_f32_e32 v3, v6, v3
	s_waitcnt lgkmcnt(1)
	v_mul_f32_e32 v95, v3, v12
	ds_bpermute_b32 v3, v91, v26 offset:12
	ds_bpermute_b32 v12, v91, v27 offset:16
	ds_bpermute_b32 v92, v91, v26 offset:16
	s_waitcnt lgkmcnt(3)
	v_sub_f32_e32 v14, v15, v14
	v_mul_f32_e32 v14, v7, v14
	s_waitcnt lgkmcnt(2)
	v_mul_f32_e32 v15, v14, v3
	s_waitcnt lgkmcnt(1)
	v_sub_f32_e32 v3, v16, v12
	ds_bpermute_b32 v12, v91, v27 offset:20
	v_mul_f32_e32 v3, v8, v3
	s_waitcnt lgkmcnt(1)
	v_mul_f32_e32 v97, v3, v92
	ds_bpermute_b32 v3, v91, v26 offset:20
	ds_bpermute_b32 v14, v91, v27 offset:24
	;; [unrolled: 1-line block ×3, first 2 shown]
	s_waitcnt lgkmcnt(3)
	v_sub_f32_e32 v12, v17, v12
	v_mul_f32_e32 v12, v9, v12
	s_waitcnt lgkmcnt(2)
	v_mul_f32_e32 v17, v12, v3
	s_waitcnt lgkmcnt(1)
	v_sub_f32_e32 v3, v18, v14
	v_mul_f32_e32 v3, v10, v3
	s_waitcnt lgkmcnt(0)
	v_mul_f32_e32 v99, v3, v16
	v_mov_b32_e32 v92, v4
	ds_bpermute_b32 v3, v91, v27 offset:28
	v_pk_add_f32 v[92:93], v[86:87], v[92:93]
	v_mov_b32_e32 v12, v5
	v_pk_add_f32 v[4:5], v[12:13], v[92:93]
	v_mov_b32_e32 v94, v6
	ds_bpermute_b32 v6, v91, v26 offset:28
	v_pk_add_f32 v[4:5], v[94:95], v[4:5]
	v_mov_b32_e32 v14, v7
	v_pk_add_f32 v[4:5], v[14:15], v[4:5]
	v_mov_b32_e32 v96, v8
	;; [unrolled: 2-line block ×3, first 2 shown]
	s_waitcnt lgkmcnt(1)
	v_sub_f32_e32 v3, v19, v3
	v_pk_add_f32 v[4:5], v[16:17], v[4:5]
	v_mov_b32_e32 v98, v10
	v_mul_f32_e32 v3, v11, v3
	v_pk_add_f32 v[4:5], v[98:99], v[4:5]
	s_waitcnt lgkmcnt(0)
	v_mul_f32_e32 v7, v3, v6
	v_mov_b32_e32 v6, v11
	v_pk_add_f32 v[26:27], v[6:7], v[4:5]
	s_mov_b64 s[38:39], 0
.LBB103_77:                             ;   in Loop: Header=BB103_55 Depth=1
	s_and_b64 vcc, exec, s[38:39]
	s_cbranch_vccz .LBB103_54
; %bb.78:                               ;   in Loop: Header=BB103_55 Depth=1
	s_load_dword s33, s[4:5], 0x0
	v_mov_b32_e32 v3, 0
	v_mov_b32_e32 v6, 0
	s_waitcnt lgkmcnt(0)
	s_cmp_lt_u32 s2, s33
	s_cselect_b32 s33, 12, 18
	s_add_u32 s38, s4, s33
	s_addc_u32 s39, s5, 0
	global_load_ushort v4, v2, s[38:39]
	s_waitcnt vmcnt(0)
	v_mad_u32_u24 v4, v90, v4, v1
	v_and_b32_e32 v4, 63, v4
	v_cmp_gt_u32_e32 vcc, 8, v4
	s_and_saveexec_b64 s[38:39], vcc
	s_cbranch_execz .LBB103_53
; %bb.79:                               ;   in Loop: Header=BB103_55 Depth=1
	v_mov_b32_e32 v5, v2
	v_lshl_add_u64 v[4:5], v[88:89], 0, v[4:5]
	v_lshl_add_u64 v[4:5], v[4:5], 0, s[12:13]
	v_cmp_gt_i64_e32 vcc, s[8:9], v[4:5]
	v_mov_b32_e32 v6, 0
	v_mov_b32_e32 v3, 0
	s_and_saveexec_b64 s[40:41], vcc
	s_cbranch_execz .LBB103_52
; %bb.80:                               ;   in Loop: Header=BB103_55 Depth=1
	v_lshlrev_b64 v[4:5], 2, v[4:5]
	v_lshl_add_u64 v[8:9], s[18:19], 0, v[4:5]
	v_lshl_add_u64 v[4:5], s[16:17], 0, v[4:5]
	global_load_dword v6, v[4:5], off
	global_load_dword v3, v[8:9], off
	s_branch .LBB103_52
.LBB103_81:
	v_and_b32_e32 v1, 0x3ff, v0
	v_bfe_u32 v2, v0, 10, 10
	s_movk_i32 s3, 0x41
	v_bfe_u32 v0, v0, 6, 4
	v_mad_u32_u24 v3, v2, s3, v1
	v_add_u32_e32 v0, v0, v2
	v_lshl_add_u32 v3, v3, 2, 0
	v_cmp_gt_u32_e32 vcc, 64, v0
	ds_write_b32 v3, v27
	ds_write_b32 v3, v26 offset:4160
	s_waitcnt lgkmcnt(0)
	s_barrier
	s_and_saveexec_b64 s[4:5], vcc
	s_cbranch_execz .LBB103_113
; %bb.82:
	s_load_dwordx4 s[12:15], s[0:1], 0x30
	v_and_b32_e32 v2, 63, v1
	v_cmp_lt_u32_e64 s[4:5], 15, v2
	v_cmp_gt_u32_e64 s[0:1], 16, v2
	v_mul_u32_u24_e32 v6, 0x41, v2
                                        ; implicit-def: $vgpr2
	s_and_saveexec_b64 s[6:7], s[0:1]
	s_cbranch_execz .LBB103_84
; %bb.83:
	v_add_u32_e32 v2, v0, v6
	v_lshl_add_u32 v2, v2, 2, 0
	ds_read_b32 v3, v2
	ds_read_b32 v2, v2 offset:4160
.LBB103_84:
	s_or_b64 exec, exec, s[6:7]
	v_mbcnt_lo_u32_b32 v4, -1, 0
	v_mbcnt_hi_u32_b32 v10, -1, v4
	v_and_b32_e32 v4, 64, v10
	v_add_u32_e32 v11, 64, v4
	v_xor_b32_e32 v4, 8, v10
	v_cmp_lt_i32_e32 vcc, v4, v11
	v_xor_b32_e32 v8, 4, v10
	v_xor_b32_e32 v9, 2, v10
	v_cndmask_b32_e32 v4, v10, v4, vcc
	v_lshlrev_b32_e32 v7, 2, v4
	s_waitcnt lgkmcnt(0)
	ds_bpermute_b32 v5, v7, v3
	ds_bpermute_b32 v4, v7, v2
	v_cmp_lt_i32_e32 vcc, v8, v11
	s_mov_b32 s3, 0
	s_lshl_b64 s[8:9], s[2:3], 6
	v_cndmask_b32_e32 v8, v10, v8, vcc
	v_lshlrev_b32_e32 v8, 2, v8
	s_waitcnt lgkmcnt(0)
	v_pk_add_f32 v[2:3], v[2:3], v[4:5]
	ds_bpermute_b32 v5, v8, v3
	ds_bpermute_b32 v4, v8, v2
	v_cmp_lt_i32_e32 vcc, v9, v11
	v_cmp_eq_u32_e64 s[2:3], 0, v1
	v_xor_b32_e32 v1, 1, v10
	v_cndmask_b32_e32 v9, v10, v9, vcc
	v_lshlrev_b32_e32 v9, 2, v9
	s_waitcnt lgkmcnt(0)
	v_pk_add_f32 v[2:3], v[2:3], v[4:5]
	ds_bpermute_b32 v5, v9, v3
	ds_bpermute_b32 v4, v9, v2
	v_cmp_lt_i32_e32 vcc, v1, v11
	s_cmp_lg_u64 s[12:13], 0
	s_cselect_b64 s[16:17], -1, 0
	v_cndmask_b32_e32 v1, v10, v1, vcc
	s_waitcnt lgkmcnt(0)
	v_pk_add_f32 v[2:3], v[2:3], v[4:5]
	v_lshlrev_b32_e32 v10, 2, v1
	ds_bpermute_b32 v5, v10, v3
	ds_bpermute_b32 v4, v10, v2
	s_cmp_lg_u64 s[14:15], 0
	s_cselect_b64 s[6:7], -1, 0
	v_mov_b32_e32 v1, 0
	s_waitcnt lgkmcnt(0)
	v_pk_add_f32 v[2:3], v[2:3], v[4:5]
	v_or_b32_e32 v4, s8, v0
	v_mov_b32_e32 v5, s9
	v_cmp_gt_i64_e32 vcc, s[10:11], v[4:5]
	s_and_b64 s[20:21], s[2:3], vcc
	s_and_saveexec_b64 s[18:19], s[20:21]
	s_cbranch_execz .LBB103_89
; %bb.85:
	s_andn2_b64 vcc, exec, s[16:17]
	s_cbranch_vccnz .LBB103_87
; %bb.86:
	v_bfe_u32 v11, v3, 16, 1
	s_movk_i32 s20, 0x7fff
	v_add3_u32 v11, v3, v11, s20
	v_cmp_o_f32_e32 vcc, v3, v3
	v_mov_b32_e32 v12, 0x7fc0
	s_nop 0
	v_cndmask_b32_sdwa v11, v12, v11, vcc dst_sel:DWORD dst_unused:UNUSED_PAD src0_sel:DWORD src1_sel:WORD_1
	v_lshl_add_u64 v[12:13], v[4:5], 1, s[12:13]
	global_store_short v[12:13], v11, off
.LBB103_87:
	s_andn2_b64 vcc, exec, s[6:7]
	s_cbranch_vccnz .LBB103_89
; %bb.88:
	v_bfe_u32 v11, v2, 16, 1
	s_movk_i32 s20, 0x7fff
	v_add3_u32 v11, v2, v11, s20
	v_cmp_o_f32_e32 vcc, v2, v2
	v_mov_b32_e32 v12, 0x7fc0
	v_lshl_add_u64 v[4:5], v[4:5], 1, s[14:15]
	v_cndmask_b32_sdwa v11, v12, v11, vcc dst_sel:DWORD dst_unused:UNUSED_PAD src0_sel:DWORD src1_sel:WORD_1
	global_store_short v[4:5], v11, off
.LBB103_89:
	s_or_b64 exec, exec, s[18:19]
	v_cmp_gt_u32_e32 vcc, 48, v0
	s_and_b64 exec, exec, vcc
	s_cbranch_execz .LBB103_113
; %bb.90:
	s_and_saveexec_b64 s[18:19], s[4:5]
	s_xor_b64 s[18:19], exec, s[18:19]
	s_andn2_saveexec_b64 s[18:19], s[18:19]
	s_cbranch_execz .LBB103_92
; %bb.91:
	v_add_u32_e32 v2, v0, v6
	v_lshl_add_u32 v2, v2, 2, 0
	ds_read_b32 v3, v2 offset:64
	ds_read_b32 v2, v2 offset:4224
.LBB103_92:
	s_or_b64 exec, exec, s[18:19]
	s_waitcnt lgkmcnt(1)
	ds_bpermute_b32 v5, v7, v3
	s_waitcnt lgkmcnt(1)
	ds_bpermute_b32 v4, v7, v2
	v_add_u32_e32 v12, 16, v0
	v_mov_b32_e32 v13, 0
	v_lshl_add_u64 v[12:13], s[8:9], 0, v[12:13]
	v_cmp_gt_i64_e32 vcc, s[10:11], v[12:13]
	s_waitcnt lgkmcnt(0)
	v_pk_add_f32 v[2:3], v[2:3], v[4:5]
	ds_bpermute_b32 v5, v8, v3
	ds_bpermute_b32 v4, v8, v2
	s_and_b64 s[20:21], s[2:3], vcc
	s_waitcnt lgkmcnt(0)
	v_pk_add_f32 v[2:3], v[2:3], v[4:5]
	ds_bpermute_b32 v5, v9, v3
	ds_bpermute_b32 v4, v9, v2
	s_waitcnt lgkmcnt(0)
	v_pk_add_f32 v[2:3], v[2:3], v[4:5]
	ds_bpermute_b32 v5, v10, v3
	ds_bpermute_b32 v4, v10, v2
	s_waitcnt lgkmcnt(0)
	v_pk_add_f32 v[2:3], v[2:3], v[4:5]
	s_and_saveexec_b64 s[18:19], s[20:21]
	s_cbranch_execz .LBB103_97
; %bb.93:
	s_andn2_b64 vcc, exec, s[16:17]
	s_cbranch_vccnz .LBB103_95
; %bb.94:
	v_bfe_u32 v4, v3, 16, 1
	s_movk_i32 s20, 0x7fff
	v_add3_u32 v4, v3, v4, s20
	v_cmp_o_f32_e32 vcc, v3, v3
	v_mov_b32_e32 v5, 0x7fc0
	s_nop 0
	v_cndmask_b32_sdwa v11, v5, v4, vcc dst_sel:DWORD dst_unused:UNUSED_PAD src0_sel:DWORD src1_sel:WORD_1
	v_lshl_add_u64 v[4:5], s[8:9], 0, v[0:1]
	v_lshl_add_u64 v[4:5], v[4:5], 1, s[12:13]
	global_store_short v[4:5], v11, off offset:32
.LBB103_95:
	s_andn2_b64 vcc, exec, s[6:7]
	s_cbranch_vccnz .LBB103_97
; %bb.96:
	v_bfe_u32 v4, v2, 16, 1
	s_movk_i32 s20, 0x7fff
	v_add3_u32 v4, v2, v4, s20
	v_cmp_o_f32_e32 vcc, v2, v2
	v_mov_b32_e32 v5, 0x7fc0
	s_nop 0
	v_cndmask_b32_sdwa v11, v5, v4, vcc dst_sel:DWORD dst_unused:UNUSED_PAD src0_sel:DWORD src1_sel:WORD_1
	v_lshl_add_u64 v[4:5], s[8:9], 0, v[0:1]
	v_lshl_add_u64 v[4:5], v[4:5], 1, s[14:15]
	global_store_short v[4:5], v11, off offset:32
.LBB103_97:
	s_or_b64 exec, exec, s[18:19]
	v_cmp_gt_u32_e32 vcc, 32, v0
	s_and_b64 exec, exec, vcc
	s_cbranch_execz .LBB103_113
; %bb.98:
	s_and_saveexec_b64 s[18:19], s[4:5]
	s_xor_b64 s[4:5], exec, s[18:19]
	s_andn2_saveexec_b64 s[4:5], s[4:5]
	s_cbranch_execz .LBB103_100
; %bb.99:
	v_add_u32_e32 v2, v0, v6
	v_lshl_add_u32 v2, v2, 2, 0
	ds_read_b32 v3, v2 offset:128
	ds_read_b32 v2, v2 offset:4288
.LBB103_100:
	s_or_b64 exec, exec, s[4:5]
	s_waitcnt lgkmcnt(1)
	ds_bpermute_b32 v5, v7, v3
	s_waitcnt lgkmcnt(1)
	ds_bpermute_b32 v4, v7, v2
	v_add_u32_e32 v11, 32, v0
	v_mov_b32_e32 v13, s9
	v_or_b32_e32 v12, s8, v11
	v_cmp_gt_i64_e32 vcc, s[10:11], v[12:13]
	s_waitcnt lgkmcnt(0)
	v_pk_add_f32 v[2:3], v[2:3], v[4:5]
	ds_bpermute_b32 v5, v8, v3
	ds_bpermute_b32 v4, v8, v2
	s_and_b64 s[18:19], s[2:3], vcc
	s_waitcnt lgkmcnt(0)
	v_pk_add_f32 v[2:3], v[2:3], v[4:5]
	ds_bpermute_b32 v5, v9, v3
	ds_bpermute_b32 v4, v9, v2
	s_waitcnt lgkmcnt(0)
	v_pk_add_f32 v[2:3], v[2:3], v[4:5]
	ds_bpermute_b32 v5, v10, v3
	ds_bpermute_b32 v4, v10, v2
	s_waitcnt lgkmcnt(0)
	v_pk_add_f32 v[2:3], v[2:3], v[4:5]
	s_and_saveexec_b64 s[4:5], s[18:19]
	s_cbranch_execz .LBB103_105
; %bb.101:
	s_andn2_b64 vcc, exec, s[16:17]
	s_cbranch_vccnz .LBB103_103
; %bb.102:
	v_bfe_u32 v4, v3, 16, 1
	s_movk_i32 s18, 0x7fff
	v_add3_u32 v4, v3, v4, s18
	v_cmp_o_f32_e32 vcc, v3, v3
	v_mov_b32_e32 v5, 0x7fc0
	s_nop 0
	v_cndmask_b32_sdwa v11, v5, v4, vcc dst_sel:DWORD dst_unused:UNUSED_PAD src0_sel:DWORD src1_sel:WORD_1
	v_lshl_add_u64 v[4:5], s[8:9], 0, v[0:1]
	v_lshl_add_u64 v[4:5], v[4:5], 1, s[12:13]
	global_store_short v[4:5], v11, off offset:64
.LBB103_103:
	s_andn2_b64 vcc, exec, s[6:7]
	s_cbranch_vccnz .LBB103_105
; %bb.104:
	v_bfe_u32 v4, v2, 16, 1
	s_movk_i32 s18, 0x7fff
	v_add3_u32 v4, v2, v4, s18
	v_cmp_o_f32_e32 vcc, v2, v2
	v_mov_b32_e32 v5, 0x7fc0
	s_nop 0
	v_cndmask_b32_sdwa v11, v5, v4, vcc dst_sel:DWORD dst_unused:UNUSED_PAD src0_sel:DWORD src1_sel:WORD_1
	v_lshl_add_u64 v[4:5], s[8:9], 0, v[0:1]
	v_lshl_add_u64 v[4:5], v[4:5], 1, s[14:15]
	global_store_short v[4:5], v11, off offset:64
.LBB103_105:
	s_or_b64 exec, exec, s[4:5]
	v_cmp_gt_u32_e32 vcc, 16, v0
	s_and_b64 exec, exec, vcc
	s_cbranch_execz .LBB103_113
; %bb.106:
	s_and_saveexec_b64 s[4:5], s[0:1]
	s_cbranch_execz .LBB103_108
; %bb.107:
	v_add_u32_e32 v2, v0, v6
	v_lshl_add_u32 v2, v2, 2, 0
	ds_read_b32 v3, v2 offset:192
	ds_read_b32 v2, v2 offset:4352
.LBB103_108:
	s_or_b64 exec, exec, s[4:5]
	s_waitcnt lgkmcnt(1)
	ds_bpermute_b32 v4, v7, v3
	s_waitcnt lgkmcnt(1)
	ds_bpermute_b32 v5, v7, v2
	v_add_u32_e32 v6, 48, v0
	v_or_b32_e32 v6, s8, v6
	v_mov_b32_e32 v7, s9
	s_waitcnt lgkmcnt(1)
	v_add_f32_e32 v3, v3, v4
	s_waitcnt lgkmcnt(0)
	v_add_f32_e32 v2, v2, v5
	ds_bpermute_b32 v4, v8, v3
	ds_bpermute_b32 v5, v8, v2
	v_cmp_gt_i64_e32 vcc, s[10:11], v[6:7]
	s_and_b64 s[0:1], s[2:3], vcc
	s_waitcnt lgkmcnt(1)
	v_add_f32_e32 v3, v3, v4
	s_waitcnt lgkmcnt(0)
	v_add_f32_e32 v2, v2, v5
	ds_bpermute_b32 v4, v9, v3
	ds_bpermute_b32 v5, v9, v2
	s_waitcnt lgkmcnt(1)
	v_add_f32_e32 v4, v3, v4
	s_waitcnt lgkmcnt(0)
	v_add_f32_e32 v2, v2, v5
	ds_bpermute_b32 v5, v10, v4
	ds_bpermute_b32 v3, v10, v2
	s_and_b64 exec, exec, s[0:1]
	s_cbranch_execz .LBB103_113
; %bb.109:
	s_andn2_b64 vcc, exec, s[16:17]
	v_lshl_add_u64 v[0:1], s[8:9], 0, v[0:1]
	s_cbranch_vccnz .LBB103_111
; %bb.110:
	s_waitcnt lgkmcnt(1)
	v_add_f32_e32 v4, v4, v5
	v_bfe_u32 v5, v4, 16, 1
	s_movk_i32 s0, 0x7fff
	v_add3_u32 v5, v4, v5, s0
	v_cmp_o_f32_e32 vcc, v4, v4
	v_mov_b32_e32 v4, 0x7fc0
	s_nop 0
	v_cndmask_b32_sdwa v6, v4, v5, vcc dst_sel:DWORD dst_unused:UNUSED_PAD src0_sel:DWORD src1_sel:WORD_1
	v_lshl_add_u64 v[4:5], v[0:1], 1, s[12:13]
	global_store_short v[4:5], v6, off offset:96
.LBB103_111:
	s_andn2_b64 vcc, exec, s[6:7]
	s_cbranch_vccnz .LBB103_113
; %bb.112:
	s_waitcnt lgkmcnt(0)
	v_add_f32_e32 v2, v2, v3
	v_bfe_u32 v3, v2, 16, 1
	s_movk_i32 s0, 0x7fff
	v_add3_u32 v3, v2, v3, s0
	v_cmp_o_f32_e32 vcc, v2, v2
	v_mov_b32_e32 v2, 0x7fc0
	v_lshl_add_u64 v[0:1], v[0:1], 1, s[14:15]
	v_cndmask_b32_sdwa v2, v2, v3, vcc dst_sel:DWORD dst_unused:UNUSED_PAD src0_sel:DWORD src1_sel:WORD_1
	global_store_short v[0:1], v2, off offset:96
.LBB103_113:
	s_endpgm
	.section	.rodata,"a",@progbits
	.p2align	6, 0x0
	.amdhsa_kernel _ZN2at6native12_GLOBAL__N_135GammaBetaBackwardCUDAKernelTemplateIN3c108BFloat16EfLj64ELj16ELj128ELb0ELb0ELb0EEEvllPKT_S7_PKT0_SA_PS5_SB_
		.amdhsa_group_segment_fixed_size 0
		.amdhsa_private_segment_fixed_size 0
		.amdhsa_kernarg_size 320
		.amdhsa_user_sgpr_count 2
		.amdhsa_user_sgpr_dispatch_ptr 0
		.amdhsa_user_sgpr_queue_ptr 0
		.amdhsa_user_sgpr_kernarg_segment_ptr 1
		.amdhsa_user_sgpr_dispatch_id 0
		.amdhsa_user_sgpr_kernarg_preload_length 0
		.amdhsa_user_sgpr_kernarg_preload_offset 0
		.amdhsa_user_sgpr_private_segment_size 0
		.amdhsa_uses_dynamic_stack 0
		.amdhsa_enable_private_segment 0
		.amdhsa_system_sgpr_workgroup_id_x 1
		.amdhsa_system_sgpr_workgroup_id_y 1
		.amdhsa_system_sgpr_workgroup_id_z 0
		.amdhsa_system_sgpr_workgroup_info 0
		.amdhsa_system_vgpr_workitem_id 1
		.amdhsa_next_free_vgpr 105
		.amdhsa_next_free_sgpr 52
		.amdhsa_accum_offset 108
		.amdhsa_reserve_vcc 1
		.amdhsa_float_round_mode_32 0
		.amdhsa_float_round_mode_16_64 0
		.amdhsa_float_denorm_mode_32 3
		.amdhsa_float_denorm_mode_16_64 3
		.amdhsa_dx10_clamp 1
		.amdhsa_ieee_mode 1
		.amdhsa_fp16_overflow 0
		.amdhsa_tg_split 0
		.amdhsa_exception_fp_ieee_invalid_op 0
		.amdhsa_exception_fp_denorm_src 0
		.amdhsa_exception_fp_ieee_div_zero 0
		.amdhsa_exception_fp_ieee_overflow 0
		.amdhsa_exception_fp_ieee_underflow 0
		.amdhsa_exception_fp_ieee_inexact 0
		.amdhsa_exception_int_div_zero 0
	.end_amdhsa_kernel
	.section	.text._ZN2at6native12_GLOBAL__N_135GammaBetaBackwardCUDAKernelTemplateIN3c108BFloat16EfLj64ELj16ELj128ELb0ELb0ELb0EEEvllPKT_S7_PKT0_SA_PS5_SB_,"axG",@progbits,_ZN2at6native12_GLOBAL__N_135GammaBetaBackwardCUDAKernelTemplateIN3c108BFloat16EfLj64ELj16ELj128ELb0ELb0ELb0EEEvllPKT_S7_PKT0_SA_PS5_SB_,comdat
.Lfunc_end103:
	.size	_ZN2at6native12_GLOBAL__N_135GammaBetaBackwardCUDAKernelTemplateIN3c108BFloat16EfLj64ELj16ELj128ELb0ELb0ELb0EEEvllPKT_S7_PKT0_SA_PS5_SB_, .Lfunc_end103-_ZN2at6native12_GLOBAL__N_135GammaBetaBackwardCUDAKernelTemplateIN3c108BFloat16EfLj64ELj16ELj128ELb0ELb0ELb0EEEvllPKT_S7_PKT0_SA_PS5_SB_
                                        ; -- End function
	.set _ZN2at6native12_GLOBAL__N_135GammaBetaBackwardCUDAKernelTemplateIN3c108BFloat16EfLj64ELj16ELj128ELb0ELb0ELb0EEEvllPKT_S7_PKT0_SA_PS5_SB_.num_vgpr, 105
	.set _ZN2at6native12_GLOBAL__N_135GammaBetaBackwardCUDAKernelTemplateIN3c108BFloat16EfLj64ELj16ELj128ELb0ELb0ELb0EEEvllPKT_S7_PKT0_SA_PS5_SB_.num_agpr, 0
	.set _ZN2at6native12_GLOBAL__N_135GammaBetaBackwardCUDAKernelTemplateIN3c108BFloat16EfLj64ELj16ELj128ELb0ELb0ELb0EEEvllPKT_S7_PKT0_SA_PS5_SB_.numbered_sgpr, 52
	.set _ZN2at6native12_GLOBAL__N_135GammaBetaBackwardCUDAKernelTemplateIN3c108BFloat16EfLj64ELj16ELj128ELb0ELb0ELb0EEEvllPKT_S7_PKT0_SA_PS5_SB_.num_named_barrier, 0
	.set _ZN2at6native12_GLOBAL__N_135GammaBetaBackwardCUDAKernelTemplateIN3c108BFloat16EfLj64ELj16ELj128ELb0ELb0ELb0EEEvllPKT_S7_PKT0_SA_PS5_SB_.private_seg_size, 0
	.set _ZN2at6native12_GLOBAL__N_135GammaBetaBackwardCUDAKernelTemplateIN3c108BFloat16EfLj64ELj16ELj128ELb0ELb0ELb0EEEvllPKT_S7_PKT0_SA_PS5_SB_.uses_vcc, 1
	.set _ZN2at6native12_GLOBAL__N_135GammaBetaBackwardCUDAKernelTemplateIN3c108BFloat16EfLj64ELj16ELj128ELb0ELb0ELb0EEEvllPKT_S7_PKT0_SA_PS5_SB_.uses_flat_scratch, 0
	.set _ZN2at6native12_GLOBAL__N_135GammaBetaBackwardCUDAKernelTemplateIN3c108BFloat16EfLj64ELj16ELj128ELb0ELb0ELb0EEEvllPKT_S7_PKT0_SA_PS5_SB_.has_dyn_sized_stack, 0
	.set _ZN2at6native12_GLOBAL__N_135GammaBetaBackwardCUDAKernelTemplateIN3c108BFloat16EfLj64ELj16ELj128ELb0ELb0ELb0EEEvllPKT_S7_PKT0_SA_PS5_SB_.has_recursion, 0
	.set _ZN2at6native12_GLOBAL__N_135GammaBetaBackwardCUDAKernelTemplateIN3c108BFloat16EfLj64ELj16ELj128ELb0ELb0ELb0EEEvllPKT_S7_PKT0_SA_PS5_SB_.has_indirect_call, 0
	.section	.AMDGPU.csdata,"",@progbits
; Kernel info:
; codeLenInByte = 8664
; TotalNumSgprs: 58
; NumVgprs: 105
; NumAgprs: 0
; TotalNumVgprs: 105
; ScratchSize: 0
; MemoryBound: 0
; FloatMode: 240
; IeeeMode: 1
; LDSByteSize: 0 bytes/workgroup (compile time only)
; SGPRBlocks: 7
; VGPRBlocks: 13
; NumSGPRsForWavesPerEU: 58
; NumVGPRsForWavesPerEU: 105
; AccumOffset: 108
; Occupancy: 4
; WaveLimiterHint : 0
; COMPUTE_PGM_RSRC2:SCRATCH_EN: 0
; COMPUTE_PGM_RSRC2:USER_SGPR: 2
; COMPUTE_PGM_RSRC2:TRAP_HANDLER: 0
; COMPUTE_PGM_RSRC2:TGID_X_EN: 1
; COMPUTE_PGM_RSRC2:TGID_Y_EN: 1
; COMPUTE_PGM_RSRC2:TGID_Z_EN: 0
; COMPUTE_PGM_RSRC2:TIDIG_COMP_CNT: 1
; COMPUTE_PGM_RSRC3_GFX90A:ACCUM_OFFSET: 26
; COMPUTE_PGM_RSRC3_GFX90A:TG_SPLIT: 0
	.section	.text._ZN2at6native12_GLOBAL__N_135GammaBetaBackwardCUDAKernelTemplateIN3c108BFloat16EfLj64ELj16ELj256ELb0ELb1ELb0EEEvllPKT_S7_PKT0_SA_PS5_SB_,"axG",@progbits,_ZN2at6native12_GLOBAL__N_135GammaBetaBackwardCUDAKernelTemplateIN3c108BFloat16EfLj64ELj16ELj256ELb0ELb1ELb0EEEvllPKT_S7_PKT0_SA_PS5_SB_,comdat
	.globl	_ZN2at6native12_GLOBAL__N_135GammaBetaBackwardCUDAKernelTemplateIN3c108BFloat16EfLj64ELj16ELj256ELb0ELb1ELb0EEEvllPKT_S7_PKT0_SA_PS5_SB_ ; -- Begin function _ZN2at6native12_GLOBAL__N_135GammaBetaBackwardCUDAKernelTemplateIN3c108BFloat16EfLj64ELj16ELj256ELb0ELb1ELb0EEEvllPKT_S7_PKT0_SA_PS5_SB_
	.p2align	8
	.type	_ZN2at6native12_GLOBAL__N_135GammaBetaBackwardCUDAKernelTemplateIN3c108BFloat16EfLj64ELj16ELj256ELb0ELb1ELb0EEEvllPKT_S7_PKT0_SA_PS5_SB_,@function
_ZN2at6native12_GLOBAL__N_135GammaBetaBackwardCUDAKernelTemplateIN3c108BFloat16EfLj64ELj16ELj256ELb0ELb1ELb0EEEvllPKT_S7_PKT0_SA_PS5_SB_: ; @_ZN2at6native12_GLOBAL__N_135GammaBetaBackwardCUDAKernelTemplateIN3c108BFloat16EfLj64ELj16ELj256ELb0ELb1ELb0EEEvllPKT_S7_PKT0_SA_PS5_SB_
; %bb.0:
	s_load_dwordx4 s[16:19], s[0:1], 0x0
	s_lshl_b32 s20, s3, 8
	s_mov_b32 s21, 0
	v_mov_b64_e32 v[2:3], s[20:21]
	v_bfe_u32 v12, v0, 10, 10
	s_waitcnt lgkmcnt(0)
	v_cmp_gt_i64_e32 vcc, s[16:17], v[2:3]
	s_cbranch_vccnz .LBB104_2
; %bb.1:
	s_mov_b64 s[4:5], 0
	v_bfe_u32 v1, v0, 10, 10
	s_branch .LBB104_3
.LBB104_2:
	s_mov_b64 s[4:5], -1
                                        ; implicit-def: $vgpr1
.LBB104_3:
	s_load_dwordx4 s[12:15], s[0:1], 0x30
	v_mov_b32_e32 v9, 0
	v_and_b32_e32 v10, 0x3ff, v0
	s_andn2_b64 vcc, exec, s[4:5]
	v_mbcnt_lo_u32_b32 v11, -1, 0
	v_mov_b32_e32 v8, v9
	s_cbranch_vccnz .LBB104_11
; %bb.4:
	s_load_dword s3, s[0:1], 0x4c
	s_load_dword s22, s[0:1], 0x44
	s_load_dwordx8 s[4:11], s[0:1], 0x10
	v_lshlrev_b32_e32 v8, 4, v12
	v_mov_b32_e32 v9, 0
	s_waitcnt lgkmcnt(0)
	s_and_b32 s0, s3, 0xffff
	v_mad_u32_u24 v0, v12, s0, v10
	v_and_b32_e32 v0, 63, v0
	v_mov_b32_e32 v1, v9
	v_lshl_add_u64 v[6:7], v[8:9], 0, s[20:21]
	v_cmp_gt_u32_e64 s[0:1], 16, v0
	v_mbcnt_hi_u32_b32 v2, -1, v11
	s_lshl_b32 s22, s22, 8
	v_lshl_add_u64 v[0:1], v[6:7], 0, v[0:1]
	v_mul_lo_u32 v8, s19, v6
	v_mul_lo_u32 v29, s18, v7
	v_mad_u64_u32 v[6:7], s[26:27], s18, v6, 0
	v_lshl_add_u32 v4, s2, 6, v10
	v_mov_b32_e32 v5, v9
	v_lshlrev_b32_e32 v2, 2, v2
	s_mul_i32 s3, s19, s22
	s_mul_hi_u32 s26, s18, s22
	s_mov_b32 s23, 0
	v_and_b32_e32 v13, 0x100, v2
	v_add3_u32 v7, v7, v29, v8
	v_lshlrev_b64 v[4:5], 1, v[4:5]
	s_add_i32 s27, s26, s3
	s_mul_i32 s26, s18, s22
	v_or_b32_e32 v14, 4, v13
	v_or_b32_e32 v15, 8, v13
	;; [unrolled: 1-line block ×15, first 2 shown]
	v_lshlrev_b64 v[2:3], 2, v[0:1]
	s_lshl_b64 s[24:25], s[22:23], 2
	v_lshl_add_u64 v[4:5], v[6:7], 1, v[4:5]
	s_lshl_b64 s[26:27], s[26:27], 1
	s_lshl_b64 s[18:19], s[18:19], 1
	v_mov_b64_e32 v[6:7], s[16:17]
	v_mov_b32_e32 v8, v9
	s_branch .LBB104_7
.LBB104_5:                              ;   in Loop: Header=BB104_7 Depth=1
	s_or_b64 exec, exec, s[30:31]
.LBB104_6:                              ;   in Loop: Header=BB104_7 Depth=1
	s_or_b64 exec, exec, s[28:29]
	v_lshl_add_u64 v[32:33], s[6:7], 0, v[4:5]
	global_load_ushort v31, v[32:33], off
	v_lshl_add_u64 v[34:35], s[4:5], 0, v[4:5]
	global_load_ushort v36, v[34:35], off
	v_lshl_add_u64 v[32:33], v[32:33], 0, s[18:19]
	global_load_ushort v38, v[32:33], off
	v_lshl_add_u64 v[34:35], v[34:35], 0, s[18:19]
	global_load_ushort v39, v[34:35], off
	v_lshl_add_u64 v[32:33], v[32:33], 0, s[18:19]
	global_load_ushort v40, v[32:33], off
	v_lshl_add_u64 v[34:35], v[34:35], 0, s[18:19]
	global_load_ushort v41, v[34:35], off
	v_lshl_add_u64 v[32:33], v[32:33], 0, s[18:19]
	global_load_ushort v42, v[32:33], off
	v_lshl_add_u64 v[34:35], v[34:35], 0, s[18:19]
	global_load_ushort v43, v[34:35], off
	v_lshl_add_u64 v[32:33], v[32:33], 0, s[18:19]
	global_load_ushort v44, v[32:33], off
	v_lshl_add_u64 v[34:35], v[34:35], 0, s[18:19]
	global_load_ushort v45, v[34:35], off
	s_waitcnt vmcnt(11)
	ds_bpermute_b32 v46, v13, v30
	s_waitcnt vmcnt(10)
	ds_bpermute_b32 v37, v13, v29
	ds_bpermute_b32 v48, v14, v30
	v_lshl_add_u64 v[32:33], v[32:33], 0, s[18:19]
	ds_bpermute_b32 v47, v14, v29
	v_lshl_add_u64 v[34:35], v[34:35], 0, s[18:19]
	global_load_ushort v55, v[34:35], off
	v_lshl_add_u64 v[34:35], v[34:35], 0, s[18:19]
	ds_bpermute_b32 v50, v15, v30
	ds_bpermute_b32 v49, v15, v29
	;; [unrolled: 1-line block ×6, first 2 shown]
	s_add_u32 s20, s20, s22
	s_addc_u32 s21, s21, 0
	v_cmp_lt_i64_e32 vcc, s[20:21], v[6:7]
	v_lshl_add_u64 v[2:3], v[2:3], 0, s[24:25]
	v_lshl_add_u64 v[0:1], v[0:1], 0, s[22:23]
	;; [unrolled: 1-line block ×3, first 2 shown]
	s_and_b64 vcc, exec, vcc
	s_waitcnt vmcnt(10)
	v_lshlrev_b32_e32 v31, 16, v31
	s_waitcnt lgkmcnt(9)
	v_sub_f32_e32 v31, v31, v46
	s_waitcnt vmcnt(9)
	v_lshlrev_b32_e32 v36, 16, v36
	v_mul_f32_e32 v31, v31, v36
	s_waitcnt lgkmcnt(8)
	v_mul_f32_e32 v37, v31, v37
	global_load_ushort v31, v[32:33], off
	s_waitcnt vmcnt(9)
	v_lshlrev_b32_e32 v38, 16, v38
	s_waitcnt lgkmcnt(7)
	v_sub_f32_e32 v48, v38, v48
	s_waitcnt vmcnt(8)
	v_lshlrev_b32_e32 v38, 16, v39
	v_lshl_add_u64 v[32:33], v[32:33], 0, s[18:19]
	v_mul_f32_e32 v39, v48, v38
	s_waitcnt lgkmcnt(6)
	v_mul_f32_e32 v39, v39, v47
	global_load_ushort v47, v[32:33], off
	global_load_ushort v46, v[34:35], off
	v_lshl_add_u64 v[32:33], v[32:33], 0, s[18:19]
	v_lshl_add_u64 v[34:35], v[34:35], 0, s[18:19]
	global_load_ushort v56, v[32:33], off
	global_load_ushort v48, v[34:35], off
	v_lshl_add_u64 v[32:33], v[32:33], 0, s[18:19]
	v_pk_add_f32 v[8:9], v[8:9], v[36:37]
	v_lshl_add_u64 v[34:35], v[34:35], 0, s[18:19]
	s_waitcnt vmcnt(11)
	v_lshlrev_b32_e32 v36, 16, v40
	global_load_ushort v40, v[32:33], off
	global_load_ushort v57, v[34:35], off
	s_waitcnt lgkmcnt(5)
	v_sub_f32_e32 v37, v36, v50
	s_waitcnt vmcnt(12)
	v_lshlrev_b32_e32 v36, 16, v41
	v_mul_f32_e32 v37, v37, v36
	v_lshl_add_u64 v[34:35], v[34:35], 0, s[18:19]
	v_lshl_add_u64 v[32:33], v[32:33], 0, s[18:19]
	s_waitcnt lgkmcnt(4)
	v_mul_f32_e32 v37, v37, v49
	global_load_ushort v41, v[34:35], off
	global_load_ushort v49, v[32:33], off
	v_pk_add_f32 v[8:9], v[8:9], v[38:39]
	v_lshl_add_u64 v[32:33], v[32:33], 0, s[18:19]
	s_waitcnt vmcnt(13)
	v_lshlrev_b32_e32 v38, 16, v42
	v_lshl_add_u64 v[34:35], v[34:35], 0, s[18:19]
	s_waitcnt lgkmcnt(3)
	v_sub_f32_e32 v39, v38, v52
	s_waitcnt vmcnt(12)
	v_lshlrev_b32_e32 v38, 16, v43
	global_load_ushort v43, v[32:33], off
	global_load_ushort v50, v[34:35], off
	v_lshl_add_u64 v[32:33], v[32:33], 0, s[18:19]
	v_mul_f32_e32 v39, v39, v38
	v_lshl_add_u64 v[34:35], v[34:35], 0, s[18:19]
	global_load_ushort v52, v[32:33], off
	s_waitcnt lgkmcnt(2)
	v_mul_f32_e32 v39, v39, v51
	global_load_ushort v51, v[34:35], off
	v_pk_add_f32 v[8:9], v[8:9], v[36:37]
	s_waitcnt vmcnt(15)
	v_lshlrev_b32_e32 v36, 16, v44
	s_waitcnt lgkmcnt(1)
	v_sub_f32_e32 v37, v36, v54
	s_waitcnt vmcnt(14)
	v_lshlrev_b32_e32 v36, 16, v45
	v_lshl_add_u64 v[32:33], v[32:33], 0, s[18:19]
	v_mul_f32_e32 v37, v37, v36
	v_lshl_add_u64 v[34:35], v[34:35], 0, s[18:19]
	s_waitcnt lgkmcnt(0)
	v_mul_f32_e32 v37, v37, v53
	global_load_ushort v53, v[32:33], off
	global_load_ushort v58, v[34:35], off
	v_lshl_add_u64 v[32:33], v[32:33], 0, s[18:19]
	v_lshl_add_u64 v[34:35], v[34:35], 0, s[18:19]
	global_load_ushort v59, v[32:33], off
	global_load_ushort v54, v[34:35], off
	v_lshl_add_u64 v[32:33], v[32:33], 0, s[18:19]
	v_lshl_add_u64 v[34:35], v[34:35], 0, s[18:19]
	global_load_ushort v62, v[32:33], off
	v_lshl_add_u64 v[32:33], v[32:33], 0, s[18:19]
	global_load_ushort v60, v[34:35], off
	;; [unrolled: 2-line block ×3, first 2 shown]
	global_load_ushort v61, v[34:35], off
	ds_bpermute_b32 v33, v18, v30
	ds_bpermute_b32 v34, v18, v29
	s_waitcnt vmcnt(21)
	v_lshlrev_b32_e32 v32, 16, v55
	ds_bpermute_b32 v35, v19, v30
	v_pk_add_f32 v[8:9], v[8:9], v[38:39]
	ds_bpermute_b32 v39, v21, v30
	v_pk_add_f32 v[8:9], v[8:9], v[36:37]
	ds_bpermute_b32 v37, v20, v30
	ds_bpermute_b32 v42, v22, v30
	;; [unrolled: 1-line block ×4, first 2 shown]
	s_waitcnt vmcnt(20)
	v_lshlrev_b32_e32 v31, 16, v31
	s_waitcnt lgkmcnt(7)
	v_sub_f32_e32 v31, v31, v33
	v_mul_f32_e32 v31, v31, v32
	s_waitcnt lgkmcnt(6)
	v_mul_f32_e32 v33, v31, v34
	ds_bpermute_b32 v31, v19, v29
	v_pk_add_f32 v[8:9], v[8:9], v[32:33]
	s_waitcnt vmcnt(19)
	v_lshlrev_b32_e32 v36, 16, v47
	s_waitcnt vmcnt(18)
	v_lshlrev_b32_e32 v34, 16, v46
	s_waitcnt lgkmcnt(6)
	v_sub_f32_e32 v35, v36, v35
	v_mul_f32_e32 v35, v35, v34
	s_waitcnt lgkmcnt(0)
	v_mul_f32_e32 v35, v35, v31
	ds_bpermute_b32 v31, v20, v29
	s_waitcnt vmcnt(17)
	v_lshlrev_b32_e32 v38, 16, v56
	s_waitcnt vmcnt(16)
	v_lshlrev_b32_e32 v36, 16, v48
	v_sub_f32_e32 v37, v38, v37
	v_mul_f32_e32 v37, v37, v36
	s_waitcnt lgkmcnt(0)
	v_mul_f32_e32 v37, v37, v31
	ds_bpermute_b32 v31, v21, v29
	s_waitcnt vmcnt(15)
	v_lshlrev_b32_e32 v40, 16, v40
	s_waitcnt vmcnt(14)
	v_lshlrev_b32_e32 v38, 16, v57
	;; [unrolled: 9-line block ×3, first 2 shown]
	v_sub_f32_e32 v41, v41, v42
	v_mul_f32_e32 v41, v41, v40
	s_waitcnt lgkmcnt(0)
	v_mul_f32_e32 v41, v41, v31
	ds_bpermute_b32 v31, v23, v29
	ds_bpermute_b32 v47, v25, v30
	;; [unrolled: 1-line block ×3, first 2 shown]
	s_waitcnt vmcnt(11)
	v_lshlrev_b32_e32 v43, 16, v43
	s_waitcnt vmcnt(10)
	v_lshlrev_b32_e32 v42, 16, v50
	v_sub_f32_e32 v43, v43, v44
	v_mul_f32_e32 v43, v43, v42
	s_waitcnt lgkmcnt(2)
	v_mul_f32_e32 v43, v43, v31
	ds_bpermute_b32 v31, v24, v29
	s_waitcnt vmcnt(9)
	v_lshlrev_b32_e32 v46, 16, v52
	s_waitcnt vmcnt(8)
	v_lshlrev_b32_e32 v44, 16, v51
	v_sub_f32_e32 v45, v46, v45
	v_mul_f32_e32 v45, v45, v44
	s_waitcnt lgkmcnt(0)
	v_mul_f32_e32 v45, v45, v31
	ds_bpermute_b32 v31, v25, v29
	ds_bpermute_b32 v51, v27, v30
	v_pk_add_f32 v[8:9], v[8:9], v[34:35]
	ds_bpermute_b32 v30, v28, v30
	v_pk_add_f32 v[8:9], v[8:9], v[36:37]
	s_waitcnt vmcnt(7)
	v_lshlrev_b32_e32 v48, 16, v53
	s_waitcnt vmcnt(6)
	v_lshlrev_b32_e32 v46, 16, v58
	v_sub_f32_e32 v47, v48, v47
	v_mul_f32_e32 v47, v47, v46
	s_waitcnt lgkmcnt(2)
	v_mul_f32_e32 v47, v47, v31
	ds_bpermute_b32 v31, v26, v29
	s_waitcnt vmcnt(5)
	v_lshlrev_b32_e32 v50, 16, v59
	s_waitcnt vmcnt(4)
	v_lshlrev_b32_e32 v48, 16, v54
	v_sub_f32_e32 v49, v50, v49
	ds_bpermute_b32 v53, v27, v29
	v_pk_add_f32 v[8:9], v[8:9], v[38:39]
	v_mul_f32_e32 v49, v49, v48
	v_pk_add_f32 v[8:9], v[8:9], v[40:41]
	ds_bpermute_b32 v29, v28, v29
	s_waitcnt lgkmcnt(2)
	v_mul_f32_e32 v49, v49, v31
	s_waitcnt vmcnt(3)
	v_lshlrev_b32_e32 v31, 16, v62
	v_pk_add_f32 v[8:9], v[8:9], v[42:43]
	s_waitcnt vmcnt(2)
	v_lshlrev_b32_e32 v50, 16, v60
	v_sub_f32_e32 v31, v31, v51
	s_waitcnt vmcnt(1)
	v_lshlrev_b32_e32 v54, 16, v63
	v_pk_add_f32 v[8:9], v[8:9], v[44:45]
	s_waitcnt vmcnt(0)
	v_lshlrev_b32_e32 v52, 16, v61
	v_mul_f32_e32 v31, v31, v50
	v_pk_add_f32 v[8:9], v[8:9], v[46:47]
	v_sub_f32_e32 v30, v54, v30
	s_waitcnt lgkmcnt(1)
	v_mul_f32_e32 v51, v31, v53
	v_pk_add_f32 v[8:9], v[8:9], v[48:49]
	v_mul_f32_e32 v30, v30, v52
	v_pk_add_f32 v[8:9], v[8:9], v[50:51]
	s_waitcnt lgkmcnt(0)
	v_mul_f32_e32 v53, v30, v29
	v_pk_add_f32 v[8:9], v[8:9], v[52:53]
	s_cbranch_vccz .LBB104_10
.LBB104_7:                              ; =>This Inner Loop Header: Depth=1
	v_mov_b32_e32 v29, 0
	v_mov_b32_e32 v30, 0
	s_and_saveexec_b64 s[28:29], s[0:1]
	s_cbranch_execz .LBB104_6
; %bb.8:                                ;   in Loop: Header=BB104_7 Depth=1
	v_cmp_gt_i64_e32 vcc, s[16:17], v[0:1]
	v_mov_b32_e32 v30, 0
	v_mov_b32_e32 v29, 0
	s_and_saveexec_b64 s[30:31], vcc
	s_cbranch_execz .LBB104_5
; %bb.9:                                ;   in Loop: Header=BB104_7 Depth=1
	v_lshl_add_u64 v[34:35], s[8:9], 0, v[2:3]
	v_lshl_add_u64 v[32:33], s[10:11], 0, v[2:3]
	global_load_dword v30, v[34:35], off
	global_load_dword v29, v[32:33], off
	s_branch .LBB104_5
.LBB104_10:
	v_mov_b32_e32 v1, v12
.LBB104_11:
	s_movk_i32 s0, 0x41
	v_mad_u32_u24 v0, v1, s0, v10
	v_lshl_add_u32 v0, v0, 2, 0
	ds_write_b32 v0, v9
	ds_write_b32 v0, v8 offset:4160
	v_lshrrev_b32_e32 v0, 6, v10
	v_add_u32_e32 v0, v0, v1
	v_cmp_gt_u32_e32 vcc, 64, v0
	s_waitcnt lgkmcnt(0)
	s_barrier
	s_and_saveexec_b64 s[0:1], vcc
	s_cbranch_execz .LBB104_43
; %bb.12:
	v_and_b32_e32 v1, 63, v10
	v_cmp_lt_u32_e64 s[4:5], 15, v1
	v_cmp_gt_u32_e64 s[0:1], 16, v1
	v_mul_u32_u24_e32 v6, 0x41, v1
                                        ; implicit-def: $vgpr2
	s_and_saveexec_b64 s[6:7], s[0:1]
	s_cbranch_execz .LBB104_14
; %bb.13:
	v_add_u32_e32 v1, v0, v6
	v_lshl_add_u32 v1, v1, 2, 0
	ds_read_b32 v3, v1
	ds_read_b32 v2, v1 offset:4160
.LBB104_14:
	s_or_b64 exec, exec, s[6:7]
	v_mbcnt_hi_u32_b32 v1, -1, v11
	v_and_b32_e32 v4, 64, v1
	v_add_u32_e32 v11, 64, v4
	v_xor_b32_e32 v4, 8, v1
	v_cmp_lt_i32_e32 vcc, v4, v11
	v_xor_b32_e32 v8, 4, v1
	v_xor_b32_e32 v9, 2, v1
	v_cndmask_b32_e32 v4, v1, v4, vcc
	v_lshlrev_b32_e32 v7, 2, v4
	s_waitcnt lgkmcnt(1)
	ds_bpermute_b32 v5, v7, v3
	s_waitcnt lgkmcnt(1)
	ds_bpermute_b32 v4, v7, v2
	v_cmp_lt_i32_e32 vcc, v8, v11
	s_mov_b32 s3, 0
	s_lshl_b64 s[8:9], s[2:3], 6
	v_cndmask_b32_e32 v8, v1, v8, vcc
	v_lshlrev_b32_e32 v8, 2, v8
	s_waitcnt lgkmcnt(0)
	v_pk_add_f32 v[2:3], v[2:3], v[4:5]
	ds_bpermute_b32 v5, v8, v3
	ds_bpermute_b32 v4, v8, v2
	v_cmp_lt_i32_e32 vcc, v9, v11
	v_cmp_eq_u32_e64 s[2:3], 0, v10
	s_cmp_lg_u64 s[12:13], 0
	v_cndmask_b32_e32 v9, v1, v9, vcc
	v_lshlrev_b32_e32 v9, 2, v9
	s_waitcnt lgkmcnt(0)
	v_pk_add_f32 v[2:3], v[2:3], v[4:5]
	ds_bpermute_b32 v5, v9, v3
	ds_bpermute_b32 v4, v9, v2
	s_cselect_b64 s[10:11], -1, 0
	s_cmp_lg_u64 s[14:15], 0
	s_cselect_b64 s[6:7], -1, 0
	s_waitcnt lgkmcnt(0)
	v_pk_add_f32 v[2:3], v[2:3], v[4:5]
	v_xor_b32_e32 v4, 1, v1
	v_cmp_lt_i32_e32 vcc, v4, v11
	s_nop 1
	v_cndmask_b32_e32 v1, v1, v4, vcc
	v_lshlrev_b32_e32 v10, 2, v1
	ds_bpermute_b32 v5, v10, v3
	ds_bpermute_b32 v4, v10, v2
	v_mov_b32_e32 v1, 0
	s_waitcnt lgkmcnt(0)
	v_pk_add_f32 v[2:3], v[2:3], v[4:5]
	s_and_saveexec_b64 s[16:17], s[2:3]
	s_cbranch_execz .LBB104_19
; %bb.15:
	v_mov_b32_e32 v5, s9
	s_andn2_b64 vcc, exec, s[10:11]
	v_or_b32_e32 v4, s8, v0
	s_cbranch_vccnz .LBB104_17
; %bb.16:
	v_bfe_u32 v11, v3, 16, 1
	s_movk_i32 s18, 0x7fff
	v_add3_u32 v11, v3, v11, s18
	v_cmp_o_f32_e32 vcc, v3, v3
	v_mov_b32_e32 v12, 0x7fc0
	s_nop 0
	v_cndmask_b32_sdwa v11, v12, v11, vcc dst_sel:DWORD dst_unused:UNUSED_PAD src0_sel:DWORD src1_sel:WORD_1
	v_lshl_add_u64 v[12:13], v[4:5], 1, s[12:13]
	global_store_short v[12:13], v11, off
.LBB104_17:
	s_andn2_b64 vcc, exec, s[6:7]
	s_cbranch_vccnz .LBB104_19
; %bb.18:
	v_bfe_u32 v11, v2, 16, 1
	s_movk_i32 s18, 0x7fff
	v_add3_u32 v11, v2, v11, s18
	v_cmp_o_f32_e32 vcc, v2, v2
	v_mov_b32_e32 v12, 0x7fc0
	v_lshl_add_u64 v[4:5], v[4:5], 1, s[14:15]
	v_cndmask_b32_sdwa v11, v12, v11, vcc dst_sel:DWORD dst_unused:UNUSED_PAD src0_sel:DWORD src1_sel:WORD_1
	global_store_short v[4:5], v11, off
.LBB104_19:
	s_or_b64 exec, exec, s[16:17]
	v_cmp_gt_u32_e32 vcc, 48, v0
	s_and_b64 exec, exec, vcc
	s_cbranch_execz .LBB104_43
; %bb.20:
	s_and_saveexec_b64 s[16:17], s[4:5]
	s_xor_b64 s[16:17], exec, s[16:17]
	s_andn2_saveexec_b64 s[16:17], s[16:17]
	s_cbranch_execz .LBB104_22
; %bb.21:
	v_add_u32_e32 v2, v0, v6
	v_lshl_add_u32 v2, v2, 2, 0
	ds_read_b32 v3, v2 offset:64
	ds_read_b32 v2, v2 offset:4224
.LBB104_22:
	s_or_b64 exec, exec, s[16:17]
	s_waitcnt lgkmcnt(1)
	ds_bpermute_b32 v5, v7, v3
	s_waitcnt lgkmcnt(1)
	ds_bpermute_b32 v4, v7, v2
	s_waitcnt lgkmcnt(0)
	v_pk_add_f32 v[2:3], v[2:3], v[4:5]
	ds_bpermute_b32 v5, v8, v3
	ds_bpermute_b32 v4, v8, v2
	s_waitcnt lgkmcnt(0)
	v_pk_add_f32 v[2:3], v[2:3], v[4:5]
	ds_bpermute_b32 v5, v9, v3
	;; [unrolled: 4-line block ×3, first 2 shown]
	ds_bpermute_b32 v4, v10, v2
	s_waitcnt lgkmcnt(0)
	v_pk_add_f32 v[2:3], v[2:3], v[4:5]
	s_and_saveexec_b64 s[16:17], s[2:3]
	s_cbranch_execz .LBB104_27
; %bb.23:
	s_andn2_b64 vcc, exec, s[10:11]
	s_cbranch_vccnz .LBB104_25
; %bb.24:
	v_bfe_u32 v4, v3, 16, 1
	s_movk_i32 s18, 0x7fff
	v_add3_u32 v4, v3, v4, s18
	v_cmp_o_f32_e32 vcc, v3, v3
	v_mov_b32_e32 v5, 0x7fc0
	s_nop 0
	v_cndmask_b32_sdwa v11, v5, v4, vcc dst_sel:DWORD dst_unused:UNUSED_PAD src0_sel:DWORD src1_sel:WORD_1
	v_lshl_add_u64 v[4:5], s[8:9], 0, v[0:1]
	v_lshl_add_u64 v[4:5], v[4:5], 1, s[12:13]
	global_store_short v[4:5], v11, off offset:32
.LBB104_25:
	s_andn2_b64 vcc, exec, s[6:7]
	s_cbranch_vccnz .LBB104_27
; %bb.26:
	v_bfe_u32 v4, v2, 16, 1
	s_movk_i32 s18, 0x7fff
	v_add3_u32 v4, v2, v4, s18
	v_cmp_o_f32_e32 vcc, v2, v2
	v_mov_b32_e32 v5, 0x7fc0
	s_nop 0
	v_cndmask_b32_sdwa v11, v5, v4, vcc dst_sel:DWORD dst_unused:UNUSED_PAD src0_sel:DWORD src1_sel:WORD_1
	v_lshl_add_u64 v[4:5], s[8:9], 0, v[0:1]
	v_lshl_add_u64 v[4:5], v[4:5], 1, s[14:15]
	global_store_short v[4:5], v11, off offset:32
.LBB104_27:
	s_or_b64 exec, exec, s[16:17]
	v_cmp_gt_u32_e32 vcc, 32, v0
	s_and_b64 exec, exec, vcc
	s_cbranch_execz .LBB104_43
; %bb.28:
	s_and_saveexec_b64 s[16:17], s[4:5]
	s_xor_b64 s[4:5], exec, s[16:17]
	s_andn2_saveexec_b64 s[4:5], s[4:5]
	s_cbranch_execz .LBB104_30
; %bb.29:
	v_add_u32_e32 v2, v0, v6
	v_lshl_add_u32 v2, v2, 2, 0
	ds_read_b32 v3, v2 offset:128
	ds_read_b32 v2, v2 offset:4288
.LBB104_30:
	s_or_b64 exec, exec, s[4:5]
	s_waitcnt lgkmcnt(1)
	ds_bpermute_b32 v5, v7, v3
	s_waitcnt lgkmcnt(1)
	ds_bpermute_b32 v4, v7, v2
	s_waitcnt lgkmcnt(0)
	v_pk_add_f32 v[2:3], v[2:3], v[4:5]
	ds_bpermute_b32 v5, v8, v3
	ds_bpermute_b32 v4, v8, v2
	s_waitcnt lgkmcnt(0)
	v_pk_add_f32 v[2:3], v[2:3], v[4:5]
	ds_bpermute_b32 v5, v9, v3
	;; [unrolled: 4-line block ×3, first 2 shown]
	ds_bpermute_b32 v4, v10, v2
	s_waitcnt lgkmcnt(0)
	v_pk_add_f32 v[2:3], v[2:3], v[4:5]
	s_and_saveexec_b64 s[4:5], s[2:3]
	s_cbranch_execz .LBB104_35
; %bb.31:
	s_andn2_b64 vcc, exec, s[10:11]
	s_cbranch_vccnz .LBB104_33
; %bb.32:
	v_bfe_u32 v4, v3, 16, 1
	s_movk_i32 s16, 0x7fff
	v_add3_u32 v4, v3, v4, s16
	v_cmp_o_f32_e32 vcc, v3, v3
	v_mov_b32_e32 v5, 0x7fc0
	s_nop 0
	v_cndmask_b32_sdwa v11, v5, v4, vcc dst_sel:DWORD dst_unused:UNUSED_PAD src0_sel:DWORD src1_sel:WORD_1
	v_lshl_add_u64 v[4:5], s[8:9], 0, v[0:1]
	v_lshl_add_u64 v[4:5], v[4:5], 1, s[12:13]
	global_store_short v[4:5], v11, off offset:64
.LBB104_33:
	s_andn2_b64 vcc, exec, s[6:7]
	s_cbranch_vccnz .LBB104_35
; %bb.34:
	v_bfe_u32 v4, v2, 16, 1
	s_movk_i32 s16, 0x7fff
	v_add3_u32 v4, v2, v4, s16
	v_cmp_o_f32_e32 vcc, v2, v2
	v_mov_b32_e32 v5, 0x7fc0
	s_nop 0
	v_cndmask_b32_sdwa v11, v5, v4, vcc dst_sel:DWORD dst_unused:UNUSED_PAD src0_sel:DWORD src1_sel:WORD_1
	v_lshl_add_u64 v[4:5], s[8:9], 0, v[0:1]
	v_lshl_add_u64 v[4:5], v[4:5], 1, s[14:15]
	global_store_short v[4:5], v11, off offset:64
.LBB104_35:
	s_or_b64 exec, exec, s[4:5]
	v_cmp_gt_u32_e32 vcc, 16, v0
	s_and_b64 exec, exec, vcc
	s_cbranch_execz .LBB104_43
; %bb.36:
	s_and_saveexec_b64 s[4:5], s[0:1]
	s_cbranch_execz .LBB104_38
; %bb.37:
	v_add_u32_e32 v2, v0, v6
	v_lshl_add_u32 v2, v2, 2, 0
	ds_read_b32 v3, v2 offset:192
	ds_read_b32 v2, v2 offset:4352
.LBB104_38:
	s_or_b64 exec, exec, s[4:5]
	s_waitcnt lgkmcnt(1)
	ds_bpermute_b32 v4, v7, v3
	s_waitcnt lgkmcnt(1)
	ds_bpermute_b32 v5, v7, v2
	s_waitcnt lgkmcnt(1)
	v_add_f32_e32 v3, v3, v4
	s_waitcnt lgkmcnt(0)
	v_add_f32_e32 v2, v2, v5
	ds_bpermute_b32 v4, v8, v3
	ds_bpermute_b32 v5, v8, v2
	s_waitcnt lgkmcnt(1)
	v_add_f32_e32 v3, v3, v4
	s_waitcnt lgkmcnt(0)
	v_add_f32_e32 v2, v2, v5
	ds_bpermute_b32 v4, v9, v3
	;; [unrolled: 6-line block ×3, first 2 shown]
	ds_bpermute_b32 v3, v10, v2
	s_and_b64 exec, exec, s[2:3]
	s_cbranch_execz .LBB104_43
; %bb.39:
	s_andn2_b64 vcc, exec, s[10:11]
	v_lshl_add_u64 v[0:1], s[8:9], 0, v[0:1]
	s_cbranch_vccnz .LBB104_41
; %bb.40:
	s_waitcnt lgkmcnt(1)
	v_add_f32_e32 v4, v4, v5
	v_bfe_u32 v5, v4, 16, 1
	s_movk_i32 s0, 0x7fff
	v_add3_u32 v5, v4, v5, s0
	v_cmp_o_f32_e32 vcc, v4, v4
	v_mov_b32_e32 v4, 0x7fc0
	s_nop 0
	v_cndmask_b32_sdwa v6, v4, v5, vcc dst_sel:DWORD dst_unused:UNUSED_PAD src0_sel:DWORD src1_sel:WORD_1
	v_lshl_add_u64 v[4:5], v[0:1], 1, s[12:13]
	global_store_short v[4:5], v6, off offset:96
.LBB104_41:
	s_andn2_b64 vcc, exec, s[6:7]
	s_cbranch_vccnz .LBB104_43
; %bb.42:
	s_waitcnt lgkmcnt(0)
	v_add_f32_e32 v2, v2, v3
	v_bfe_u32 v3, v2, 16, 1
	s_movk_i32 s0, 0x7fff
	v_add3_u32 v3, v2, v3, s0
	v_cmp_o_f32_e32 vcc, v2, v2
	v_mov_b32_e32 v2, 0x7fc0
	v_lshl_add_u64 v[0:1], v[0:1], 1, s[14:15]
	v_cndmask_b32_sdwa v2, v2, v3, vcc dst_sel:DWORD dst_unused:UNUSED_PAD src0_sel:DWORD src1_sel:WORD_1
	global_store_short v[0:1], v2, off offset:96
.LBB104_43:
	s_endpgm
	.section	.rodata,"a",@progbits
	.p2align	6, 0x0
	.amdhsa_kernel _ZN2at6native12_GLOBAL__N_135GammaBetaBackwardCUDAKernelTemplateIN3c108BFloat16EfLj64ELj16ELj256ELb0ELb1ELb0EEEvllPKT_S7_PKT0_SA_PS5_SB_
		.amdhsa_group_segment_fixed_size 0
		.amdhsa_private_segment_fixed_size 0
		.amdhsa_kernarg_size 320
		.amdhsa_user_sgpr_count 2
		.amdhsa_user_sgpr_dispatch_ptr 0
		.amdhsa_user_sgpr_queue_ptr 0
		.amdhsa_user_sgpr_kernarg_segment_ptr 1
		.amdhsa_user_sgpr_dispatch_id 0
		.amdhsa_user_sgpr_kernarg_preload_length 0
		.amdhsa_user_sgpr_kernarg_preload_offset 0
		.amdhsa_user_sgpr_private_segment_size 0
		.amdhsa_uses_dynamic_stack 0
		.amdhsa_enable_private_segment 0
		.amdhsa_system_sgpr_workgroup_id_x 1
		.amdhsa_system_sgpr_workgroup_id_y 1
		.amdhsa_system_sgpr_workgroup_id_z 0
		.amdhsa_system_sgpr_workgroup_info 0
		.amdhsa_system_vgpr_workitem_id 1
		.amdhsa_next_free_vgpr 64
		.amdhsa_next_free_sgpr 32
		.amdhsa_accum_offset 64
		.amdhsa_reserve_vcc 1
		.amdhsa_float_round_mode_32 0
		.amdhsa_float_round_mode_16_64 0
		.amdhsa_float_denorm_mode_32 3
		.amdhsa_float_denorm_mode_16_64 3
		.amdhsa_dx10_clamp 1
		.amdhsa_ieee_mode 1
		.amdhsa_fp16_overflow 0
		.amdhsa_tg_split 0
		.amdhsa_exception_fp_ieee_invalid_op 0
		.amdhsa_exception_fp_denorm_src 0
		.amdhsa_exception_fp_ieee_div_zero 0
		.amdhsa_exception_fp_ieee_overflow 0
		.amdhsa_exception_fp_ieee_underflow 0
		.amdhsa_exception_fp_ieee_inexact 0
		.amdhsa_exception_int_div_zero 0
	.end_amdhsa_kernel
	.section	.text._ZN2at6native12_GLOBAL__N_135GammaBetaBackwardCUDAKernelTemplateIN3c108BFloat16EfLj64ELj16ELj256ELb0ELb1ELb0EEEvllPKT_S7_PKT0_SA_PS5_SB_,"axG",@progbits,_ZN2at6native12_GLOBAL__N_135GammaBetaBackwardCUDAKernelTemplateIN3c108BFloat16EfLj64ELj16ELj256ELb0ELb1ELb0EEEvllPKT_S7_PKT0_SA_PS5_SB_,comdat
.Lfunc_end104:
	.size	_ZN2at6native12_GLOBAL__N_135GammaBetaBackwardCUDAKernelTemplateIN3c108BFloat16EfLj64ELj16ELj256ELb0ELb1ELb0EEEvllPKT_S7_PKT0_SA_PS5_SB_, .Lfunc_end104-_ZN2at6native12_GLOBAL__N_135GammaBetaBackwardCUDAKernelTemplateIN3c108BFloat16EfLj64ELj16ELj256ELb0ELb1ELb0EEEvllPKT_S7_PKT0_SA_PS5_SB_
                                        ; -- End function
	.set _ZN2at6native12_GLOBAL__N_135GammaBetaBackwardCUDAKernelTemplateIN3c108BFloat16EfLj64ELj16ELj256ELb0ELb1ELb0EEEvllPKT_S7_PKT0_SA_PS5_SB_.num_vgpr, 64
	.set _ZN2at6native12_GLOBAL__N_135GammaBetaBackwardCUDAKernelTemplateIN3c108BFloat16EfLj64ELj16ELj256ELb0ELb1ELb0EEEvllPKT_S7_PKT0_SA_PS5_SB_.num_agpr, 0
	.set _ZN2at6native12_GLOBAL__N_135GammaBetaBackwardCUDAKernelTemplateIN3c108BFloat16EfLj64ELj16ELj256ELb0ELb1ELb0EEEvllPKT_S7_PKT0_SA_PS5_SB_.numbered_sgpr, 32
	.set _ZN2at6native12_GLOBAL__N_135GammaBetaBackwardCUDAKernelTemplateIN3c108BFloat16EfLj64ELj16ELj256ELb0ELb1ELb0EEEvllPKT_S7_PKT0_SA_PS5_SB_.num_named_barrier, 0
	.set _ZN2at6native12_GLOBAL__N_135GammaBetaBackwardCUDAKernelTemplateIN3c108BFloat16EfLj64ELj16ELj256ELb0ELb1ELb0EEEvllPKT_S7_PKT0_SA_PS5_SB_.private_seg_size, 0
	.set _ZN2at6native12_GLOBAL__N_135GammaBetaBackwardCUDAKernelTemplateIN3c108BFloat16EfLj64ELj16ELj256ELb0ELb1ELb0EEEvllPKT_S7_PKT0_SA_PS5_SB_.uses_vcc, 1
	.set _ZN2at6native12_GLOBAL__N_135GammaBetaBackwardCUDAKernelTemplateIN3c108BFloat16EfLj64ELj16ELj256ELb0ELb1ELb0EEEvllPKT_S7_PKT0_SA_PS5_SB_.uses_flat_scratch, 0
	.set _ZN2at6native12_GLOBAL__N_135GammaBetaBackwardCUDAKernelTemplateIN3c108BFloat16EfLj64ELj16ELj256ELb0ELb1ELb0EEEvllPKT_S7_PKT0_SA_PS5_SB_.has_dyn_sized_stack, 0
	.set _ZN2at6native12_GLOBAL__N_135GammaBetaBackwardCUDAKernelTemplateIN3c108BFloat16EfLj64ELj16ELj256ELb0ELb1ELb0EEEvllPKT_S7_PKT0_SA_PS5_SB_.has_recursion, 0
	.set _ZN2at6native12_GLOBAL__N_135GammaBetaBackwardCUDAKernelTemplateIN3c108BFloat16EfLj64ELj16ELj256ELb0ELb1ELb0EEEvllPKT_S7_PKT0_SA_PS5_SB_.has_indirect_call, 0
	.section	.AMDGPU.csdata,"",@progbits
; Kernel info:
; codeLenInByte = 3504
; TotalNumSgprs: 38
; NumVgprs: 64
; NumAgprs: 0
; TotalNumVgprs: 64
; ScratchSize: 0
; MemoryBound: 0
; FloatMode: 240
; IeeeMode: 1
; LDSByteSize: 0 bytes/workgroup (compile time only)
; SGPRBlocks: 4
; VGPRBlocks: 7
; NumSGPRsForWavesPerEU: 38
; NumVGPRsForWavesPerEU: 64
; AccumOffset: 64
; Occupancy: 8
; WaveLimiterHint : 0
; COMPUTE_PGM_RSRC2:SCRATCH_EN: 0
; COMPUTE_PGM_RSRC2:USER_SGPR: 2
; COMPUTE_PGM_RSRC2:TRAP_HANDLER: 0
; COMPUTE_PGM_RSRC2:TGID_X_EN: 1
; COMPUTE_PGM_RSRC2:TGID_Y_EN: 1
; COMPUTE_PGM_RSRC2:TGID_Z_EN: 0
; COMPUTE_PGM_RSRC2:TIDIG_COMP_CNT: 1
; COMPUTE_PGM_RSRC3_GFX90A:ACCUM_OFFSET: 15
; COMPUTE_PGM_RSRC3_GFX90A:TG_SPLIT: 0
	.section	.text._ZN2at6native12_GLOBAL__N_135GammaBetaBackwardCUDAKernelTemplateIN3c108BFloat16EfLj64ELj16ELj256ELb0ELb0ELb0EEEvllPKT_S7_PKT0_SA_PS5_SB_,"axG",@progbits,_ZN2at6native12_GLOBAL__N_135GammaBetaBackwardCUDAKernelTemplateIN3c108BFloat16EfLj64ELj16ELj256ELb0ELb0ELb0EEEvllPKT_S7_PKT0_SA_PS5_SB_,comdat
	.globl	_ZN2at6native12_GLOBAL__N_135GammaBetaBackwardCUDAKernelTemplateIN3c108BFloat16EfLj64ELj16ELj256ELb0ELb0ELb0EEEvllPKT_S7_PKT0_SA_PS5_SB_ ; -- Begin function _ZN2at6native12_GLOBAL__N_135GammaBetaBackwardCUDAKernelTemplateIN3c108BFloat16EfLj64ELj16ELj256ELb0ELb0ELb0EEEvllPKT_S7_PKT0_SA_PS5_SB_
	.p2align	8
	.type	_ZN2at6native12_GLOBAL__N_135GammaBetaBackwardCUDAKernelTemplateIN3c108BFloat16EfLj64ELj16ELj256ELb0ELb0ELb0EEEvllPKT_S7_PKT0_SA_PS5_SB_,@function
_ZN2at6native12_GLOBAL__N_135GammaBetaBackwardCUDAKernelTemplateIN3c108BFloat16EfLj64ELj16ELj256ELb0ELb0ELb0EEEvllPKT_S7_PKT0_SA_PS5_SB_: ; @_ZN2at6native12_GLOBAL__N_135GammaBetaBackwardCUDAKernelTemplateIN3c108BFloat16EfLj64ELj16ELj256ELb0ELb0ELb0EEEvllPKT_S7_PKT0_SA_PS5_SB_
; %bb.0:
	s_load_dwordx8 s[8:15], s[0:1], 0x0
	s_load_dwordx4 s[16:19], s[0:1], 0x20
	s_lshl_b32 s33, s2, 6
	s_mov_b32 s21, 0
	s_lshl_b32 s20, s3, 8
	v_mov_b32_e32 v75, v0
	s_or_b32 s4, s33, 63
	v_mov_b64_e32 v[0:1], s[20:21]
	v_mov_b32_e32 v68, s4
	v_mov_b32_e32 v69, 0
	s_waitcnt lgkmcnt(0)
	v_cmp_gt_i64_e64 s[4:5], s[8:9], v[0:1]
	v_cmp_le_i64_e32 vcc, s[10:11], v[68:69]
	s_nop 0
	v_cndmask_b32_e64 v0, 0, 1, s[4:5]
	v_cmp_ne_u32_e64 s[4:5], 1, v0
	s_cbranch_vccz .LBB105_80
; %bb.1:
	s_and_b64 vcc, exec, s[4:5]
	v_mov_b32_e32 v68, 0
	s_cbranch_vccnz .LBB105_82
; %bb.2:
	v_and_b32_e32 v108, 0x3ff, v75
	v_mov_b32_e32 v2, 0
	v_bfe_u32 v109, v75, 10, 10
	v_add_u32_e32 v4, s33, v108
	v_mov_b32_e32 v5, v2
	v_lshlrev_b32_e32 v0, 4, v109
	v_mov_b32_e32 v1, v2
	v_cmp_gt_i64_e64 s[6:7], s[10:11], v[4:5]
	v_lshlrev_b64 v[36:37], 1, v[4:5]
	v_lshl_add_u64 v[4:5], v[0:1], 0, s[20:21]
	v_mul_lo_u32 v3, s11, v4
	v_mul_lo_u32 v8, s10, v5
	v_mad_u64_u32 v[6:7], s[24:25], s10, v4, 0
	v_add3_u32 v7, v7, v8, v3
	v_lshlrev_b64 v[6:7], 1, v[6:7]
	v_lshl_add_u64 v[38:39], s[12:13], 0, v[6:7]
	v_lshl_add_u64 v[40:41], s[14:15], 0, v[6:7]
	v_lshl_add_u64 v[6:7], v[4:5], 0, 15
	v_mul_lo_u32 v9, s11, v6
	v_mul_lo_u32 v10, s10, v7
	v_mad_u64_u32 v[6:7], s[26:27], s10, v6, 0
	v_add3_u32 v7, v7, v10, v9
	v_lshlrev_b64 v[6:7], 1, v[6:7]
	v_lshl_add_u64 v[42:43], s[12:13], 0, v[6:7]
	v_lshl_add_u64 v[44:45], s[14:15], 0, v[6:7]
	;; [unrolled: 8-line block ×8, first 2 shown]
	v_lshl_add_u64 v[6:7], v[4:5], 0, 8
	v_mul_lo_u32 v9, s11, v6
	v_mul_lo_u32 v10, s10, v7
	v_mad_u64_u32 v[6:7], s[26:27], s10, v6, 0
	v_add3_u32 v7, v7, v10, v9
	v_lshlrev_b64 v[6:7], 1, v[6:7]
	v_mov_b32_e32 v118, v75
	v_lshl_add_u64 v[72:73], s[12:13], 0, v[6:7]
	v_lshl_add_u64 v[74:75], s[14:15], 0, v[6:7]
	v_lshl_add_u64 v[6:7], v[4:5], 0, 7
	v_mul_lo_u32 v9, s11, v6
	v_mul_lo_u32 v10, s10, v7
	v_mad_u64_u32 v[6:7], s[26:27], s10, v6, 0
	v_add3_u32 v7, v7, v10, v9
	v_lshlrev_b64 v[6:7], 1, v[6:7]
	v_lshl_add_u64 v[76:77], s[12:13], 0, v[6:7]
	v_lshl_add_u64 v[78:79], s[14:15], 0, v[6:7]
	v_lshl_add_u64 v[6:7], v[4:5], 0, 6
	v_mul_lo_u32 v9, s11, v6
	v_mul_lo_u32 v10, s10, v7
	v_mad_u64_u32 v[6:7], s[26:27], s10, v6, 0
	v_add3_u32 v7, v7, v10, v9
	v_lshlrev_b64 v[6:7], 1, v[6:7]
	;; [unrolled: 8-line block ×4, first 2 shown]
	v_lshl_add_u64 v[88:89], s[12:13], 0, v[6:7]
	v_lshl_add_u64 v[90:91], s[14:15], 0, v[6:7]
	;; [unrolled: 1-line block ×3, first 2 shown]
	v_mul_lo_u32 v9, s11, v6
	v_mul_lo_u32 v10, s10, v7
	v_mad_u64_u32 v[6:7], s[26:27], s10, v6, 0
	v_add3_u32 v7, v7, v10, v9
	s_load_dword s3, s[0:1], 0x44
	v_lshlrev_b64 v[6:7], 1, v[6:7]
	v_lshl_add_u64 v[92:93], s[12:13], 0, v[6:7]
	v_lshl_add_u64 v[94:95], s[14:15], 0, v[6:7]
	;; [unrolled: 1-line block ×3, first 2 shown]
	v_mul_lo_u32 v5, s11, v6
	v_mul_lo_u32 v9, s10, v7
	v_mad_u64_u32 v[6:7], s[26:27], s10, v6, 0
	v_add3_u32 v7, v7, v9, v5
	s_add_u32 s22, s0, 64
	v_lshlrev_b64 v[6:7], 1, v[6:7]
	s_addc_u32 s23, s1, 0
	s_waitcnt lgkmcnt(0)
	s_lshl_b32 s3, s3, 8
	v_lshl_add_u64 v[96:97], s[12:13], 0, v[6:7]
	v_lshl_add_u64 v[98:99], s[14:15], 0, v[6:7]
	v_mov_b64_e32 v[6:7], s[10:11]
	s_mul_i32 s24, s11, s3
	s_mul_hi_u32 s25, s10, s3
	v_mad_u64_u32 v[4:5], s[26:27], s10, v4, v[6:7]
	s_add_i32 s25, s25, s24
	s_mul_i32 s24, s10, s3
	v_add3_u32 v5, v3, v5, v8
	v_mbcnt_lo_u32_b32 v3, -1, 0
	s_lshl_b64 s[24:25], s[24:25], 1
	v_mbcnt_hi_u32_b32 v3, -1, v3
	v_lshlrev_b64 v[4:5], 1, v[4:5]
	s_add_u32 s26, s20, 0xff
	s_movk_i32 s28, 0xff01
	s_movk_i32 s30, 0xff02
	;; [unrolled: 1-line block ×16, first 2 shown]
	v_lshlrev_b32_e32 v3, 2, v3
	v_lshl_add_u64 v[100:101], s[12:13], 0, v[4:5]
	v_lshl_add_u64 v[102:103], s[14:15], 0, v[4:5]
	s_addc_u32 s27, 0, 0
	s_mov_b32 s29, -1
	s_mov_b32 s31, -1
	;; [unrolled: 1-line block ×16, first 2 shown]
	v_and_b32_e32 v110, 0x100, v3
	s_mov_b64 s[62:63], s[20:21]
	v_mov_b32_e32 v68, 0
	v_mov_b32_e32 v69, v2
	s_branch .LBB105_5
.LBB105_3:                              ;   in Loop: Header=BB105_5 Depth=1
	s_or_b64 exec, exec, s[64:65]
	s_waitcnt vmcnt(1)
	ds_bpermute_b32 v3, v110, v107
	ds_bpermute_b32 v104, v110, v107 offset:4
	s_waitcnt vmcnt(0)
	ds_bpermute_b32 v105, v110, v106
	ds_bpermute_b32 v111, v110, v106 offset:4
	v_mov_b32_e32 v112, v6
	s_waitcnt lgkmcnt(3)
	v_sub_f32_e32 v3, v20, v3
	v_mul_f32_e32 v3, v4, v3
	s_waitcnt lgkmcnt(2)
	v_sub_f32_e32 v20, v21, v104
	s_waitcnt lgkmcnt(1)
	v_mul_f32_e32 v21, v3, v105
	ds_bpermute_b32 v3, v110, v107 offset:8
	v_mul_f32_e32 v20, v5, v20
	s_waitcnt lgkmcnt(1)
	v_mul_f32_e32 v105, v20, v111
	ds_bpermute_b32 v20, v110, v106 offset:8
	ds_bpermute_b32 v104, v110, v107 offset:12
	s_waitcnt lgkmcnt(2)
	v_sub_f32_e32 v3, v22, v3
	ds_bpermute_b32 v22, v110, v106 offset:12
	v_mul_f32_e32 v3, v6, v3
	s_waitcnt lgkmcnt(2)
	v_mul_f32_e32 v113, v3, v20
	ds_bpermute_b32 v20, v110, v107 offset:16
	s_waitcnt lgkmcnt(2)
	v_sub_f32_e32 v3, v23, v104
	v_mul_f32_e32 v3, v7, v3
	s_waitcnt lgkmcnt(1)
	v_mul_f32_e32 v23, v3, v22
	ds_bpermute_b32 v3, v110, v106 offset:16
	ds_bpermute_b32 v22, v110, v107 offset:20
	s_waitcnt lgkmcnt(2)
	v_sub_f32_e32 v20, v24, v20
	ds_bpermute_b32 v24, v110, v106 offset:20
	v_mul_f32_e32 v20, v8, v20
	s_waitcnt lgkmcnt(2)
	v_mul_f32_e32 v115, v20, v3
	s_waitcnt lgkmcnt(1)
	v_sub_f32_e32 v3, v25, v22
	v_mul_f32_e32 v3, v9, v3
	s_waitcnt lgkmcnt(0)
	v_mul_f32_e32 v25, v3, v24
	ds_bpermute_b32 v3, v110, v107 offset:24
	v_mov_b32_e32 v114, v8
	ds_bpermute_b32 v6, v110, v106 offset:24
	ds_bpermute_b32 v8, v110, v107 offset:28
	v_mov_b32_e32 v24, v9
	ds_bpermute_b32 v9, v110, v106 offset:28
	s_waitcnt lgkmcnt(3)
	v_sub_f32_e32 v3, v26, v3
	v_mul_f32_e32 v3, v10, v3
	v_mov_b32_e32 v22, v7
	s_waitcnt lgkmcnt(2)
	v_mul_f32_e32 v7, v3, v6
	s_waitcnt lgkmcnt(1)
	v_sub_f32_e32 v3, v27, v8
	ds_bpermute_b32 v6, v110, v107 offset:32
	v_mul_f32_e32 v3, v11, v3
	v_mov_b32_e32 v20, v4
	s_waitcnt lgkmcnt(1)
	v_mul_f32_e32 v9, v3, v9
	ds_bpermute_b32 v3, v110, v106 offset:32
	ds_bpermute_b32 v8, v110, v107 offset:36
	v_pk_add_f32 v[20:21], v[68:69], v[20:21]
	v_mov_b32_e32 v104, v5
	v_pk_add_f32 v[4:5], v[104:105], v[20:21]
	ds_bpermute_b32 v20, v110, v106 offset:36
	s_waitcnt lgkmcnt(3)
	v_sub_f32_e32 v6, v28, v6
	v_mul_f32_e32 v6, v12, v6
	s_waitcnt lgkmcnt(2)
	v_mul_f32_e32 v21, v6, v3
	s_waitcnt lgkmcnt(1)
	v_sub_f32_e32 v3, v29, v8
	ds_bpermute_b32 v6, v110, v107 offset:40
	v_pk_add_f32 v[4:5], v[112:113], v[4:5]
	v_mul_f32_e32 v3, v13, v3
	v_pk_add_f32 v[4:5], v[22:23], v[4:5]
	s_waitcnt lgkmcnt(1)
	v_mul_f32_e32 v23, v3, v20
	ds_bpermute_b32 v3, v110, v106 offset:40
	ds_bpermute_b32 v8, v110, v107 offset:44
	;; [unrolled: 1-line block ×3, first 2 shown]
	s_waitcnt lgkmcnt(3)
	v_sub_f32_e32 v6, v30, v6
	v_pk_add_f32 v[4:5], v[114:115], v[4:5]
	v_mul_f32_e32 v6, v14, v6
	v_pk_add_f32 v[4:5], v[24:25], v[4:5]
	s_waitcnt lgkmcnt(2)
	v_mul_f32_e32 v25, v6, v3
	s_waitcnt lgkmcnt(1)
	v_sub_f32_e32 v3, v31, v8
	ds_bpermute_b32 v6, v110, v107 offset:48
	v_mul_f32_e32 v3, v15, v3
	s_waitcnt lgkmcnt(1)
	v_mul_f32_e32 v27, v3, v20
	ds_bpermute_b32 v3, v110, v106 offset:48
	ds_bpermute_b32 v8, v110, v107 offset:52
	;; [unrolled: 1-line block ×3, first 2 shown]
	s_waitcnt lgkmcnt(3)
	v_sub_f32_e32 v6, v32, v6
	v_mul_f32_e32 v6, v16, v6
	s_waitcnt lgkmcnt(2)
	v_mul_f32_e32 v29, v6, v3
	s_waitcnt lgkmcnt(1)
	v_sub_f32_e32 v3, v33, v8
	v_mov_b32_e32 v6, v10
	v_mul_f32_e32 v3, v17, v3
	v_pk_add_f32 v[4:5], v[6:7], v[4:5]
	v_mov_b32_e32 v8, v11
	s_waitcnt lgkmcnt(0)
	v_mul_f32_e32 v31, v3, v20
	v_pk_add_f32 v[4:5], v[8:9], v[4:5]
	v_mov_b32_e32 v20, v12
	v_pk_add_f32 v[4:5], v[20:21], v[4:5]
	v_mov_b32_e32 v22, v13
	;; [unrolled: 2-line block ×4, first 2 shown]
	ds_bpermute_b32 v3, v110, v107 offset:56
	v_pk_add_f32 v[4:5], v[26:27], v[4:5]
	v_mov_b32_e32 v28, v16
	v_pk_add_f32 v[4:5], v[28:29], v[4:5]
	v_mov_b32_e32 v30, v17
	v_pk_add_f32 v[6:7], v[30:31], v[4:5]
	ds_bpermute_b32 v5, v110, v106 offset:56
	s_waitcnt lgkmcnt(1)
	v_sub_f32_e32 v8, v34, v3
	ds_bpermute_b32 v3, v110, v106 offset:60
	ds_bpermute_b32 v4, v110, v107 offset:60
	v_mul_f32_e32 v8, v18, v8
	s_waitcnt lgkmcnt(2)
	v_mul_f32_e32 v9, v8, v5
	v_mov_b32_e32 v8, v18
	v_pk_add_f32 v[106:107], v[8:9], v[6:7]
.LBB105_4:                              ;   in Loop: Header=BB105_5 Depth=1
	s_waitcnt lgkmcnt(0)
	v_sub_f32_e32 v4, v35, v4
	v_mul_f32_e32 v4, v19, v4
	v_mul_f32_e32 v5, v4, v3
	v_mov_b32_e32 v4, v19
	s_add_u32 s62, s62, s3
	v_pk_add_f32 v[68:69], v[106:107], v[4:5]
	s_addc_u32 s63, s63, 0
	v_mov_b64_e32 v[4:5], s[8:9]
	s_add_u32 s26, s26, s3
	v_cmp_lt_i64_e32 vcc, s[62:63], v[4:5]
	v_lshl_add_u64 v[38:39], v[38:39], 0, s[24:25]
	v_lshl_add_u64 v[40:41], v[40:41], 0, s[24:25]
	;; [unrolled: 1-line block ×32, first 2 shown]
	s_addc_u32 s27, s27, 0
	s_cbranch_vccz .LBB105_81
.LBB105_5:                              ; =>This Inner Loop Header: Depth=1
	v_mov_b64_e32 v[4:5], s[8:9]
	v_cmp_ge_i64_e32 vcc, s[26:27], v[4:5]
	v_lshl_add_u64 v[104:105], v[0:1], 0, s[26:27]
	s_mov_b64 s[64:65], -1
	s_and_b64 vcc, exec, vcc
                                        ; implicit-def: $vgpr4_vgpr5_vgpr6_vgpr7_vgpr8_vgpr9_vgpr10_vgpr11_vgpr12_vgpr13_vgpr14_vgpr15_vgpr16_vgpr17_vgpr18_vgpr19
                                        ; implicit-def: $vgpr106_vgpr107
                                        ; implicit-def: $vgpr3
                                        ; implicit-def: $vgpr20_vgpr21_vgpr22_vgpr23_vgpr24_vgpr25_vgpr26_vgpr27_vgpr28_vgpr29_vgpr30_vgpr31_vgpr32_vgpr33_vgpr34_vgpr35
                                        ; implicit-def: $vgpr4
	s_cbranch_vccz .LBB105_43
; %bb.6:                                ;   in Loop: Header=BB105_5 Depth=1
	s_load_dword s64, s[22:23], 0xc
	v_mov_b32_e32 v106, 0
	v_mov_b32_e32 v107, 0
	s_waitcnt lgkmcnt(0)
	s_and_b32 s64, s64, 0xffff
	v_mad_u32_u24 v3, v109, s64, v108
	v_and_b32_e32 v4, 63, v3
	v_cmp_gt_u32_e32 vcc, 16, v4
	s_and_saveexec_b64 s[64:65], vcc
	s_cbranch_execz .LBB105_10
; %bb.7:                                ;   in Loop: Header=BB105_5 Depth=1
	v_mov_b32_e32 v5, v2
	v_lshl_add_u64 v[4:5], v[104:105], 0, v[4:5]
	v_lshl_add_u64 v[4:5], v[4:5], 0, s[28:29]
	v_cmp_gt_i64_e32 vcc, s[8:9], v[4:5]
	v_mov_b32_e32 v107, 0
	v_mov_b32_e32 v106, 0
	s_and_saveexec_b64 s[66:67], vcc
	s_cbranch_execz .LBB105_9
; %bb.8:                                ;   in Loop: Header=BB105_5 Depth=1
	v_lshlrev_b64 v[4:5], 2, v[4:5]
	v_lshl_add_u64 v[6:7], s[18:19], 0, v[4:5]
	v_lshl_add_u64 v[4:5], s[16:17], 0, v[4:5]
	global_load_dword v107, v[4:5], off
	global_load_dword v106, v[6:7], off
.LBB105_9:                              ;   in Loop: Header=BB105_5 Depth=1
	s_or_b64 exec, exec, s[66:67]
.LBB105_10:                             ;   in Loop: Header=BB105_5 Depth=1
	s_or_b64 exec, exec, s[64:65]
	v_lshl_add_u64 v[4:5], v[104:105], 0, s[28:29]
	v_mov_b32_e32 v16, v2
	v_mov_b32_e32 v17, v2
	v_cmp_gt_i64_e32 vcc, s[8:9], v[4:5]
	v_mov_b32_e32 v3, v2
	v_mov_b32_e32 v4, v2
	;; [unrolled: 1-line block ×13, first 2 shown]
	v_mov_b64_e32 v[34:35], v[16:17]
	v_mov_b64_e32 v[32:33], v[14:15]
	;; [unrolled: 1-line block ×9, first 2 shown]
	s_and_b64 s[66:67], s[6:7], vcc
	v_mov_b64_e32 v[16:17], v[14:15]
	v_mov_b64_e32 v[14:15], v[12:13]
	;; [unrolled: 1-line block ×7, first 2 shown]
	s_and_saveexec_b64 s[64:65], s[66:67]
	s_cbranch_execz .LBB105_12
; %bb.11:                               ;   in Loop: Header=BB105_5 Depth=1
	v_lshl_add_u64 v[4:5], v[38:39], 0, v[36:37]
	global_load_ushort v3, v[4:5], off
	v_lshl_add_u64 v[4:5], v[40:41], 0, v[36:37]
	global_load_ushort v20, v[4:5], off
	v_mov_b32_e32 v5, v2
	v_mov_b32_e32 v6, v2
	;; [unrolled: 1-line block ×30, first 2 shown]
	s_waitcnt vmcnt(1)
	v_lshlrev_b32_e32 v4, 16, v3
	s_waitcnt vmcnt(0)
	v_lshlrev_b32_e32 v20, 16, v20
.LBB105_12:                             ;   in Loop: Header=BB105_5 Depth=1
	s_or_b64 exec, exec, s[64:65]
	v_lshl_add_u64 v[112:113], v[104:105], 0, s[30:31]
	v_cmp_gt_i64_e32 vcc, s[8:9], v[112:113]
	s_and_b64 s[66:67], s[6:7], vcc
	s_and_saveexec_b64 s[64:65], s[66:67]
	s_cbranch_execz .LBB105_14
; %bb.13:                               ;   in Loop: Header=BB105_5 Depth=1
	v_lshl_add_u64 v[112:113], v[100:101], 0, v[36:37]
	global_load_ushort v3, v[112:113], off
	v_lshl_add_u64 v[112:113], v[102:103], 0, v[36:37]
	global_load_ushort v21, v[112:113], off
	s_waitcnt vmcnt(1)
	v_lshlrev_b32_e32 v5, 16, v3
	s_waitcnt vmcnt(0)
	v_lshlrev_b32_e32 v21, 16, v21
.LBB105_14:                             ;   in Loop: Header=BB105_5 Depth=1
	s_or_b64 exec, exec, s[64:65]
	v_lshl_add_u64 v[112:113], v[104:105], 0, s[34:35]
	v_cmp_gt_i64_e32 vcc, s[8:9], v[112:113]
	s_and_b64 s[66:67], s[6:7], vcc
	s_and_saveexec_b64 s[64:65], s[66:67]
	s_cbranch_execz .LBB105_16
; %bb.15:                               ;   in Loop: Header=BB105_5 Depth=1
	v_lshl_add_u64 v[112:113], v[96:97], 0, v[36:37]
	global_load_ushort v3, v[112:113], off
	v_lshl_add_u64 v[112:113], v[98:99], 0, v[36:37]
	global_load_ushort v22, v[112:113], off
	s_waitcnt vmcnt(1)
	v_lshlrev_b32_e32 v6, 16, v3
	s_waitcnt vmcnt(0)
	v_lshlrev_b32_e32 v22, 16, v22
.LBB105_16:                             ;   in Loop: Header=BB105_5 Depth=1
	;; [unrolled: 16-line block ×15, first 2 shown]
	s_or_b64 exec, exec, s[64:65]
	s_waitcnt vmcnt(1)
	ds_bpermute_b32 v3, v110, v107
	ds_bpermute_b32 v111, v110, v107 offset:4
	s_waitcnt vmcnt(0)
	ds_bpermute_b32 v112, v110, v106
	ds_bpermute_b32 v113, v110, v106 offset:4
	v_mov_b32_e32 v114, v6
	s_waitcnt lgkmcnt(3)
	v_sub_f32_e32 v3, v20, v3
	v_mul_f32_e32 v3, v4, v3
	s_waitcnt lgkmcnt(2)
	v_sub_f32_e32 v20, v21, v111
	s_waitcnt lgkmcnt(1)
	v_mul_f32_e32 v21, v3, v112
	ds_bpermute_b32 v3, v110, v107 offset:8
	v_mul_f32_e32 v20, v5, v20
	s_waitcnt lgkmcnt(1)
	v_mul_f32_e32 v113, v20, v113
	ds_bpermute_b32 v20, v110, v106 offset:8
	ds_bpermute_b32 v111, v110, v107 offset:12
	s_waitcnt lgkmcnt(2)
	v_sub_f32_e32 v3, v22, v3
	ds_bpermute_b32 v22, v110, v106 offset:12
	v_mul_f32_e32 v3, v6, v3
	s_waitcnt lgkmcnt(2)
	v_mul_f32_e32 v115, v3, v20
	ds_bpermute_b32 v20, v110, v107 offset:16
	s_waitcnt lgkmcnt(2)
	v_sub_f32_e32 v3, v23, v111
	v_mul_f32_e32 v3, v7, v3
	s_waitcnt lgkmcnt(1)
	v_mul_f32_e32 v23, v3, v22
	ds_bpermute_b32 v3, v110, v106 offset:16
	ds_bpermute_b32 v22, v110, v107 offset:20
	s_waitcnt lgkmcnt(2)
	v_sub_f32_e32 v20, v24, v20
	ds_bpermute_b32 v24, v110, v106 offset:20
	v_mul_f32_e32 v20, v8, v20
	s_waitcnt lgkmcnt(2)
	v_mul_f32_e32 v117, v20, v3
	s_waitcnt lgkmcnt(1)
	v_sub_f32_e32 v3, v25, v22
	v_mul_f32_e32 v3, v9, v3
	s_waitcnt lgkmcnt(0)
	v_mul_f32_e32 v25, v3, v24
	ds_bpermute_b32 v3, v110, v107 offset:24
	v_mov_b32_e32 v116, v8
	ds_bpermute_b32 v6, v110, v106 offset:24
	ds_bpermute_b32 v8, v110, v107 offset:28
	v_mov_b32_e32 v24, v9
	ds_bpermute_b32 v9, v110, v106 offset:28
	s_waitcnt lgkmcnt(3)
	v_sub_f32_e32 v3, v26, v3
	v_mul_f32_e32 v3, v10, v3
	v_mov_b32_e32 v22, v7
	s_waitcnt lgkmcnt(2)
	v_mul_f32_e32 v7, v3, v6
	s_waitcnt lgkmcnt(1)
	v_sub_f32_e32 v3, v27, v8
	ds_bpermute_b32 v6, v110, v107 offset:32
	v_mul_f32_e32 v3, v11, v3
	v_mov_b32_e32 v20, v4
	s_waitcnt lgkmcnt(1)
	v_mul_f32_e32 v9, v3, v9
	ds_bpermute_b32 v3, v110, v106 offset:32
	ds_bpermute_b32 v8, v110, v107 offset:36
	v_pk_add_f32 v[20:21], v[68:69], v[20:21]
	v_mov_b32_e32 v112, v5
	v_pk_add_f32 v[4:5], v[112:113], v[20:21]
	ds_bpermute_b32 v20, v110, v106 offset:36
	s_waitcnt lgkmcnt(3)
	v_sub_f32_e32 v6, v28, v6
	v_mul_f32_e32 v6, v12, v6
	s_waitcnt lgkmcnt(2)
	v_mul_f32_e32 v21, v6, v3
	s_waitcnt lgkmcnt(1)
	v_sub_f32_e32 v3, v29, v8
	ds_bpermute_b32 v6, v110, v107 offset:40
	v_pk_add_f32 v[4:5], v[114:115], v[4:5]
	v_mul_f32_e32 v3, v13, v3
	v_pk_add_f32 v[4:5], v[22:23], v[4:5]
	s_waitcnt lgkmcnt(1)
	v_mul_f32_e32 v23, v3, v20
	ds_bpermute_b32 v3, v110, v106 offset:40
	ds_bpermute_b32 v8, v110, v107 offset:44
	;; [unrolled: 1-line block ×3, first 2 shown]
	s_waitcnt lgkmcnt(3)
	v_sub_f32_e32 v6, v30, v6
	v_pk_add_f32 v[4:5], v[116:117], v[4:5]
	v_mul_f32_e32 v6, v14, v6
	v_pk_add_f32 v[4:5], v[24:25], v[4:5]
	s_waitcnt lgkmcnt(2)
	v_mul_f32_e32 v25, v6, v3
	s_waitcnt lgkmcnt(1)
	v_sub_f32_e32 v3, v31, v8
	ds_bpermute_b32 v6, v110, v107 offset:48
	v_mul_f32_e32 v3, v15, v3
	s_waitcnt lgkmcnt(1)
	v_mul_f32_e32 v27, v3, v20
	ds_bpermute_b32 v3, v110, v106 offset:48
	ds_bpermute_b32 v8, v110, v107 offset:52
	;; [unrolled: 1-line block ×3, first 2 shown]
	s_waitcnt lgkmcnt(3)
	v_sub_f32_e32 v6, v32, v6
	v_mul_f32_e32 v6, v16, v6
	s_waitcnt lgkmcnt(2)
	v_mul_f32_e32 v29, v6, v3
	s_waitcnt lgkmcnt(1)
	v_sub_f32_e32 v3, v33, v8
	v_mov_b32_e32 v6, v10
	v_mul_f32_e32 v3, v17, v3
	v_pk_add_f32 v[4:5], v[6:7], v[4:5]
	v_mov_b32_e32 v8, v11
	s_waitcnt lgkmcnt(0)
	v_mul_f32_e32 v31, v3, v20
	v_pk_add_f32 v[4:5], v[8:9], v[4:5]
	v_mov_b32_e32 v20, v12
	v_pk_add_f32 v[4:5], v[20:21], v[4:5]
	v_mov_b32_e32 v22, v13
	;; [unrolled: 2-line block ×3, first 2 shown]
	ds_bpermute_b32 v3, v110, v107 offset:56
	v_pk_add_f32 v[4:5], v[24:25], v[4:5]
	v_mov_b32_e32 v26, v15
	v_pk_add_f32 v[4:5], v[26:27], v[4:5]
	v_mov_b32_e32 v28, v16
	;; [unrolled: 2-line block ×3, first 2 shown]
	v_pk_add_f32 v[6:7], v[30:31], v[4:5]
	ds_bpermute_b32 v5, v110, v106 offset:56
	s_waitcnt lgkmcnt(1)
	v_sub_f32_e32 v3, v34, v3
	v_mul_f32_e32 v8, v18, v3
	ds_bpermute_b32 v3, v110, v106 offset:60
	ds_bpermute_b32 v4, v110, v107 offset:60
	s_waitcnt lgkmcnt(2)
	v_mul_f32_e32 v9, v8, v5
	v_mov_b32_e32 v8, v18
	v_pk_add_f32 v[106:107], v[8:9], v[6:7]
	s_mov_b64 s[64:65], 0
.LBB105_43:                             ;   in Loop: Header=BB105_5 Depth=1
	s_and_b64 vcc, exec, s[64:65]
	s_cbranch_vccz .LBB105_4
; %bb.44:                               ;   in Loop: Header=BB105_5 Depth=1
	s_load_dword s64, s[22:23], 0x0
	v_mov_b32_e32 v106, 0
	v_mov_b32_e32 v107, 0
	s_waitcnt lgkmcnt(0)
	s_cmp_lt_u32 s2, s64
	s_cselect_b32 s64, 12, 18
	s_add_u32 s64, s22, s64
	s_addc_u32 s65, s23, 0
	global_load_ushort v3, v2, s[64:65]
	s_waitcnt vmcnt(0)
	v_mad_u32_u24 v3, v109, v3, v108
	v_and_b32_e32 v4, 63, v3
	v_cmp_gt_u32_e32 vcc, 16, v4
	s_and_saveexec_b64 s[64:65], vcc
	s_cbranch_execz .LBB105_48
; %bb.45:                               ;   in Loop: Header=BB105_5 Depth=1
	v_mov_b32_e32 v5, v2
	v_lshl_add_u64 v[4:5], v[104:105], 0, v[4:5]
	v_lshl_add_u64 v[4:5], v[4:5], 0, s[28:29]
	v_cmp_gt_i64_e32 vcc, s[8:9], v[4:5]
	v_mov_b32_e32 v107, 0
	v_mov_b32_e32 v106, 0
	s_and_saveexec_b64 s[66:67], vcc
	s_cbranch_execz .LBB105_47
; %bb.46:                               ;   in Loop: Header=BB105_5 Depth=1
	v_lshlrev_b64 v[4:5], 2, v[4:5]
	v_lshl_add_u64 v[6:7], s[18:19], 0, v[4:5]
	v_lshl_add_u64 v[4:5], s[16:17], 0, v[4:5]
	global_load_dword v107, v[4:5], off
	global_load_dword v106, v[6:7], off
.LBB105_47:                             ;   in Loop: Header=BB105_5 Depth=1
	s_or_b64 exec, exec, s[66:67]
.LBB105_48:                             ;   in Loop: Header=BB105_5 Depth=1
	s_or_b64 exec, exec, s[64:65]
	v_mov_b32_e32 v16, v2
	v_mov_b32_e32 v17, v2
	;; [unrolled: 1-line block ×15, first 2 shown]
	v_mov_b64_e32 v[34:35], v[16:17]
	v_mov_b64_e32 v[32:33], v[14:15]
	;; [unrolled: 1-line block ×16, first 2 shown]
	s_and_saveexec_b64 s[64:65], s[6:7]
	s_cbranch_execnz .LBB105_64
; %bb.49:                               ;   in Loop: Header=BB105_5 Depth=1
	s_or_b64 exec, exec, s[64:65]
	s_and_saveexec_b64 s[64:65], s[6:7]
	s_cbranch_execnz .LBB105_65
.LBB105_50:                             ;   in Loop: Header=BB105_5 Depth=1
	s_or_b64 exec, exec, s[64:65]
	s_and_saveexec_b64 s[64:65], s[6:7]
	s_cbranch_execnz .LBB105_66
.LBB105_51:                             ;   in Loop: Header=BB105_5 Depth=1
	s_or_b64 exec, exec, s[64:65]
	s_and_saveexec_b64 s[64:65], s[6:7]
	s_cbranch_execnz .LBB105_67
.LBB105_52:                             ;   in Loop: Header=BB105_5 Depth=1
	s_or_b64 exec, exec, s[64:65]
	s_and_saveexec_b64 s[64:65], s[6:7]
	s_cbranch_execnz .LBB105_68
.LBB105_53:                             ;   in Loop: Header=BB105_5 Depth=1
	s_or_b64 exec, exec, s[64:65]
	s_and_saveexec_b64 s[64:65], s[6:7]
	s_cbranch_execnz .LBB105_69
.LBB105_54:                             ;   in Loop: Header=BB105_5 Depth=1
	s_or_b64 exec, exec, s[64:65]
	s_and_saveexec_b64 s[64:65], s[6:7]
	s_cbranch_execnz .LBB105_70
.LBB105_55:                             ;   in Loop: Header=BB105_5 Depth=1
	s_or_b64 exec, exec, s[64:65]
	s_and_saveexec_b64 s[64:65], s[6:7]
	s_cbranch_execnz .LBB105_71
.LBB105_56:                             ;   in Loop: Header=BB105_5 Depth=1
	s_or_b64 exec, exec, s[64:65]
	s_and_saveexec_b64 s[64:65], s[6:7]
	s_cbranch_execnz .LBB105_72
.LBB105_57:                             ;   in Loop: Header=BB105_5 Depth=1
	s_or_b64 exec, exec, s[64:65]
	s_and_saveexec_b64 s[64:65], s[6:7]
	s_cbranch_execnz .LBB105_73
.LBB105_58:                             ;   in Loop: Header=BB105_5 Depth=1
	s_or_b64 exec, exec, s[64:65]
	s_and_saveexec_b64 s[64:65], s[6:7]
	s_cbranch_execnz .LBB105_74
.LBB105_59:                             ;   in Loop: Header=BB105_5 Depth=1
	s_or_b64 exec, exec, s[64:65]
	s_and_saveexec_b64 s[64:65], s[6:7]
	s_cbranch_execnz .LBB105_75
.LBB105_60:                             ;   in Loop: Header=BB105_5 Depth=1
	s_or_b64 exec, exec, s[64:65]
	s_and_saveexec_b64 s[64:65], s[6:7]
	s_cbranch_execnz .LBB105_76
.LBB105_61:                             ;   in Loop: Header=BB105_5 Depth=1
	s_or_b64 exec, exec, s[64:65]
	s_and_saveexec_b64 s[64:65], s[6:7]
	s_cbranch_execnz .LBB105_77
.LBB105_62:                             ;   in Loop: Header=BB105_5 Depth=1
	s_or_b64 exec, exec, s[64:65]
	s_and_saveexec_b64 s[64:65], s[6:7]
	s_cbranch_execnz .LBB105_78
.LBB105_63:                             ;   in Loop: Header=BB105_5 Depth=1
	s_or_b64 exec, exec, s[64:65]
	s_and_saveexec_b64 s[64:65], s[6:7]
	s_cbranch_execz .LBB105_3
	s_branch .LBB105_79
.LBB105_64:                             ;   in Loop: Header=BB105_5 Depth=1
	v_lshl_add_u64 v[4:5], v[38:39], 0, v[36:37]
	global_load_ushort v3, v[4:5], off
	v_lshl_add_u64 v[4:5], v[40:41], 0, v[36:37]
	global_load_ushort v20, v[4:5], off
	v_mov_b32_e32 v5, v2
	v_mov_b32_e32 v6, v2
	;; [unrolled: 1-line block ×30, first 2 shown]
	s_waitcnt vmcnt(1)
	v_lshlrev_b32_e32 v4, 16, v3
	s_waitcnt vmcnt(0)
	v_lshlrev_b32_e32 v20, 16, v20
	s_or_b64 exec, exec, s[64:65]
	s_and_saveexec_b64 s[64:65], s[6:7]
	s_cbranch_execz .LBB105_50
.LBB105_65:                             ;   in Loop: Header=BB105_5 Depth=1
	v_lshl_add_u64 v[104:105], v[100:101], 0, v[36:37]
	global_load_ushort v3, v[104:105], off
	v_lshl_add_u64 v[104:105], v[102:103], 0, v[36:37]
	global_load_ushort v21, v[104:105], off
	s_waitcnt vmcnt(1)
	v_lshlrev_b32_e32 v5, 16, v3
	s_waitcnt vmcnt(0)
	v_lshlrev_b32_e32 v21, 16, v21
	s_or_b64 exec, exec, s[64:65]
	s_and_saveexec_b64 s[64:65], s[6:7]
	s_cbranch_execz .LBB105_51
.LBB105_66:                             ;   in Loop: Header=BB105_5 Depth=1
	v_lshl_add_u64 v[104:105], v[96:97], 0, v[36:37]
	global_load_ushort v3, v[104:105], off
	v_lshl_add_u64 v[104:105], v[98:99], 0, v[36:37]
	global_load_ushort v22, v[104:105], off
	s_waitcnt vmcnt(1)
	v_lshlrev_b32_e32 v6, 16, v3
	s_waitcnt vmcnt(0)
	v_lshlrev_b32_e32 v22, 16, v22
	s_or_b64 exec, exec, s[64:65]
	s_and_saveexec_b64 s[64:65], s[6:7]
	s_cbranch_execz .LBB105_52
.LBB105_67:                             ;   in Loop: Header=BB105_5 Depth=1
	v_lshl_add_u64 v[104:105], v[92:93], 0, v[36:37]
	global_load_ushort v3, v[104:105], off
	v_lshl_add_u64 v[104:105], v[94:95], 0, v[36:37]
	global_load_ushort v23, v[104:105], off
	s_waitcnt vmcnt(1)
	v_lshlrev_b32_e32 v7, 16, v3
	s_waitcnt vmcnt(0)
	v_lshlrev_b32_e32 v23, 16, v23
	s_or_b64 exec, exec, s[64:65]
	s_and_saveexec_b64 s[64:65], s[6:7]
	s_cbranch_execz .LBB105_53
.LBB105_68:                             ;   in Loop: Header=BB105_5 Depth=1
	v_lshl_add_u64 v[104:105], v[88:89], 0, v[36:37]
	global_load_ushort v3, v[104:105], off
	v_lshl_add_u64 v[104:105], v[90:91], 0, v[36:37]
	global_load_ushort v24, v[104:105], off
	s_waitcnt vmcnt(1)
	v_lshlrev_b32_e32 v8, 16, v3
	s_waitcnt vmcnt(0)
	v_lshlrev_b32_e32 v24, 16, v24
	s_or_b64 exec, exec, s[64:65]
	s_and_saveexec_b64 s[64:65], s[6:7]
	s_cbranch_execz .LBB105_54
.LBB105_69:                             ;   in Loop: Header=BB105_5 Depth=1
	v_lshl_add_u64 v[104:105], v[84:85], 0, v[36:37]
	global_load_ushort v3, v[104:105], off
	v_lshl_add_u64 v[104:105], v[86:87], 0, v[36:37]
	global_load_ushort v25, v[104:105], off
	s_waitcnt vmcnt(1)
	v_lshlrev_b32_e32 v9, 16, v3
	s_waitcnt vmcnt(0)
	v_lshlrev_b32_e32 v25, 16, v25
	s_or_b64 exec, exec, s[64:65]
	s_and_saveexec_b64 s[64:65], s[6:7]
	s_cbranch_execz .LBB105_55
.LBB105_70:                             ;   in Loop: Header=BB105_5 Depth=1
	v_lshl_add_u64 v[104:105], v[80:81], 0, v[36:37]
	global_load_ushort v3, v[104:105], off
	v_lshl_add_u64 v[104:105], v[82:83], 0, v[36:37]
	global_load_ushort v26, v[104:105], off
	s_waitcnt vmcnt(1)
	v_lshlrev_b32_e32 v10, 16, v3
	s_waitcnt vmcnt(0)
	v_lshlrev_b32_e32 v26, 16, v26
	s_or_b64 exec, exec, s[64:65]
	s_and_saveexec_b64 s[64:65], s[6:7]
	s_cbranch_execz .LBB105_56
.LBB105_71:                             ;   in Loop: Header=BB105_5 Depth=1
	v_lshl_add_u64 v[104:105], v[76:77], 0, v[36:37]
	global_load_ushort v3, v[104:105], off
	v_lshl_add_u64 v[104:105], v[78:79], 0, v[36:37]
	global_load_ushort v27, v[104:105], off
	s_waitcnt vmcnt(1)
	v_lshlrev_b32_e32 v11, 16, v3
	s_waitcnt vmcnt(0)
	v_lshlrev_b32_e32 v27, 16, v27
	s_or_b64 exec, exec, s[64:65]
	s_and_saveexec_b64 s[64:65], s[6:7]
	s_cbranch_execz .LBB105_57
.LBB105_72:                             ;   in Loop: Header=BB105_5 Depth=1
	v_lshl_add_u64 v[104:105], v[72:73], 0, v[36:37]
	global_load_ushort v3, v[104:105], off
	v_lshl_add_u64 v[104:105], v[74:75], 0, v[36:37]
	global_load_ushort v28, v[104:105], off
	s_waitcnt vmcnt(1)
	v_lshlrev_b32_e32 v12, 16, v3
	s_waitcnt vmcnt(0)
	v_lshlrev_b32_e32 v28, 16, v28
	s_or_b64 exec, exec, s[64:65]
	s_and_saveexec_b64 s[64:65], s[6:7]
	s_cbranch_execz .LBB105_58
.LBB105_73:                             ;   in Loop: Header=BB105_5 Depth=1
	v_lshl_add_u64 v[104:105], v[66:67], 0, v[36:37]
	global_load_ushort v3, v[104:105], off
	v_lshl_add_u64 v[104:105], v[70:71], 0, v[36:37]
	global_load_ushort v29, v[104:105], off
	s_waitcnt vmcnt(1)
	v_lshlrev_b32_e32 v13, 16, v3
	s_waitcnt vmcnt(0)
	v_lshlrev_b32_e32 v29, 16, v29
	s_or_b64 exec, exec, s[64:65]
	s_and_saveexec_b64 s[64:65], s[6:7]
	s_cbranch_execz .LBB105_59
.LBB105_74:                             ;   in Loop: Header=BB105_5 Depth=1
	v_lshl_add_u64 v[104:105], v[62:63], 0, v[36:37]
	global_load_ushort v3, v[104:105], off
	v_lshl_add_u64 v[104:105], v[64:65], 0, v[36:37]
	global_load_ushort v30, v[104:105], off
	s_waitcnt vmcnt(1)
	v_lshlrev_b32_e32 v14, 16, v3
	s_waitcnt vmcnt(0)
	v_lshlrev_b32_e32 v30, 16, v30
	s_or_b64 exec, exec, s[64:65]
	s_and_saveexec_b64 s[64:65], s[6:7]
	s_cbranch_execz .LBB105_60
.LBB105_75:                             ;   in Loop: Header=BB105_5 Depth=1
	v_lshl_add_u64 v[104:105], v[58:59], 0, v[36:37]
	global_load_ushort v3, v[104:105], off
	v_lshl_add_u64 v[104:105], v[60:61], 0, v[36:37]
	global_load_ushort v31, v[104:105], off
	s_waitcnt vmcnt(1)
	v_lshlrev_b32_e32 v15, 16, v3
	s_waitcnt vmcnt(0)
	v_lshlrev_b32_e32 v31, 16, v31
	s_or_b64 exec, exec, s[64:65]
	s_and_saveexec_b64 s[64:65], s[6:7]
	s_cbranch_execz .LBB105_61
.LBB105_76:                             ;   in Loop: Header=BB105_5 Depth=1
	v_lshl_add_u64 v[104:105], v[54:55], 0, v[36:37]
	global_load_ushort v3, v[104:105], off
	v_lshl_add_u64 v[104:105], v[56:57], 0, v[36:37]
	global_load_ushort v32, v[104:105], off
	s_waitcnt vmcnt(1)
	v_lshlrev_b32_e32 v16, 16, v3
	s_waitcnt vmcnt(0)
	v_lshlrev_b32_e32 v32, 16, v32
	s_or_b64 exec, exec, s[64:65]
	s_and_saveexec_b64 s[64:65], s[6:7]
	s_cbranch_execz .LBB105_62
.LBB105_77:                             ;   in Loop: Header=BB105_5 Depth=1
	v_lshl_add_u64 v[104:105], v[50:51], 0, v[36:37]
	global_load_ushort v3, v[104:105], off
	v_lshl_add_u64 v[104:105], v[52:53], 0, v[36:37]
	global_load_ushort v33, v[104:105], off
	s_waitcnt vmcnt(1)
	v_lshlrev_b32_e32 v17, 16, v3
	s_waitcnt vmcnt(0)
	v_lshlrev_b32_e32 v33, 16, v33
	s_or_b64 exec, exec, s[64:65]
	s_and_saveexec_b64 s[64:65], s[6:7]
	s_cbranch_execz .LBB105_63
.LBB105_78:                             ;   in Loop: Header=BB105_5 Depth=1
	v_lshl_add_u64 v[104:105], v[46:47], 0, v[36:37]
	global_load_ushort v3, v[104:105], off
	v_lshl_add_u64 v[104:105], v[48:49], 0, v[36:37]
	global_load_ushort v34, v[104:105], off
	s_waitcnt vmcnt(1)
	v_lshlrev_b32_e32 v18, 16, v3
	s_waitcnt vmcnt(0)
	v_lshlrev_b32_e32 v34, 16, v34
	s_or_b64 exec, exec, s[64:65]
	s_and_saveexec_b64 s[64:65], s[6:7]
	s_cbranch_execz .LBB105_3
.LBB105_79:                             ;   in Loop: Header=BB105_5 Depth=1
	v_lshl_add_u64 v[104:105], v[42:43], 0, v[36:37]
	global_load_ushort v3, v[104:105], off
	v_lshl_add_u64 v[104:105], v[44:45], 0, v[36:37]
	global_load_ushort v35, v[104:105], off
	s_waitcnt vmcnt(1)
	v_lshlrev_b32_e32 v19, 16, v3
	s_waitcnt vmcnt(0)
	v_lshlrev_b32_e32 v35, 16, v35
	s_branch .LBB105_3
.LBB105_80:
                                        ; implicit-def: $vgpr69
	s_branch .LBB105_83
.LBB105_81:
	v_mov_b32_e32 v75, v118
.LBB105_82:
	s_cbranch_execnz .LBB105_130
.LBB105_83:
	v_mov_b32_e32 v69, 0
	s_and_b64 vcc, exec, s[4:5]
	v_mov_b32_e32 v68, v69
	s_cbranch_vccnz .LBB105_130
; %bb.84:
	v_mov_b32_e32 v2, 0
	v_bfe_u32 v25, v75, 10, 10
	v_lshlrev_b32_e32 v0, 5, v25
	v_mov_b32_e32 v1, v2
	v_lshl_add_u64 v[0:1], s[20:21], 1, v[0:1]
	v_lshl_add_u64 v[6:7], v[0:1], 0, 2
	v_mov_b64_e32 v[4:5], s[12:13]
	v_mad_u64_u32 v[8:9], s[4:5], s10, v6, v[4:5]
	v_mul_lo_u32 v3, s10, v7
	v_mul_lo_u32 v7, s11, v6
	v_add3_u32 v9, v7, v9, v3
	scratch_store_dwordx2 off, v[8:9], off  ; 8-byte Folded Spill
	v_lshl_add_u64 v[8:9], v[0:1], 0, 4
	v_mad_u64_u32 v[10:11], s[4:5], s10, v8, v[4:5]
	v_mul_lo_u32 v9, s10, v9
	v_mul_lo_u32 v20, s11, v8
	v_add3_u32 v11, v20, v11, v9
	scratch_store_dwordx2 off, v[10:11], off offset:8 ; 8-byte Folded Spill
	v_lshl_add_u64 v[10:11], v[0:1], 0, 6
	v_mad_u64_u32 v[12:13], s[4:5], s10, v10, v[4:5]
	v_mul_lo_u32 v11, s10, v11
	v_mul_lo_u32 v21, s11, v10
	v_add3_u32 v13, v21, v13, v11
	scratch_store_dwordx2 off, v[12:13], off offset:16 ; 8-byte Folded Spill
	v_lshl_add_u64 v[12:13], v[0:1], 0, 8
	v_mad_u64_u32 v[14:15], s[4:5], s10, v12, v[4:5]
	v_mul_lo_u32 v13, s10, v13
	v_mul_lo_u32 v22, s11, v12
	v_add3_u32 v15, v22, v15, v13
	scratch_store_dwordx2 off, v[14:15], off offset:24 ; 8-byte Folded Spill
	v_lshl_add_u64 v[14:15], v[0:1], 0, 10
	v_mad_u64_u32 v[16:17], s[4:5], s10, v14, v[4:5]
	v_mul_lo_u32 v15, s10, v15
	v_mul_lo_u32 v23, s11, v14
	v_add3_u32 v17, v23, v17, v15
	scratch_store_dwordx2 off, v[16:17], off offset:32 ; 8-byte Folded Spill
	v_lshl_add_u64 v[16:17], v[0:1], 0, 12
	v_mad_u64_u32 v[18:19], s[4:5], s10, v16, v[4:5]
	v_mul_lo_u32 v17, s10, v17
	v_mul_lo_u32 v24, s11, v16
	v_add3_u32 v19, v24, v19, v17
	scratch_store_dwordx2 off, v[18:19], off offset:40 ; 8-byte Folded Spill
	v_mov_b64_e32 v[18:19], s[14:15]
	v_mad_u64_u32 v[26:27], s[4:5], s10, v6, v[18:19]
	v_add3_u32 v27, v7, v27, v3
	scratch_store_dwordx2 off, v[26:27], off offset:48 ; 8-byte Folded Spill
	v_mad_u64_u32 v[26:27], s[4:5], s10, v8, v[18:19]
	v_lshl_add_u64 v[6:7], v[0:1], 0, 14
	v_add3_u32 v27, v20, v27, v9
	scratch_store_dwordx2 off, v[26:27], off offset:56 ; 8-byte Folded Spill
	v_mad_u64_u32 v[8:9], s[4:5], s10, v6, v[4:5]
	v_mad_u64_u32 v[26:27], s[4:5], s10, v10, v[18:19]
	v_mul_lo_u32 v3, s10, v7
	v_mul_lo_u32 v7, s11, v6
	v_add3_u32 v27, v21, v27, v11
	v_add3_u32 v9, v7, v9, v3
	v_mad_u64_u32 v[10:11], s[4:5], s10, v14, v[18:19]
	scratch_store_dwordx2 off, v[8:9], off offset:64 ; 8-byte Folded Spill
	v_mad_u64_u32 v[8:9], s[4:5], s10, v12, v[18:19]
	v_add3_u32 v11, v23, v11, v15
	v_add3_u32 v9, v22, v9, v13
	scratch_store_dwordx2 off, v[10:11], off offset:88 ; 8-byte Folded Spill
	v_mad_u64_u32 v[10:11], s[4:5], s10, v16, v[18:19]
	scratch_store_dwordx2 off, v[8:9], off offset:80 ; 8-byte Folded Spill
	v_lshl_add_u64 v[8:9], v[0:1], 0, 16
	v_add3_u32 v11, v24, v11, v17
	v_mad_u64_u32 v[12:13], s[4:5], s10, v8, v[4:5]
	scratch_store_dwordx2 off, v[10:11], off offset:104 ; 8-byte Folded Spill
	v_mul_lo_u32 v9, s10, v9
	v_mul_lo_u32 v10, s11, v8
	v_add3_u32 v13, v10, v13, v9
	scratch_store_dwordx2 off, v[12:13], off offset:96 ; 8-byte Folded Spill
	v_mad_u64_u32 v[12:13], s[4:5], s10, v6, v[18:19]
	v_add3_u32 v13, v7, v13, v3
	scratch_store_dwordx2 off, v[12:13], off offset:112 ; 8-byte Folded Spill
	v_lshl_add_u64 v[6:7], v[0:1], 0, 18
	v_mad_u64_u32 v[12:13], s[4:5], s10, v8, v[18:19]
	v_add3_u32 v13, v10, v13, v9
	v_mul_lo_u32 v3, s10, v7
	v_mul_lo_u32 v7, s11, v6
	v_mad_u64_u32 v[8:9], s[4:5], s10, v6, v[4:5]
	v_add3_u32 v9, v7, v9, v3
	scratch_store_dwordx2 off, v[8:9], off offset:128 ; 8-byte Folded Spill
	v_mad_u64_u32 v[8:9], s[4:5], s10, v6, v[18:19]
	v_add3_u32 v9, v7, v9, v3
	v_lshl_add_u64 v[6:7], v[0:1], 0, 20
	scratch_store_dwordx2 off, v[8:9], off offset:136 ; 8-byte Folded Spill
	v_mul_lo_u32 v3, s10, v7
	v_mul_lo_u32 v7, s11, v6
	v_mad_u64_u32 v[8:9], s[4:5], s10, v6, v[4:5]
	v_add3_u32 v9, v7, v9, v3
	scratch_store_dwordx2 off, v[8:9], off offset:144 ; 8-byte Folded Spill
	v_mad_u64_u32 v[8:9], s[4:5], s10, v6, v[18:19]
	v_add3_u32 v9, v7, v9, v3
	v_lshl_add_u64 v[6:7], v[0:1], 0, 22
	scratch_store_dwordx2 off, v[8:9], off offset:152 ; 8-byte Folded Spill
	;; [unrolled: 9-line block ×3, first 2 shown]
	v_mul_lo_u32 v3, s10, v7
	v_mul_lo_u32 v7, s11, v6
	v_mad_u64_u32 v[8:9], s[4:5], s10, v6, v[4:5]
	v_mad_u64_u32 v[82:83], s[4:5], s10, v6, v[18:19]
	v_add3_u32 v9, v7, v9, v3
	v_add3_u32 v83, v7, v83, v3
	v_lshl_add_u64 v[6:7], v[0:1], 0, 26
	v_mul_lo_u32 v3, s10, v7
	v_mul_lo_u32 v7, s11, v6
	v_mad_u64_u32 v[84:85], s[4:5], s10, v6, v[4:5]
	v_mad_u64_u32 v[86:87], s[4:5], s10, v6, v[18:19]
	v_add3_u32 v85, v7, v85, v3
	v_add3_u32 v87, v7, v87, v3
	v_lshl_add_u64 v[6:7], v[0:1], 0, 28
	v_lshl_add_u64 v[0:1], v[0:1], 0, 30
	v_mad_u64_u32 v[92:93], s[4:5], s10, v0, v[4:5]
	v_mad_u64_u32 v[94:95], s[4:5], s10, v0, v[18:19]
	v_mul_lo_u32 v1, s10, v1
	v_mul_lo_u32 v0, s11, v0
	;; [unrolled: 1-line block ×4, first 2 shown]
	v_mad_u64_u32 v[88:89], s[4:5], s10, v6, v[4:5]
	v_mad_u64_u32 v[90:91], s[4:5], s10, v6, v[18:19]
	v_add3_u32 v93, v0, v93, v1
	v_add3_u32 v95, v0, v95, v1
	v_lshlrev_b32_e32 v0, 4, v25
	v_mov_b32_e32 v1, v2
	v_add3_u32 v89, v7, v89, v3
	v_add3_u32 v91, v7, v91, v3
	v_lshl_add_u64 v[6:7], v[0:1], 0, s[20:21]
	scratch_store_dwordx2 off, v[0:1], off offset:184 ; 8-byte Folded Spill
	v_lshl_add_u64 v[0:1], v[6:7], 0, 15
	v_mul_lo_u32 v3, s11, v0
	v_mul_lo_u32 v4, s10, v1
	v_mad_u64_u32 v[0:1], s[4:5], s10, v0, 0
	v_add3_u32 v1, v1, v4, v3
	v_lshl_add_u64 v[4:5], v[6:7], 0, 14
	scratch_store_dwordx2 off, v[8:9], off offset:176 ; 8-byte Folded Spill
	v_mul_lo_u32 v3, s11, v4
	v_mul_lo_u32 v8, s10, v5
	v_mad_u64_u32 v[4:5], s[4:5], s10, v4, 0
	v_add3_u32 v5, v5, v8, v3
	v_lshl_add_u64 v[8:9], v[6:7], 0, 13
	v_mul_lo_u32 v3, s11, v8
	v_mul_lo_u32 v10, s10, v9
	v_mad_u64_u32 v[8:9], s[4:5], s10, v8, 0
	v_add3_u32 v9, v9, v10, v3
	v_lshl_add_u64 v[10:11], v[6:7], 0, 12
	scratch_store_dwordx2 off, v[12:13], off offset:120 ; 8-byte Folded Spill
	v_mul_lo_u32 v3, s11, v10
	v_mul_lo_u32 v12, s10, v11
	v_mad_u64_u32 v[10:11], s[4:5], s10, v10, 0
	v_add3_u32 v11, v11, v12, v3
	v_lshl_add_u64 v[12:13], v[6:7], 0, 11
	v_mul_lo_u32 v3, s11, v12
	v_mul_lo_u32 v14, s10, v13
	v_mad_u64_u32 v[12:13], s[4:5], s10, v12, 0
	v_add3_u32 v13, v13, v14, v3
	v_lshl_add_u64 v[14:15], v[6:7], 0, 10
	v_mul_lo_u32 v3, s11, v14
	v_mul_lo_u32 v16, s10, v15
	v_mad_u64_u32 v[14:15], s[4:5], s10, v14, 0
	v_add3_u32 v15, v15, v16, v3
	v_lshl_add_u64 v[16:17], v[6:7], 0, 9
	v_mul_lo_u32 v3, s11, v16
	v_mul_lo_u32 v18, s10, v17
	v_mad_u64_u32 v[16:17], s[4:5], s10, v16, 0
	v_add3_u32 v17, v17, v18, v3
	v_lshl_add_u64 v[18:19], v[6:7], 0, 8
	v_mul_lo_u32 v3, s11, v18
	v_mul_lo_u32 v20, s10, v19
	v_mad_u64_u32 v[18:19], s[4:5], s10, v18, 0
	v_add3_u32 v19, v19, v20, v3
	v_lshl_add_u64 v[20:21], v[6:7], 0, 7
	v_mul_lo_u32 v3, s11, v20
	v_mul_lo_u32 v22, s10, v21
	v_mad_u64_u32 v[20:21], s[4:5], s10, v20, 0
	v_add3_u32 v21, v21, v22, v3
	v_lshl_add_u64 v[22:23], v[6:7], 0, 6
	v_mul_lo_u32 v3, s11, v22
	v_mul_lo_u32 v24, s10, v23
	v_mad_u64_u32 v[22:23], s[4:5], s10, v22, 0
	v_add3_u32 v23, v23, v24, v3
	v_lshl_add_u64 v[24:25], v[6:7], 0, 5
	scratch_store_dwordx2 off, v[26:27], off offset:72 ; 8-byte Folded Spill
	v_mul_lo_u32 v3, s11, v24
	v_mul_lo_u32 v26, s10, v25
	v_mad_u64_u32 v[24:25], s[4:5], s10, v24, 0
	v_add3_u32 v25, v25, v26, v3
	v_lshl_add_u64 v[26:27], v[6:7], 0, 4
	v_mul_lo_u32 v3, s11, v26
	v_mul_lo_u32 v28, s10, v27
	v_mad_u64_u32 v[26:27], s[4:5], s10, v26, 0
	v_add3_u32 v27, v27, v28, v3
	v_lshl_add_u64 v[28:29], v[6:7], 0, 3
	;; [unrolled: 5-line block ×3, first 2 shown]
	s_load_dword s3, s[0:1], 0x44
	v_lshlrev_b64 v[0:1], 1, v[0:1]
	v_mul_lo_u32 v3, s11, v30
	v_mul_lo_u32 v32, s10, v31
	v_mad_u64_u32 v[30:31], s[4:5], s10, v30, 0
	v_lshl_add_u64 v[104:105], s[12:13], 0, v[0:1]
	v_lshl_add_u64 v[106:107], s[14:15], 0, v[0:1]
	v_lshlrev_b64 v[0:1], 1, v[4:5]
	v_lshlrev_b64 v[4:5], 1, v[18:19]
	v_add3_u32 v31, v31, v32, v3
	v_mov_b64_e32 v[32:33], s[10:11]
	v_lshl_add_u64 v[36:37], s[12:13], 0, v[4:5]
	v_lshl_add_u64 v[38:39], s[14:15], 0, v[4:5]
	v_lshlrev_b64 v[4:5], 1, v[20:21]
	v_mad_u64_u32 v[32:33], s[4:5], s10, v6, v[32:33]
	v_mul_lo_u32 v3, s11, v6
	v_mul_lo_u32 v34, s10, v7
	v_mad_u64_u32 v[6:7], s[4:5], s10, v6, 0
	v_lshl_add_u64 v[40:41], s[12:13], 0, v[4:5]
	v_lshl_add_u64 v[42:43], s[14:15], 0, v[4:5]
	v_lshlrev_b64 v[4:5], 1, v[22:23]
	s_add_u32 s4, s0, 64
	v_lshl_add_u64 v[108:109], s[12:13], 0, v[0:1]
	v_lshl_add_u64 v[110:111], s[14:15], 0, v[0:1]
	v_lshlrev_b64 v[0:1], 1, v[8:9]
	v_lshl_add_u64 v[44:45], s[12:13], 0, v[4:5]
	v_lshl_add_u64 v[46:47], s[14:15], 0, v[4:5]
	v_lshlrev_b64 v[4:5], 1, v[24:25]
	s_addc_u32 s5, s1, 0
	s_waitcnt lgkmcnt(0)
	s_lshl_b32 s3, s3, 8
	v_lshl_add_u64 v[112:113], s[12:13], 0, v[0:1]
	v_lshl_add_u64 v[114:115], s[14:15], 0, v[0:1]
	v_lshlrev_b64 v[0:1], 1, v[10:11]
	v_lshl_add_u64 v[48:49], s[12:13], 0, v[4:5]
	v_lshl_add_u64 v[50:51], s[14:15], 0, v[4:5]
	v_lshlrev_b64 v[4:5], 1, v[26:27]
	v_add3_u32 v7, v7, v34, v3
	v_add3_u32 v33, v3, v33, v34
	v_and_b32_e32 v3, 0x3ff, v75
	s_mul_i32 s6, s11, s3
	s_mul_hi_u32 s7, s10, s3
	v_lshl_add_u64 v[116:117], s[12:13], 0, v[0:1]
	v_lshl_add_u64 v[118:119], s[14:15], 0, v[0:1]
	v_lshlrev_b64 v[0:1], 1, v[12:13]
	v_lshl_add_u64 v[52:53], s[12:13], 0, v[4:5]
	v_lshl_add_u64 v[54:55], s[14:15], 0, v[4:5]
	v_lshlrev_b64 v[4:5], 1, v[28:29]
	v_add_u32_e32 v34, s33, v3
	s_add_i32 s7, s7, s6
	s_mul_i32 s6, s10, s3
	v_lshl_add_u64 v[120:121], s[12:13], 0, v[0:1]
	v_lshl_add_u64 v[122:123], s[14:15], 0, v[0:1]
	v_lshlrev_b64 v[0:1], 1, v[14:15]
	v_lshl_add_u64 v[56:57], s[12:13], 0, v[4:5]
	v_lshl_add_u64 v[58:59], s[14:15], 0, v[4:5]
	v_lshlrev_b64 v[4:5], 1, v[30:31]
	v_mbcnt_lo_u32_b32 v3, -1, 0
	v_lshlrev_b64 v[6:7], 1, v[6:7]
	s_lshl_b64 s[6:7], s[6:7], 1
	v_lshl_add_u64 v[124:125], s[12:13], 0, v[0:1]
	v_lshl_add_u64 v[126:127], s[14:15], 0, v[0:1]
	v_lshlrev_b64 v[0:1], 1, v[16:17]
	v_lshl_add_u64 v[60:61], s[12:13], 0, v[4:5]
	v_lshl_add_u64 v[62:63], s[14:15], 0, v[4:5]
	v_lshlrev_b64 v[4:5], 1, v[32:33]
	v_mbcnt_hi_u32_b32 v3, -1, v3
	v_mov_b32_e32 v35, v2
	v_lshl_add_u64 v[100:101], s[12:13], 0, v[6:7]
	v_lshl_add_u64 v[102:103], s[14:15], 0, v[6:7]
	s_add_u32 s22, s20, 0xff
	v_lshl_add_u64 v[96:97], s[12:13], 0, v[0:1]
	v_lshl_add_u64 v[0:1], s[14:15], 0, v[0:1]
	;; [unrolled: 1-line block ×4, first 2 shown]
	s_movk_i32 s12, 0xff01
	s_movk_i32 s14, 0xff02
	;; [unrolled: 1-line block ×16, first 2 shown]
	v_lshlrev_b32_e32 v3, 2, v3
	v_lshlrev_b64 v[98:99], 1, v[34:35]
	s_addc_u32 s23, 0, 0
	s_mov_b32 s13, -1
	s_mov_b32 s15, -1
	;; [unrolled: 1-line block ×16, first 2 shown]
	v_and_b32_e32 v72, 0x100, v3
	v_mov_b32_e32 v68, 0
	v_mov_b32_e32 v69, v2
	s_branch .LBB105_88
.LBB105_85:                             ;   in Loop: Header=BB105_88 Depth=1
	s_or_b64 exec, exec, s[56:57]
.LBB105_86:                             ;   in Loop: Header=BB105_88 Depth=1
	s_or_b64 exec, exec, s[54:55]
	v_lshl_add_u64 v[4:5], v[100:101], 0, v[98:99]
	global_load_ushort v4, v[4:5], off
	v_lshl_add_u64 v[20:21], v[82:83], 0, v[98:99]
	v_lshl_add_u64 v[22:23], v[86:87], 0, v[98:99]
	;; [unrolled: 1-line block ×3, first 2 shown]
	s_waitcnt vmcnt(2)
	ds_bpermute_b32 v70, v72, v3
	scratch_load_dwordx2 v[6:7], off, off offset:104 ; 8-byte Folded Reload
	scratch_load_dwordx2 v[8:9], off, off offset:112 ; 8-byte Folded Reload
	;; [unrolled: 1-line block ×6, first 2 shown]
	s_waitcnt vmcnt(6)
	v_lshlrev_b32_e32 v24, 16, v4
	v_lshl_add_u64 v[4:5], v[102:103], 0, v[98:99]
	global_load_ushort v4, v[4:5], off
	s_waitcnt vmcnt(6)
	v_lshl_add_u64 v[6:7], v[6:7], 0, v[98:99]
	s_waitcnt vmcnt(5)
	v_lshl_add_u64 v[8:9], v[8:9], 0, v[98:99]
	;; [unrolled: 2-line block ×6, first 2 shown]
	s_waitcnt vmcnt(0)
	v_lshlrev_b32_e32 v25, 16, v4
	scratch_load_dwordx2 v[4:5], off, off   ; 8-byte Folded Reload
	s_waitcnt lgkmcnt(0)
	v_sub_f32_e32 v25, v25, v70
	ds_bpermute_b32 v70, v72, v3 offset:4
	v_mul_f32_e32 v25, v25, v24
	s_waitcnt vmcnt(0)
	v_lshl_add_u64 v[4:5], v[4:5], 0, v[98:99]
	global_load_ushort v4, v[4:5], off
	s_waitcnt vmcnt(0)
	v_lshlrev_b32_e32 v26, 16, v4
	scratch_load_dwordx2 v[4:5], off, off offset:48 ; 8-byte Folded Reload
	s_waitcnt vmcnt(0)
	v_lshl_add_u64 v[4:5], v[4:5], 0, v[98:99]
	global_load_ushort v4, v[4:5], off
	s_waitcnt vmcnt(0)
	v_lshlrev_b32_e32 v27, 16, v4
	scratch_load_dwordx2 v[4:5], off, off offset:8 ; 8-byte Folded Reload
	s_waitcnt lgkmcnt(0)
	v_sub_f32_e32 v27, v27, v70
	v_mul_f32_e32 v27, v27, v26
	ds_bpermute_b32 v70, v72, v3 offset:8
	s_waitcnt vmcnt(0)
	v_lshl_add_u64 v[4:5], v[4:5], 0, v[98:99]
	global_load_ushort v4, v[4:5], off
	s_waitcnt vmcnt(0)
	v_lshlrev_b32_e32 v28, 16, v4
	scratch_load_dwordx2 v[4:5], off, off offset:56 ; 8-byte Folded Reload
	s_waitcnt vmcnt(0)
	v_lshl_add_u64 v[4:5], v[4:5], 0, v[98:99]
	global_load_ushort v4, v[4:5], off
	s_waitcnt vmcnt(0)
	v_lshlrev_b32_e32 v29, 16, v4
	scratch_load_dwordx2 v[4:5], off, off offset:16 ; 8-byte Folded Reload
	s_waitcnt lgkmcnt(0)
	v_sub_f32_e32 v29, v29, v70
	ds_bpermute_b32 v70, v72, v3 offset:12
	v_mul_f32_e32 v29, v29, v28
	s_waitcnt vmcnt(0)
	v_lshl_add_u64 v[4:5], v[4:5], 0, v[98:99]
	global_load_ushort v4, v[4:5], off
	s_waitcnt vmcnt(0)
	v_lshlrev_b32_e32 v30, 16, v4
	scratch_load_dwordx2 v[4:5], off, off offset:72 ; 8-byte Folded Reload
	s_waitcnt vmcnt(0)
	v_lshl_add_u64 v[4:5], v[4:5], 0, v[98:99]
	global_load_ushort v4, v[4:5], off
	s_waitcnt vmcnt(0)
	v_lshlrev_b32_e32 v31, 16, v4
	scratch_load_dwordx2 v[4:5], off, off offset:24 ; 8-byte Folded Reload
	s_waitcnt lgkmcnt(0)
	v_sub_f32_e32 v31, v31, v70
	ds_bpermute_b32 v70, v72, v3 offset:16
	v_mul_f32_e32 v31, v31, v30
	;; [unrolled: 16-line block ×3, first 2 shown]
	s_waitcnt vmcnt(0)
	v_lshl_add_u64 v[4:5], v[4:5], 0, v[98:99]
	global_load_ushort v4, v[4:5], off
	s_waitcnt vmcnt(0)
	v_lshlrev_b32_e32 v34, 16, v4
	scratch_load_dwordx2 v[4:5], off, off offset:88 ; 8-byte Folded Reload
	s_waitcnt vmcnt(0)
	v_lshl_add_u64 v[4:5], v[4:5], 0, v[98:99]
	global_load_ushort v4, v[4:5], off
	s_waitcnt vmcnt(0)
	v_lshlrev_b32_e32 v35, 16, v4
	scratch_load_dwordx2 v[4:5], off, off offset:40 ; 8-byte Folded Reload
	s_waitcnt lgkmcnt(0)
	v_sub_f32_e32 v35, v35, v70
	v_mul_f32_e32 v35, v35, v34
	s_waitcnt vmcnt(0)
	v_lshl_add_u64 v[4:5], v[4:5], 0, v[98:99]
	global_load_ushort v4, v[4:5], off
	s_waitcnt vmcnt(0)
	v_lshlrev_b32_e32 v4, 16, v4
	global_load_ushort v5, v[6:7], off
	s_waitcnt vmcnt(0)
	v_lshlrev_b32_e32 v5, 16, v5
	scratch_load_dwordx2 v[6:7], off, off offset:64 ; 8-byte Folded Reload
	s_waitcnt vmcnt(0)
	v_lshl_add_u64 v[6:7], v[6:7], 0, v[98:99]
	global_load_ushort v6, v[6:7], off
	s_waitcnt vmcnt(0)
	v_lshlrev_b32_e32 v6, 16, v6
	global_load_ushort v7, v[8:9], off
	s_waitcnt vmcnt(0)
	v_lshlrev_b32_e32 v7, 16, v7
	scratch_load_dwordx2 v[8:9], off, off offset:96 ; 8-byte Folded Reload
	;; [unrolled: 9-line block ×6, first 2 shown]
	s_waitcnt vmcnt(0)
	v_lshl_add_u64 v[18:19], v[18:19], 0, v[98:99]
	global_load_ushort v16, v[18:19], off
	s_waitcnt vmcnt(0)
	v_lshlrev_b32_e32 v18, 16, v16
	global_load_ushort v16, v[20:21], off
	v_lshl_add_u64 v[20:21], v[84:85], 0, v[98:99]
	s_waitcnt vmcnt(0)
	v_lshlrev_b32_e32 v19, 16, v16
	global_load_ushort v16, v[20:21], off
	s_waitcnt vmcnt(0)
	v_lshlrev_b32_e32 v20, 16, v16
	global_load_ushort v16, v[22:23], off
	v_lshl_add_u64 v[22:23], v[88:89], 0, v[98:99]
	s_waitcnt vmcnt(0)
	v_lshlrev_b32_e32 v21, 16, v16
	;; [unrolled: 7-line block ×3, first 2 shown]
	global_load_ushort v16, v[68:69], off
	v_lshl_add_u64 v[68:69], v[94:95], 0, v[98:99]
	global_load_ushort v68, v[68:69], off
	ds_bpermute_b32 v69, v72, v17
	s_waitcnt lgkmcnt(0)
	v_mul_f32_e32 v25, v25, v69
	ds_bpermute_b32 v69, v72, v17 offset:4
	v_pk_add_f32 v[24:25], v[80:81], v[24:25]
	s_waitcnt lgkmcnt(0)
	v_mul_f32_e32 v27, v27, v69
	v_pk_add_f32 v[24:25], v[24:25], v[26:27]
	ds_bpermute_b32 v27, v72, v3 offset:24
	ds_bpermute_b32 v26, v72, v17 offset:24
	;; [unrolled: 1-line block ×3, first 2 shown]
	s_waitcnt lgkmcnt(2)
	v_sub_f32_e32 v5, v5, v27
	ds_bpermute_b32 v27, v72, v3 offset:28
	v_mul_f32_e32 v5, v5, v4
	s_waitcnt lgkmcnt(2)
	v_mul_f32_e32 v5, v5, v26
	ds_bpermute_b32 v26, v72, v17 offset:28
	s_waitcnt lgkmcnt(2)
	v_mul_f32_e32 v29, v29, v69
	s_waitcnt lgkmcnt(1)
	v_sub_f32_e32 v7, v7, v27
	ds_bpermute_b32 v27, v72, v3 offset:32
	v_mul_f32_e32 v7, v7, v6
	s_waitcnt lgkmcnt(1)
	v_mul_f32_e32 v7, v7, v26
	ds_bpermute_b32 v26, v72, v17 offset:32
	ds_bpermute_b32 v69, v72, v17 offset:12
	s_waitcnt lgkmcnt(2)
	v_sub_f32_e32 v9, v9, v27
	ds_bpermute_b32 v27, v72, v3 offset:36
	v_mul_f32_e32 v9, v9, v8
	s_waitcnt lgkmcnt(2)
	v_mul_f32_e32 v9, v9, v26
	ds_bpermute_b32 v26, v72, v17 offset:36
	s_waitcnt lgkmcnt(2)
	v_mul_f32_e32 v31, v31, v69
	s_waitcnt lgkmcnt(1)
	v_sub_f32_e32 v11, v11, v27
	ds_bpermute_b32 v27, v72, v3 offset:40
	v_mul_f32_e32 v11, v11, v10
	s_waitcnt lgkmcnt(1)
	v_mul_f32_e32 v11, v11, v26
	ds_bpermute_b32 v26, v72, v17 offset:40
	ds_bpermute_b32 v69, v72, v17 offset:16
	;; [unrolled: 17-line block ×3, first 2 shown]
	s_waitcnt lgkmcnt(2)
	v_sub_f32_e32 v19, v19, v27
	ds_bpermute_b32 v27, v72, v3 offset:52
	v_pk_add_f32 v[24:25], v[24:25], v[28:29]
	v_mul_f32_e32 v19, v19, v18
	v_pk_add_f32 v[24:25], v[24:25], v[30:31]
	s_waitcnt lgkmcnt(2)
	v_mul_f32_e32 v19, v19, v26
	ds_bpermute_b32 v26, v72, v17 offset:52
	s_waitcnt lgkmcnt(2)
	v_mul_f32_e32 v35, v35, v69
	v_pk_add_f32 v[24:25], v[24:25], v[32:33]
	s_waitcnt lgkmcnt(1)
	v_sub_f32_e32 v21, v21, v27
	v_pk_add_f32 v[24:25], v[24:25], v[34:35]
	ds_bpermute_b32 v27, v72, v3 offset:56
	v_pk_add_f32 v[4:5], v[24:25], v[4:5]
	v_mul_f32_e32 v21, v21, v20
	v_pk_add_f32 v[4:5], v[4:5], v[6:7]
	ds_bpermute_b32 v3, v72, v3 offset:60
	s_waitcnt lgkmcnt(2)
	v_mul_f32_e32 v21, v21, v26
	ds_bpermute_b32 v26, v72, v17 offset:56
	v_pk_add_f32 v[4:5], v[4:5], v[8:9]
	ds_bpermute_b32 v6, v72, v17 offset:60
	v_pk_add_f32 v[4:5], v[4:5], v[10:11]
	s_waitcnt lgkmcnt(3)
	v_sub_f32_e32 v23, v23, v27
	v_pk_add_f32 v[4:5], v[4:5], v[12:13]
	s_waitcnt vmcnt(1)
	v_lshlrev_b32_e32 v16, 16, v16
	v_pk_add_f32 v[4:5], v[4:5], v[14:15]
	s_waitcnt vmcnt(0)
	v_lshlrev_b32_e32 v68, 16, v68
	v_mul_f32_e32 v23, v23, v22
	v_pk_add_f32 v[4:5], v[4:5], v[18:19]
	s_waitcnt lgkmcnt(2)
	v_sub_f32_e32 v3, v68, v3
	s_waitcnt lgkmcnt(1)
	v_mul_f32_e32 v23, v23, v26
	v_pk_add_f32 v[4:5], v[4:5], v[20:21]
	v_mul_f32_e32 v3, v3, v16
	v_pk_add_f32 v[4:5], v[4:5], v[22:23]
	s_waitcnt lgkmcnt(0)
	v_mul_f32_e32 v17, v3, v6
	v_pk_add_f32 v[68:69], v[4:5], v[16:17]
.LBB105_87:                             ;   in Loop: Header=BB105_88 Depth=1
	s_add_u32 s20, s20, s3
	s_addc_u32 s21, s21, 0
	v_mov_b64_e32 v[4:5], s[8:9]
	v_cmp_ge_i64_e32 vcc, s[20:21], v[4:5]
	scratch_load_dwordx2 v[4:5], off, off   ; 8-byte Folded Reload
	s_add_u32 s22, s22, s3
	v_lshl_add_u64 v[100:101], v[100:101], 0, s[6:7]
	v_lshl_add_u64 v[102:103], v[102:103], 0, s[6:7]
	s_addc_u32 s23, s23, 0
	v_lshl_add_u64 v[84:85], v[84:85], 0, s[6:7]
	v_lshl_add_u64 v[88:89], v[88:89], 0, s[6:7]
	;; [unrolled: 1-line block ×37, first 2 shown]
	s_and_b64 vcc, exec, vcc
	s_waitcnt vmcnt(0)
	v_lshl_add_u64 v[4:5], v[4:5], 0, s[6:7]
	scratch_store_dwordx2 off, v[4:5], off  ; 8-byte Folded Spill
	scratch_load_dwordx2 v[4:5], off, off offset:8 ; 8-byte Folded Reload
	s_waitcnt vmcnt(0)
	v_lshl_add_u64 v[4:5], v[4:5], 0, s[6:7]
	scratch_store_dwordx2 off, v[4:5], off offset:8 ; 8-byte Folded Spill
	scratch_load_dwordx2 v[4:5], off, off offset:16 ; 8-byte Folded Reload
	s_waitcnt vmcnt(0)
	v_lshl_add_u64 v[4:5], v[4:5], 0, s[6:7]
	scratch_store_dwordx2 off, v[4:5], off offset:16 ; 8-byte Folded Spill
	;; [unrolled: 4-line block ×22, first 2 shown]
	s_cbranch_vccnz .LBB105_130
.LBB105_88:                             ; =>This Inner Loop Header: Depth=1
	v_mov_b64_e32 v[4:5], s[8:9]
	v_cmp_ge_i64_e32 vcc, s[22:23], v[4:5]
	scratch_load_dwordx2 v[4:5], off, off offset:184 ; 8-byte Folded Reload
	v_mov_b32_e32 v80, v68
	v_mov_b32_e32 v81, v69
	s_mov_b64 s[54:55], -1
                                        ; implicit-def: $vgpr69
	s_waitcnt vmcnt(0)
	v_lshl_add_u64 v[70:71], v[4:5], 0, s[22:23]
	s_cbranch_vccz .LBB105_126
; %bb.89:                               ;   in Loop: Header=BB105_88 Depth=1
	s_load_dword s33, s[4:5], 0xc
	v_bfe_u32 v3, v75, 10, 10
	v_and_b32_e32 v4, 0x3ff, v75
	v_mov_b32_e32 v74, 0
	v_mov_b32_e32 v73, 0
	s_waitcnt lgkmcnt(0)
	s_and_b32 s33, s33, 0xffff
	v_mad_u32_u24 v3, v3, s33, v4
	v_and_b32_e32 v4, 63, v3
	v_cmp_gt_u32_e32 vcc, 16, v4
	s_and_saveexec_b64 s[54:55], vcc
	s_cbranch_execz .LBB105_93
; %bb.90:                               ;   in Loop: Header=BB105_88 Depth=1
	v_mov_b32_e32 v5, v2
	v_lshl_add_u64 v[4:5], v[70:71], 0, v[4:5]
	v_lshl_add_u64 v[4:5], v[4:5], 0, s[12:13]
	v_cmp_gt_i64_e32 vcc, s[8:9], v[4:5]
	v_mov_b32_e32 v73, 0
	v_mov_b32_e32 v74, 0
	s_and_saveexec_b64 s[56:57], vcc
	s_cbranch_execz .LBB105_92
; %bb.91:                               ;   in Loop: Header=BB105_88 Depth=1
	v_lshlrev_b64 v[4:5], 2, v[4:5]
	v_lshl_add_u64 v[6:7], s[18:19], 0, v[4:5]
	v_lshl_add_u64 v[4:5], s[16:17], 0, v[4:5]
	global_load_dword v73, v[4:5], off
	global_load_dword v74, v[6:7], off
.LBB105_92:                             ;   in Loop: Header=BB105_88 Depth=1
	s_or_b64 exec, exec, s[56:57]
.LBB105_93:                             ;   in Loop: Header=BB105_88 Depth=1
	s_or_b64 exec, exec, s[54:55]
	v_lshl_add_u64 v[4:5], v[70:71], 0, s[12:13]
	v_mov_b32_e32 v16, v2
	v_mov_b32_e32 v17, v2
	v_cmp_gt_i64_e32 vcc, s[8:9], v[4:5]
	v_mov_b32_e32 v3, v2
	v_mov_b32_e32 v4, v2
	;; [unrolled: 1-line block ×13, first 2 shown]
	v_mov_b64_e32 v[34:35], v[16:17]
	v_mov_b64_e32 v[32:33], v[14:15]
	;; [unrolled: 1-line block ×16, first 2 shown]
	s_and_saveexec_b64 s[54:55], vcc
	s_cbranch_execz .LBB105_95
; %bb.94:                               ;   in Loop: Header=BB105_88 Depth=1
	v_lshl_add_u64 v[4:5], v[100:101], 0, v[98:99]
	global_load_ushort v3, v[4:5], off
	v_lshl_add_u64 v[4:5], v[102:103], 0, v[98:99]
	global_load_ushort v20, v[4:5], off
	v_mov_b32_e32 v5, v2
	v_mov_b32_e32 v6, v2
	;; [unrolled: 1-line block ×30, first 2 shown]
	s_waitcnt vmcnt(1)
	v_lshlrev_b32_e32 v4, 16, v3
	s_waitcnt vmcnt(0)
	v_lshlrev_b32_e32 v20, 16, v20
.LBB105_95:                             ;   in Loop: Header=BB105_88 Depth=1
	s_or_b64 exec, exec, s[54:55]
	v_lshl_add_u64 v[68:69], v[70:71], 0, s[14:15]
	v_cmp_gt_i64_e32 vcc, s[8:9], v[68:69]
	s_and_saveexec_b64 s[54:55], vcc
	s_cbranch_execz .LBB105_97
; %bb.96:                               ;   in Loop: Header=BB105_88 Depth=1
	v_lshl_add_u64 v[68:69], v[64:65], 0, v[98:99]
	global_load_ushort v3, v[68:69], off
	v_lshl_add_u64 v[68:69], v[66:67], 0, v[98:99]
	global_load_ushort v21, v[68:69], off
	s_waitcnt vmcnt(1)
	v_lshlrev_b32_e32 v5, 16, v3
	s_waitcnt vmcnt(0)
	v_lshlrev_b32_e32 v21, 16, v21
.LBB105_97:                             ;   in Loop: Header=BB105_88 Depth=1
	s_or_b64 exec, exec, s[54:55]
	v_lshl_add_u64 v[68:69], v[70:71], 0, s[24:25]
	v_cmp_gt_i64_e32 vcc, s[8:9], v[68:69]
	s_and_saveexec_b64 s[54:55], vcc
	s_cbranch_execz .LBB105_99
; %bb.98:                               ;   in Loop: Header=BB105_88 Depth=1
	v_lshl_add_u64 v[68:69], v[60:61], 0, v[98:99]
	global_load_ushort v3, v[68:69], off
	v_lshl_add_u64 v[68:69], v[62:63], 0, v[98:99]
	global_load_ushort v22, v[68:69], off
	s_waitcnt vmcnt(1)
	v_lshlrev_b32_e32 v6, 16, v3
	s_waitcnt vmcnt(0)
	v_lshlrev_b32_e32 v22, 16, v22
.LBB105_99:                             ;   in Loop: Header=BB105_88 Depth=1
	s_or_b64 exec, exec, s[54:55]
	v_lshl_add_u64 v[68:69], v[70:71], 0, s[26:27]
	v_cmp_gt_i64_e32 vcc, s[8:9], v[68:69]
	s_and_saveexec_b64 s[54:55], vcc
	s_cbranch_execz .LBB105_101
; %bb.100:                              ;   in Loop: Header=BB105_88 Depth=1
	v_lshl_add_u64 v[68:69], v[56:57], 0, v[98:99]
	global_load_ushort v3, v[68:69], off
	v_lshl_add_u64 v[68:69], v[58:59], 0, v[98:99]
	global_load_ushort v23, v[68:69], off
	s_waitcnt vmcnt(1)
	v_lshlrev_b32_e32 v7, 16, v3
	s_waitcnt vmcnt(0)
	v_lshlrev_b32_e32 v23, 16, v23
.LBB105_101:                            ;   in Loop: Header=BB105_88 Depth=1
	s_or_b64 exec, exec, s[54:55]
	v_lshl_add_u64 v[68:69], v[70:71], 0, s[28:29]
	v_cmp_gt_i64_e32 vcc, s[8:9], v[68:69]
	s_and_saveexec_b64 s[54:55], vcc
	s_cbranch_execz .LBB105_103
; %bb.102:                              ;   in Loop: Header=BB105_88 Depth=1
	v_lshl_add_u64 v[68:69], v[52:53], 0, v[98:99]
	global_load_ushort v3, v[68:69], off
	v_lshl_add_u64 v[68:69], v[54:55], 0, v[98:99]
	global_load_ushort v24, v[68:69], off
	s_waitcnt vmcnt(1)
	v_lshlrev_b32_e32 v8, 16, v3
	s_waitcnt vmcnt(0)
	v_lshlrev_b32_e32 v24, 16, v24
.LBB105_103:                            ;   in Loop: Header=BB105_88 Depth=1
	;; [unrolled: 15-line block ×13, first 2 shown]
	s_or_b64 exec, exec, s[54:55]
	s_waitcnt vmcnt(1)
	ds_bpermute_b32 v68, v72, v73
	s_waitcnt vmcnt(0)
	ds_bpermute_b32 v3, v72, v74
	v_mov_b32_e32 v76, v6
	v_mov_b32_e32 v78, v8
	s_mov_b64 s[54:55], 0
	s_waitcnt lgkmcnt(1)
	v_sub_f32_e32 v20, v20, v68
	v_mul_f32_e32 v20, v4, v20
	s_waitcnt lgkmcnt(0)
	v_mul_f32_e32 v69, v20, v3
	ds_bpermute_b32 v20, v72, v73 offset:4
	ds_bpermute_b32 v3, v72, v74 offset:4
	v_mov_b32_e32 v68, v4
	v_pk_add_f32 v[68:69], v[80:81], v[68:69]
	s_waitcnt lgkmcnt(1)
	v_sub_f32_e32 v20, v21, v20
	v_mul_f32_e32 v20, v5, v20
	s_waitcnt lgkmcnt(0)
	v_mul_f32_e32 v21, v20, v3
	ds_bpermute_b32 v20, v72, v73 offset:8
	ds_bpermute_b32 v3, v72, v74 offset:8
	s_waitcnt lgkmcnt(1)
	v_sub_f32_e32 v20, v22, v20
	v_mul_f32_e32 v20, v6, v20
	s_waitcnt lgkmcnt(0)
	v_mul_f32_e32 v77, v20, v3
	ds_bpermute_b32 v20, v72, v73 offset:12
	ds_bpermute_b32 v3, v72, v74 offset:12
	;; [unrolled: 1-line block ×3, first 2 shown]
	v_mov_b32_e32 v22, v7
	s_waitcnt lgkmcnt(2)
	v_sub_f32_e32 v20, v23, v20
	v_mul_f32_e32 v20, v7, v20
	s_waitcnt lgkmcnt(1)
	v_mul_f32_e32 v23, v20, v3
	ds_bpermute_b32 v20, v72, v73 offset:16
	ds_bpermute_b32 v3, v72, v74 offset:16
	s_waitcnt lgkmcnt(2)
	v_sub_f32_e32 v6, v26, v6
	v_mul_f32_e32 v6, v10, v6
	v_mov_b32_e32 v26, v15
	s_waitcnt lgkmcnt(1)
	v_sub_f32_e32 v20, v24, v20
	v_mul_f32_e32 v20, v8, v20
	s_waitcnt lgkmcnt(0)
	v_mul_f32_e32 v79, v20, v3
	ds_bpermute_b32 v20, v72, v73 offset:20
	ds_bpermute_b32 v3, v72, v74 offset:20
	v_mov_b32_e32 v24, v9
	v_mov_b32_e32 v8, v11
	s_waitcnt lgkmcnt(1)
	v_sub_f32_e32 v20, v25, v20
	v_mul_f32_e32 v20, v9, v20
	s_waitcnt lgkmcnt(0)
	v_mul_f32_e32 v25, v20, v3
	ds_bpermute_b32 v3, v72, v74 offset:24
	v_mov_b32_e32 v20, v5
	v_pk_add_f32 v[4:5], v[20:21], v[68:69]
	v_mov_b32_e32 v20, v12
	v_pk_add_f32 v[4:5], v[76:77], v[4:5]
	s_waitcnt lgkmcnt(0)
	v_mul_f32_e32 v7, v6, v3
	ds_bpermute_b32 v6, v72, v73 offset:28
	ds_bpermute_b32 v3, v72, v74 offset:28
	v_pk_add_f32 v[4:5], v[22:23], v[4:5]
	v_mov_b32_e32 v22, v13
	v_pk_add_f32 v[4:5], v[78:79], v[4:5]
	s_waitcnt lgkmcnt(1)
	v_sub_f32_e32 v6, v27, v6
	v_mul_f32_e32 v6, v11, v6
	s_waitcnt lgkmcnt(0)
	v_mul_f32_e32 v9, v6, v3
	ds_bpermute_b32 v6, v72, v73 offset:32
	ds_bpermute_b32 v3, v72, v74 offset:32
	v_pk_add_f32 v[4:5], v[24:25], v[4:5]
	v_mov_b32_e32 v24, v14
	s_waitcnt lgkmcnt(1)
	v_sub_f32_e32 v6, v28, v6
	v_mul_f32_e32 v6, v12, v6
	s_waitcnt lgkmcnt(0)
	v_mul_f32_e32 v21, v6, v3
	ds_bpermute_b32 v6, v72, v73 offset:36
	ds_bpermute_b32 v3, v72, v74 offset:36
	v_mov_b32_e32 v28, v16
	s_waitcnt lgkmcnt(1)
	v_sub_f32_e32 v6, v29, v6
	v_mul_f32_e32 v6, v13, v6
	s_waitcnt lgkmcnt(0)
	v_mul_f32_e32 v23, v6, v3
	ds_bpermute_b32 v6, v72, v73 offset:40
	ds_bpermute_b32 v3, v72, v74 offset:40
	s_waitcnt lgkmcnt(1)
	v_sub_f32_e32 v6, v30, v6
	v_mul_f32_e32 v6, v14, v6
	s_waitcnt lgkmcnt(0)
	v_mul_f32_e32 v25, v6, v3
	ds_bpermute_b32 v6, v72, v73 offset:44
	ds_bpermute_b32 v3, v72, v74 offset:44
	v_mov_b32_e32 v30, v17
	s_waitcnt lgkmcnt(1)
	v_sub_f32_e32 v6, v31, v6
	v_mul_f32_e32 v6, v15, v6
	s_waitcnt lgkmcnt(0)
	v_mul_f32_e32 v27, v6, v3
	ds_bpermute_b32 v6, v72, v73 offset:48
	ds_bpermute_b32 v3, v72, v74 offset:48
	;; [unrolled: 15-line block ×3, first 2 shown]
	s_waitcnt lgkmcnt(1)
	v_sub_f32_e32 v6, v34, v6
	v_mul_f32_e32 v6, v18, v6
	s_waitcnt lgkmcnt(0)
	v_mul_f32_e32 v33, v6, v3
	v_mov_b32_e32 v6, v10
	v_pk_add_f32 v[4:5], v[6:7], v[4:5]
	ds_bpermute_b32 v6, v72, v73 offset:60
	v_pk_add_f32 v[4:5], v[8:9], v[4:5]
	ds_bpermute_b32 v3, v72, v74 offset:60
	v_pk_add_f32 v[4:5], v[20:21], v[4:5]
	s_waitcnt lgkmcnt(1)
	v_sub_f32_e32 v6, v35, v6
	v_pk_add_f32 v[4:5], v[22:23], v[4:5]
	v_mul_f32_e32 v6, v19, v6
	v_pk_add_f32 v[4:5], v[24:25], v[4:5]
	s_waitcnt lgkmcnt(0)
	v_mul_f32_e32 v7, v6, v3
	v_pk_add_f32 v[4:5], v[26:27], v[4:5]
	v_mov_b32_e32 v6, v19
	v_pk_add_f32 v[4:5], v[28:29], v[4:5]
	s_nop 0
	v_pk_add_f32 v[4:5], v[30:31], v[4:5]
	s_nop 0
	v_pk_add_f32 v[4:5], v[32:33], v[4:5]
	s_nop 0
	v_pk_add_f32 v[68:69], v[6:7], v[4:5]
.LBB105_126:                            ;   in Loop: Header=BB105_88 Depth=1
	s_and_b64 vcc, exec, s[54:55]
	s_cbranch_vccz .LBB105_87
; %bb.127:                              ;   in Loop: Header=BB105_88 Depth=1
	s_load_dword s33, s[4:5], 0x0
	v_bfe_u32 v4, v75, 10, 10
	v_and_b32_e32 v5, 0x3ff, v75
	v_mov_b32_e32 v17, 0
	s_waitcnt lgkmcnt(0)
	s_cmp_lt_u32 s2, s33
	s_cselect_b32 s33, 12, 18
	s_add_u32 s54, s4, s33
	s_addc_u32 s55, s5, 0
	global_load_ushort v3, v2, s[54:55]
	s_waitcnt vmcnt(0)
	v_mad_u32_u24 v3, v4, v3, v5
	v_and_b32_e32 v4, 63, v3
	v_cmp_gt_u32_e32 vcc, 16, v4
	v_mov_b32_e32 v3, 0
	s_and_saveexec_b64 s[54:55], vcc
	s_cbranch_execz .LBB105_86
; %bb.128:                              ;   in Loop: Header=BB105_88 Depth=1
	v_mov_b32_e32 v5, v2
	v_lshl_add_u64 v[4:5], v[70:71], 0, v[4:5]
	v_lshl_add_u64 v[4:5], v[4:5], 0, s[12:13]
	v_cmp_gt_i64_e32 vcc, s[8:9], v[4:5]
	v_mov_b32_e32 v3, 0
	v_mov_b32_e32 v17, 0
	s_and_saveexec_b64 s[56:57], vcc
	s_cbranch_execz .LBB105_85
; %bb.129:                              ;   in Loop: Header=BB105_88 Depth=1
	v_lshlrev_b64 v[4:5], 2, v[4:5]
	v_lshl_add_u64 v[6:7], s[18:19], 0, v[4:5]
	v_lshl_add_u64 v[4:5], s[16:17], 0, v[4:5]
	global_load_dword v3, v[4:5], off
	global_load_dword v17, v[6:7], off
	s_branch .LBB105_85
.LBB105_130:
	v_and_b32_e32 v1, 0x3ff, v75
	v_bfe_u32 v0, v75, 10, 10
	s_movk_i32 s3, 0x41
	v_mad_u32_u24 v2, v0, s3, v1
	v_lshl_add_u32 v2, v2, 2, 0
	ds_write_b32 v2, v69
	ds_write_b32 v2, v68 offset:4160
	v_bfe_u32 v2, v75, 6, 4
	v_add_u32_e32 v0, v2, v0
	v_cmp_gt_u32_e32 vcc, 64, v0
	s_waitcnt lgkmcnt(0)
	s_barrier
	s_and_saveexec_b64 s[4:5], vcc
	s_cbranch_execz .LBB105_162
; %bb.131:
	s_load_dwordx4 s[12:15], s[0:1], 0x30
	v_and_b32_e32 v2, 63, v1
	v_cmp_lt_u32_e64 s[4:5], 15, v2
	v_cmp_gt_u32_e64 s[0:1], 16, v2
	v_mul_u32_u24_e32 v6, 0x41, v2
                                        ; implicit-def: $vgpr2
	s_and_saveexec_b64 s[6:7], s[0:1]
	s_cbranch_execz .LBB105_133
; %bb.132:
	v_add_u32_e32 v2, v0, v6
	v_lshl_add_u32 v2, v2, 2, 0
	ds_read_b32 v3, v2
	ds_read_b32 v2, v2 offset:4160
.LBB105_133:
	s_or_b64 exec, exec, s[6:7]
	v_mbcnt_lo_u32_b32 v4, -1, 0
	v_mbcnt_hi_u32_b32 v10, -1, v4
	v_and_b32_e32 v4, 64, v10
	v_add_u32_e32 v11, 64, v4
	v_xor_b32_e32 v4, 8, v10
	v_cmp_lt_i32_e32 vcc, v4, v11
	v_xor_b32_e32 v8, 4, v10
	v_xor_b32_e32 v9, 2, v10
	v_cndmask_b32_e32 v4, v10, v4, vcc
	v_lshlrev_b32_e32 v7, 2, v4
	s_waitcnt lgkmcnt(0)
	ds_bpermute_b32 v5, v7, v3
	ds_bpermute_b32 v4, v7, v2
	v_cmp_lt_i32_e32 vcc, v8, v11
	s_mov_b32 s3, 0
	s_lshl_b64 s[8:9], s[2:3], 6
	v_cndmask_b32_e32 v8, v10, v8, vcc
	v_lshlrev_b32_e32 v8, 2, v8
	s_waitcnt lgkmcnt(0)
	v_pk_add_f32 v[2:3], v[2:3], v[4:5]
	ds_bpermute_b32 v5, v8, v3
	ds_bpermute_b32 v4, v8, v2
	v_cmp_lt_i32_e32 vcc, v9, v11
	v_cmp_eq_u32_e64 s[2:3], 0, v1
	v_xor_b32_e32 v1, 1, v10
	v_cndmask_b32_e32 v9, v10, v9, vcc
	v_lshlrev_b32_e32 v9, 2, v9
	s_waitcnt lgkmcnt(0)
	v_pk_add_f32 v[2:3], v[2:3], v[4:5]
	ds_bpermute_b32 v5, v9, v3
	ds_bpermute_b32 v4, v9, v2
	v_cmp_lt_i32_e32 vcc, v1, v11
	s_cmp_lg_u64 s[12:13], 0
	s_cselect_b64 s[16:17], -1, 0
	v_cndmask_b32_e32 v1, v10, v1, vcc
	s_waitcnt lgkmcnt(0)
	v_pk_add_f32 v[2:3], v[2:3], v[4:5]
	v_lshlrev_b32_e32 v10, 2, v1
	ds_bpermute_b32 v5, v10, v3
	ds_bpermute_b32 v4, v10, v2
	s_cmp_lg_u64 s[14:15], 0
	s_cselect_b64 s[6:7], -1, 0
	v_mov_b32_e32 v1, 0
	s_waitcnt lgkmcnt(0)
	v_pk_add_f32 v[2:3], v[2:3], v[4:5]
	v_or_b32_e32 v4, s8, v0
	v_mov_b32_e32 v5, s9
	v_cmp_gt_i64_e32 vcc, s[10:11], v[4:5]
	s_and_b64 s[20:21], s[2:3], vcc
	s_and_saveexec_b64 s[18:19], s[20:21]
	s_cbranch_execz .LBB105_138
; %bb.134:
	s_andn2_b64 vcc, exec, s[16:17]
	s_cbranch_vccnz .LBB105_136
; %bb.135:
	v_bfe_u32 v11, v3, 16, 1
	s_movk_i32 s20, 0x7fff
	v_add3_u32 v11, v3, v11, s20
	v_cmp_o_f32_e32 vcc, v3, v3
	v_mov_b32_e32 v12, 0x7fc0
	s_nop 0
	v_cndmask_b32_sdwa v11, v12, v11, vcc dst_sel:DWORD dst_unused:UNUSED_PAD src0_sel:DWORD src1_sel:WORD_1
	v_lshl_add_u64 v[12:13], v[4:5], 1, s[12:13]
	global_store_short v[12:13], v11, off
.LBB105_136:
	s_andn2_b64 vcc, exec, s[6:7]
	s_cbranch_vccnz .LBB105_138
; %bb.137:
	v_bfe_u32 v11, v2, 16, 1
	s_movk_i32 s20, 0x7fff
	v_add3_u32 v11, v2, v11, s20
	v_cmp_o_f32_e32 vcc, v2, v2
	v_mov_b32_e32 v12, 0x7fc0
	v_lshl_add_u64 v[4:5], v[4:5], 1, s[14:15]
	v_cndmask_b32_sdwa v11, v12, v11, vcc dst_sel:DWORD dst_unused:UNUSED_PAD src0_sel:DWORD src1_sel:WORD_1
	global_store_short v[4:5], v11, off
.LBB105_138:
	s_or_b64 exec, exec, s[18:19]
	v_cmp_gt_u32_e32 vcc, 48, v0
	s_and_b64 exec, exec, vcc
	s_cbranch_execz .LBB105_162
; %bb.139:
	s_and_saveexec_b64 s[18:19], s[4:5]
	s_xor_b64 s[18:19], exec, s[18:19]
	s_andn2_saveexec_b64 s[18:19], s[18:19]
	s_cbranch_execz .LBB105_141
; %bb.140:
	v_add_u32_e32 v2, v0, v6
	v_lshl_add_u32 v2, v2, 2, 0
	ds_read_b32 v3, v2 offset:64
	ds_read_b32 v2, v2 offset:4224
.LBB105_141:
	s_or_b64 exec, exec, s[18:19]
	s_waitcnt lgkmcnt(1)
	ds_bpermute_b32 v5, v7, v3
	s_waitcnt lgkmcnt(1)
	ds_bpermute_b32 v4, v7, v2
	v_add_u32_e32 v12, 16, v0
	v_mov_b32_e32 v13, 0
	v_lshl_add_u64 v[12:13], s[8:9], 0, v[12:13]
	v_cmp_gt_i64_e32 vcc, s[10:11], v[12:13]
	s_waitcnt lgkmcnt(0)
	v_pk_add_f32 v[2:3], v[2:3], v[4:5]
	ds_bpermute_b32 v5, v8, v3
	ds_bpermute_b32 v4, v8, v2
	s_and_b64 s[20:21], s[2:3], vcc
	s_waitcnt lgkmcnt(0)
	v_pk_add_f32 v[2:3], v[2:3], v[4:5]
	ds_bpermute_b32 v5, v9, v3
	ds_bpermute_b32 v4, v9, v2
	s_waitcnt lgkmcnt(0)
	v_pk_add_f32 v[2:3], v[2:3], v[4:5]
	ds_bpermute_b32 v5, v10, v3
	ds_bpermute_b32 v4, v10, v2
	s_waitcnt lgkmcnt(0)
	v_pk_add_f32 v[2:3], v[2:3], v[4:5]
	s_and_saveexec_b64 s[18:19], s[20:21]
	s_cbranch_execz .LBB105_146
; %bb.142:
	s_andn2_b64 vcc, exec, s[16:17]
	s_cbranch_vccnz .LBB105_144
; %bb.143:
	v_bfe_u32 v4, v3, 16, 1
	s_movk_i32 s20, 0x7fff
	v_add3_u32 v4, v3, v4, s20
	v_cmp_o_f32_e32 vcc, v3, v3
	v_mov_b32_e32 v5, 0x7fc0
	s_nop 0
	v_cndmask_b32_sdwa v11, v5, v4, vcc dst_sel:DWORD dst_unused:UNUSED_PAD src0_sel:DWORD src1_sel:WORD_1
	v_lshl_add_u64 v[4:5], s[8:9], 0, v[0:1]
	v_lshl_add_u64 v[4:5], v[4:5], 1, s[12:13]
	global_store_short v[4:5], v11, off offset:32
.LBB105_144:
	s_andn2_b64 vcc, exec, s[6:7]
	s_cbranch_vccnz .LBB105_146
; %bb.145:
	v_bfe_u32 v4, v2, 16, 1
	s_movk_i32 s20, 0x7fff
	v_add3_u32 v4, v2, v4, s20
	v_cmp_o_f32_e32 vcc, v2, v2
	v_mov_b32_e32 v5, 0x7fc0
	s_nop 0
	v_cndmask_b32_sdwa v11, v5, v4, vcc dst_sel:DWORD dst_unused:UNUSED_PAD src0_sel:DWORD src1_sel:WORD_1
	v_lshl_add_u64 v[4:5], s[8:9], 0, v[0:1]
	v_lshl_add_u64 v[4:5], v[4:5], 1, s[14:15]
	global_store_short v[4:5], v11, off offset:32
.LBB105_146:
	s_or_b64 exec, exec, s[18:19]
	v_cmp_gt_u32_e32 vcc, 32, v0
	s_and_b64 exec, exec, vcc
	s_cbranch_execz .LBB105_162
; %bb.147:
	s_and_saveexec_b64 s[18:19], s[4:5]
	s_xor_b64 s[4:5], exec, s[18:19]
	s_andn2_saveexec_b64 s[4:5], s[4:5]
	s_cbranch_execz .LBB105_149
; %bb.148:
	v_add_u32_e32 v2, v0, v6
	v_lshl_add_u32 v2, v2, 2, 0
	ds_read_b32 v3, v2 offset:128
	ds_read_b32 v2, v2 offset:4288
.LBB105_149:
	s_or_b64 exec, exec, s[4:5]
	s_waitcnt lgkmcnt(1)
	ds_bpermute_b32 v5, v7, v3
	s_waitcnt lgkmcnt(1)
	ds_bpermute_b32 v4, v7, v2
	v_add_u32_e32 v11, 32, v0
	v_mov_b32_e32 v13, s9
	v_or_b32_e32 v12, s8, v11
	v_cmp_gt_i64_e32 vcc, s[10:11], v[12:13]
	s_waitcnt lgkmcnt(0)
	v_pk_add_f32 v[2:3], v[2:3], v[4:5]
	ds_bpermute_b32 v5, v8, v3
	ds_bpermute_b32 v4, v8, v2
	s_and_b64 s[18:19], s[2:3], vcc
	s_waitcnt lgkmcnt(0)
	v_pk_add_f32 v[2:3], v[2:3], v[4:5]
	ds_bpermute_b32 v5, v9, v3
	ds_bpermute_b32 v4, v9, v2
	s_waitcnt lgkmcnt(0)
	v_pk_add_f32 v[2:3], v[2:3], v[4:5]
	ds_bpermute_b32 v5, v10, v3
	ds_bpermute_b32 v4, v10, v2
	s_waitcnt lgkmcnt(0)
	v_pk_add_f32 v[2:3], v[2:3], v[4:5]
	s_and_saveexec_b64 s[4:5], s[18:19]
	s_cbranch_execz .LBB105_154
; %bb.150:
	s_andn2_b64 vcc, exec, s[16:17]
	s_cbranch_vccnz .LBB105_152
; %bb.151:
	v_bfe_u32 v4, v3, 16, 1
	s_movk_i32 s18, 0x7fff
	v_add3_u32 v4, v3, v4, s18
	v_cmp_o_f32_e32 vcc, v3, v3
	v_mov_b32_e32 v5, 0x7fc0
	s_nop 0
	v_cndmask_b32_sdwa v11, v5, v4, vcc dst_sel:DWORD dst_unused:UNUSED_PAD src0_sel:DWORD src1_sel:WORD_1
	v_lshl_add_u64 v[4:5], s[8:9], 0, v[0:1]
	v_lshl_add_u64 v[4:5], v[4:5], 1, s[12:13]
	global_store_short v[4:5], v11, off offset:64
.LBB105_152:
	s_andn2_b64 vcc, exec, s[6:7]
	s_cbranch_vccnz .LBB105_154
; %bb.153:
	v_bfe_u32 v4, v2, 16, 1
	s_movk_i32 s18, 0x7fff
	v_add3_u32 v4, v2, v4, s18
	v_cmp_o_f32_e32 vcc, v2, v2
	v_mov_b32_e32 v5, 0x7fc0
	s_nop 0
	v_cndmask_b32_sdwa v11, v5, v4, vcc dst_sel:DWORD dst_unused:UNUSED_PAD src0_sel:DWORD src1_sel:WORD_1
	v_lshl_add_u64 v[4:5], s[8:9], 0, v[0:1]
	v_lshl_add_u64 v[4:5], v[4:5], 1, s[14:15]
	global_store_short v[4:5], v11, off offset:64
.LBB105_154:
	s_or_b64 exec, exec, s[4:5]
	v_cmp_gt_u32_e32 vcc, 16, v0
	s_and_b64 exec, exec, vcc
	s_cbranch_execz .LBB105_162
; %bb.155:
	s_and_saveexec_b64 s[4:5], s[0:1]
	s_cbranch_execz .LBB105_157
; %bb.156:
	v_add_u32_e32 v2, v0, v6
	v_lshl_add_u32 v2, v2, 2, 0
	ds_read_b32 v3, v2 offset:192
	ds_read_b32 v2, v2 offset:4352
.LBB105_157:
	s_or_b64 exec, exec, s[4:5]
	s_waitcnt lgkmcnt(1)
	ds_bpermute_b32 v4, v7, v3
	s_waitcnt lgkmcnt(1)
	ds_bpermute_b32 v5, v7, v2
	v_add_u32_e32 v6, 48, v0
	v_or_b32_e32 v6, s8, v6
	v_mov_b32_e32 v7, s9
	s_waitcnt lgkmcnt(1)
	v_add_f32_e32 v3, v3, v4
	s_waitcnt lgkmcnt(0)
	v_add_f32_e32 v2, v2, v5
	ds_bpermute_b32 v4, v8, v3
	ds_bpermute_b32 v5, v8, v2
	v_cmp_gt_i64_e32 vcc, s[10:11], v[6:7]
	s_and_b64 s[0:1], s[2:3], vcc
	s_waitcnt lgkmcnt(1)
	v_add_f32_e32 v3, v3, v4
	s_waitcnt lgkmcnt(0)
	v_add_f32_e32 v2, v2, v5
	ds_bpermute_b32 v4, v9, v3
	ds_bpermute_b32 v5, v9, v2
	s_waitcnt lgkmcnt(1)
	v_add_f32_e32 v4, v3, v4
	s_waitcnt lgkmcnt(0)
	v_add_f32_e32 v2, v2, v5
	ds_bpermute_b32 v5, v10, v4
	ds_bpermute_b32 v3, v10, v2
	s_and_b64 exec, exec, s[0:1]
	s_cbranch_execz .LBB105_162
; %bb.158:
	s_andn2_b64 vcc, exec, s[16:17]
	v_lshl_add_u64 v[0:1], s[8:9], 0, v[0:1]
	s_cbranch_vccnz .LBB105_160
; %bb.159:
	s_waitcnt lgkmcnt(1)
	v_add_f32_e32 v4, v4, v5
	v_bfe_u32 v5, v4, 16, 1
	s_movk_i32 s0, 0x7fff
	v_add3_u32 v5, v4, v5, s0
	v_cmp_o_f32_e32 vcc, v4, v4
	v_mov_b32_e32 v4, 0x7fc0
	s_nop 0
	v_cndmask_b32_sdwa v6, v4, v5, vcc dst_sel:DWORD dst_unused:UNUSED_PAD src0_sel:DWORD src1_sel:WORD_1
	v_lshl_add_u64 v[4:5], v[0:1], 1, s[12:13]
	global_store_short v[4:5], v6, off offset:96
.LBB105_160:
	s_andn2_b64 vcc, exec, s[6:7]
	s_cbranch_vccnz .LBB105_162
; %bb.161:
	s_waitcnt lgkmcnt(0)
	v_add_f32_e32 v2, v2, v3
	v_bfe_u32 v3, v2, 16, 1
	s_movk_i32 s0, 0x7fff
	v_add3_u32 v3, v2, v3, s0
	v_cmp_o_f32_e32 vcc, v2, v2
	v_mov_b32_e32 v2, 0x7fc0
	v_lshl_add_u64 v[0:1], v[0:1], 1, s[14:15]
	v_cndmask_b32_sdwa v2, v2, v3, vcc dst_sel:DWORD dst_unused:UNUSED_PAD src0_sel:DWORD src1_sel:WORD_1
	global_store_short v[0:1], v2, off offset:96
.LBB105_162:
	s_endpgm
	.section	.rodata,"a",@progbits
	.p2align	6, 0x0
	.amdhsa_kernel _ZN2at6native12_GLOBAL__N_135GammaBetaBackwardCUDAKernelTemplateIN3c108BFloat16EfLj64ELj16ELj256ELb0ELb0ELb0EEEvllPKT_S7_PKT0_SA_PS5_SB_
		.amdhsa_group_segment_fixed_size 0
		.amdhsa_private_segment_fixed_size 196
		.amdhsa_kernarg_size 320
		.amdhsa_user_sgpr_count 2
		.amdhsa_user_sgpr_dispatch_ptr 0
		.amdhsa_user_sgpr_queue_ptr 0
		.amdhsa_user_sgpr_kernarg_segment_ptr 1
		.amdhsa_user_sgpr_dispatch_id 0
		.amdhsa_user_sgpr_kernarg_preload_length 0
		.amdhsa_user_sgpr_kernarg_preload_offset 0
		.amdhsa_user_sgpr_private_segment_size 0
		.amdhsa_uses_dynamic_stack 0
		.amdhsa_enable_private_segment 1
		.amdhsa_system_sgpr_workgroup_id_x 1
		.amdhsa_system_sgpr_workgroup_id_y 1
		.amdhsa_system_sgpr_workgroup_id_z 0
		.amdhsa_system_sgpr_workgroup_info 0
		.amdhsa_system_vgpr_workitem_id 1
		.amdhsa_next_free_vgpr 128
		.amdhsa_next_free_sgpr 68
		.amdhsa_accum_offset 128
		.amdhsa_reserve_vcc 1
		.amdhsa_float_round_mode_32 0
		.amdhsa_float_round_mode_16_64 0
		.amdhsa_float_denorm_mode_32 3
		.amdhsa_float_denorm_mode_16_64 3
		.amdhsa_dx10_clamp 1
		.amdhsa_ieee_mode 1
		.amdhsa_fp16_overflow 0
		.amdhsa_tg_split 0
		.amdhsa_exception_fp_ieee_invalid_op 0
		.amdhsa_exception_fp_denorm_src 0
		.amdhsa_exception_fp_ieee_div_zero 0
		.amdhsa_exception_fp_ieee_overflow 0
		.amdhsa_exception_fp_ieee_underflow 0
		.amdhsa_exception_fp_ieee_inexact 0
		.amdhsa_exception_int_div_zero 0
	.end_amdhsa_kernel
	.section	.text._ZN2at6native12_GLOBAL__N_135GammaBetaBackwardCUDAKernelTemplateIN3c108BFloat16EfLj64ELj16ELj256ELb0ELb0ELb0EEEvllPKT_S7_PKT0_SA_PS5_SB_,"axG",@progbits,_ZN2at6native12_GLOBAL__N_135GammaBetaBackwardCUDAKernelTemplateIN3c108BFloat16EfLj64ELj16ELj256ELb0ELb0ELb0EEEvllPKT_S7_PKT0_SA_PS5_SB_,comdat
.Lfunc_end105:
	.size	_ZN2at6native12_GLOBAL__N_135GammaBetaBackwardCUDAKernelTemplateIN3c108BFloat16EfLj64ELj16ELj256ELb0ELb0ELb0EEEvllPKT_S7_PKT0_SA_PS5_SB_, .Lfunc_end105-_ZN2at6native12_GLOBAL__N_135GammaBetaBackwardCUDAKernelTemplateIN3c108BFloat16EfLj64ELj16ELj256ELb0ELb0ELb0EEEvllPKT_S7_PKT0_SA_PS5_SB_
                                        ; -- End function
	.set _ZN2at6native12_GLOBAL__N_135GammaBetaBackwardCUDAKernelTemplateIN3c108BFloat16EfLj64ELj16ELj256ELb0ELb0ELb0EEEvllPKT_S7_PKT0_SA_PS5_SB_.num_vgpr, 128
	.set _ZN2at6native12_GLOBAL__N_135GammaBetaBackwardCUDAKernelTemplateIN3c108BFloat16EfLj64ELj16ELj256ELb0ELb0ELb0EEEvllPKT_S7_PKT0_SA_PS5_SB_.num_agpr, 0
	.set _ZN2at6native12_GLOBAL__N_135GammaBetaBackwardCUDAKernelTemplateIN3c108BFloat16EfLj64ELj16ELj256ELb0ELb0ELb0EEEvllPKT_S7_PKT0_SA_PS5_SB_.numbered_sgpr, 68
	.set _ZN2at6native12_GLOBAL__N_135GammaBetaBackwardCUDAKernelTemplateIN3c108BFloat16EfLj64ELj16ELj256ELb0ELb0ELb0EEEvllPKT_S7_PKT0_SA_PS5_SB_.num_named_barrier, 0
	.set _ZN2at6native12_GLOBAL__N_135GammaBetaBackwardCUDAKernelTemplateIN3c108BFloat16EfLj64ELj16ELj256ELb0ELb0ELb0EEEvllPKT_S7_PKT0_SA_PS5_SB_.private_seg_size, 196
	.set _ZN2at6native12_GLOBAL__N_135GammaBetaBackwardCUDAKernelTemplateIN3c108BFloat16EfLj64ELj16ELj256ELb0ELb0ELb0EEEvllPKT_S7_PKT0_SA_PS5_SB_.uses_vcc, 1
	.set _ZN2at6native12_GLOBAL__N_135GammaBetaBackwardCUDAKernelTemplateIN3c108BFloat16EfLj64ELj16ELj256ELb0ELb0ELb0EEEvllPKT_S7_PKT0_SA_PS5_SB_.uses_flat_scratch, 0
	.set _ZN2at6native12_GLOBAL__N_135GammaBetaBackwardCUDAKernelTemplateIN3c108BFloat16EfLj64ELj16ELj256ELb0ELb0ELb0EEEvllPKT_S7_PKT0_SA_PS5_SB_.has_dyn_sized_stack, 0
	.set _ZN2at6native12_GLOBAL__N_135GammaBetaBackwardCUDAKernelTemplateIN3c108BFloat16EfLj64ELj16ELj256ELb0ELb0ELb0EEEvllPKT_S7_PKT0_SA_PS5_SB_.has_recursion, 0
	.set _ZN2at6native12_GLOBAL__N_135GammaBetaBackwardCUDAKernelTemplateIN3c108BFloat16EfLj64ELj16ELj256ELb0ELb0ELb0EEEvllPKT_S7_PKT0_SA_PS5_SB_.has_indirect_call, 0
	.section	.AMDGPU.csdata,"",@progbits
; Kernel info:
; codeLenInByte = 15704
; TotalNumSgprs: 74
; NumVgprs: 128
; NumAgprs: 0
; TotalNumVgprs: 128
; ScratchSize: 196
; MemoryBound: 0
; FloatMode: 240
; IeeeMode: 1
; LDSByteSize: 0 bytes/workgroup (compile time only)
; SGPRBlocks: 9
; VGPRBlocks: 15
; NumSGPRsForWavesPerEU: 74
; NumVGPRsForWavesPerEU: 128
; AccumOffset: 128
; Occupancy: 4
; WaveLimiterHint : 0
; COMPUTE_PGM_RSRC2:SCRATCH_EN: 1
; COMPUTE_PGM_RSRC2:USER_SGPR: 2
; COMPUTE_PGM_RSRC2:TRAP_HANDLER: 0
; COMPUTE_PGM_RSRC2:TGID_X_EN: 1
; COMPUTE_PGM_RSRC2:TGID_Y_EN: 1
; COMPUTE_PGM_RSRC2:TGID_Z_EN: 0
; COMPUTE_PGM_RSRC2:TIDIG_COMP_CNT: 1
; COMPUTE_PGM_RSRC3_GFX90A:ACCUM_OFFSET: 31
; COMPUTE_PGM_RSRC3_GFX90A:TG_SPLIT: 0
	.section	.text._ZN2at6native12_GLOBAL__N_135GammaBetaBackwardCUDAKernelTemplateIN3c108BFloat16EfLj32ELj1ELj32ELb1ELb1ELb0EEEvllPKT_S7_PKT0_SA_PS5_SB_,"axG",@progbits,_ZN2at6native12_GLOBAL__N_135GammaBetaBackwardCUDAKernelTemplateIN3c108BFloat16EfLj32ELj1ELj32ELb1ELb1ELb0EEEvllPKT_S7_PKT0_SA_PS5_SB_,comdat
	.globl	_ZN2at6native12_GLOBAL__N_135GammaBetaBackwardCUDAKernelTemplateIN3c108BFloat16EfLj32ELj1ELj32ELb1ELb1ELb0EEEvllPKT_S7_PKT0_SA_PS5_SB_ ; -- Begin function _ZN2at6native12_GLOBAL__N_135GammaBetaBackwardCUDAKernelTemplateIN3c108BFloat16EfLj32ELj1ELj32ELb1ELb1ELb0EEEvllPKT_S7_PKT0_SA_PS5_SB_
	.p2align	8
	.type	_ZN2at6native12_GLOBAL__N_135GammaBetaBackwardCUDAKernelTemplateIN3c108BFloat16EfLj32ELj1ELj32ELb1ELb1ELb0EEEvllPKT_S7_PKT0_SA_PS5_SB_,@function
_ZN2at6native12_GLOBAL__N_135GammaBetaBackwardCUDAKernelTemplateIN3c108BFloat16EfLj32ELj1ELj32ELb1ELb1ELb0EEEvllPKT_S7_PKT0_SA_PS5_SB_: ; @_ZN2at6native12_GLOBAL__N_135GammaBetaBackwardCUDAKernelTemplateIN3c108BFloat16EfLj32ELj1ELj32ELb1ELb1ELb0EEEvllPKT_S7_PKT0_SA_PS5_SB_
; %bb.0:
	s_load_dwordx4 s[16:19], s[0:1], 0x0
	s_lshl_b32 s6, s3, 5
	s_mov_b32 s7, 0
	v_mov_b64_e32 v[2:3], s[6:7]
	s_mov_b32 s4, s3
	s_waitcnt lgkmcnt(0)
	v_cmp_gt_i64_e32 vcc, s[16:17], v[2:3]
	v_bfe_u32 v1, v0, 10, 10
	s_cbranch_vccnz .LBB106_2
; %bb.1:
	s_add_u32 s24, s0, 64
	s_addc_u32 s25, s1, 0
	s_mov_b64 s[8:9], 0
	v_bfe_u32 v2, v0, 10, 10
	s_branch .LBB106_3
.LBB106_2:
	s_mov_b64 s[8:9], -1
                                        ; implicit-def: $sgpr24_sgpr25
                                        ; implicit-def: $vgpr2
.LBB106_3:
	s_load_dwordx4 s[20:23], s[0:1], 0x30
	v_mov_b32_e32 v9, 0
	v_and_b32_e32 v0, 0x3ff, v0
	s_andn2_b64 vcc, exec, s[8:9]
	v_mov_b32_e32 v8, v9
	s_cbranch_vccnz .LBB106_11
; %bb.4:
	s_load_dword s3, s[0:1], 0x4c
	s_load_dword s5, s[0:1], 0x44
	s_load_dwordx8 s[8:15], s[0:1], 0x10
	s_add_u32 s24, s0, 64
	s_addc_u32 s25, s1, 0
	s_waitcnt lgkmcnt(0)
	s_and_b32 s0, s3, 0xffff
	v_mad_u32_u24 v2, v1, s0, v0
	v_lshlrev_b32_e32 v8, 5, v1
	v_mov_b32_e32 v9, 0
	v_mbcnt_lo_u32_b32 v4, -1, 0
	v_and_b32_e32 v2, 63, v2
	v_mov_b32_e32 v3, v9
	v_mbcnt_hi_u32_b32 v4, -1, v4
	s_lshl_b32 s26, s5, 5
	v_lshl_add_u64 v[42:43], v[8:9], 0, s[6:7]
	v_cmp_gt_u32_e64 s[0:1], 32, v2
	v_lshl_add_u32 v6, s2, 5, v0
	v_mov_b32_e32 v7, v9
	v_lshlrev_b32_e32 v4, 2, v4
	v_lshl_add_u64 v[2:3], v[42:43], 0, v[2:3]
	v_mul_lo_u32 v8, s19, v42
	v_mul_lo_u32 v44, s18, v43
	v_mad_u64_u32 v[42:43], s[30:31], s18, v42, 0
	s_mul_i32 s3, s19, s26
	s_mul_hi_u32 s5, s18, s26
	s_mov_b32 s27, 0
	v_and_b32_e32 v10, 0x100, v4
	v_add3_u32 v43, v43, v44, v8
	v_lshlrev_b64 v[6:7], 1, v[6:7]
	s_add_i32 s31, s5, s3
	s_mul_i32 s30, s18, s26
	v_or_b32_e32 v11, 4, v10
	v_or_b32_e32 v12, 8, v10
	;; [unrolled: 1-line block ×31, first 2 shown]
	v_lshlrev_b64 v[4:5], 2, v[2:3]
	s_lshl_b64 s[28:29], s[26:27], 2
	v_lshl_add_u64 v[6:7], v[42:43], 1, v[6:7]
	s_lshl_b64 s[30:31], s[30:31], 1
	s_lshl_b64 s[34:35], s[18:19], 1
	v_mov_b32_e32 v8, v9
	s_branch .LBB106_7
.LBB106_5:                              ;   in Loop: Header=BB106_7 Depth=1
	s_or_b64 exec, exec, s[38:39]
.LBB106_6:                              ;   in Loop: Header=BB106_7 Depth=1
	s_or_b64 exec, exec, s[36:37]
	v_lshl_add_u64 v[44:45], s[10:11], 0, v[6:7]
	global_load_ushort v48, v[44:45], off
	v_lshl_add_u64 v[46:47], s[8:9], 0, v[6:7]
	global_load_ushort v49, v[46:47], off
	;; [unrolled: 2-line block ×18, first 2 shown]
	v_lshl_add_u64 v[44:45], v[44:45], 0, s[34:35]
	v_lshl_add_u64 v[46:47], v[46:47], 0, s[34:35]
	global_load_ushort v68, v[44:45], off
	global_load_ushort v69, v[46:47], off
	s_waitcnt vmcnt(21)
	ds_bpermute_b32 v64, v10, v43
	s_waitcnt vmcnt(20)
	ds_bpermute_b32 v67, v10, v42
	v_lshl_add_u64 v[44:45], v[44:45], 0, s[34:35]
	v_lshl_add_u64 v[46:47], v[46:47], 0, s[34:35]
	s_add_u32 s6, s6, s26
	s_addc_u32 s7, s7, 0
	v_lshl_add_u64 v[4:5], v[4:5], 0, s[28:29]
	v_lshl_add_u64 v[2:3], v[2:3], 0, s[26:27]
	v_lshl_add_u64 v[6:7], v[6:7], 0, s[30:31]
	s_waitcnt vmcnt(19)
	v_lshlrev_b32_e32 v48, 16, v48
	s_waitcnt lgkmcnt(1)
	v_sub_f32_e32 v64, v48, v64
	s_waitcnt vmcnt(18)
	v_lshlrev_b32_e32 v48, 16, v49
	v_mul_f32_e32 v49, v64, v48
	ds_bpermute_b32 v64, v11, v43
	s_waitcnt vmcnt(17)
	v_lshlrev_b32_e32 v50, 16, v50
	s_waitcnt lgkmcnt(1)
	v_mul_f32_e32 v49, v49, v67
	ds_bpermute_b32 v67, v11, v42
	s_waitcnt vmcnt(15)
	v_lshlrev_b32_e32 v52, 16, v52
	s_waitcnt lgkmcnt(1)
	v_sub_f32_e32 v64, v50, v64
	v_lshlrev_b32_e32 v50, 16, v51
	v_mul_f32_e32 v51, v64, v50
	ds_bpermute_b32 v64, v12, v43
	s_waitcnt lgkmcnt(1)
	v_mul_f32_e32 v51, v51, v67
	ds_bpermute_b32 v67, v12, v42
	s_waitcnt vmcnt(13)
	v_lshlrev_b32_e32 v54, 16, v54
	s_waitcnt vmcnt(11)
	v_lshlrev_b32_e32 v56, 16, v56
	s_waitcnt lgkmcnt(1)
	v_sub_f32_e32 v64, v52, v64
	v_lshlrev_b32_e32 v52, 16, v53
	v_mul_f32_e32 v53, v64, v52
	ds_bpermute_b32 v64, v13, v43
	s_waitcnt lgkmcnt(1)
	v_mul_f32_e32 v53, v53, v67
	ds_bpermute_b32 v67, v13, v42
	s_waitcnt vmcnt(9)
	v_lshlrev_b32_e32 v58, 16, v58
	;; [unrolled: 12-line block ×4, first 2 shown]
	v_pk_add_f32 v[8:9], v[8:9], v[48:49]
	s_waitcnt lgkmcnt(1)
	v_sub_f32_e32 v64, v58, v64
	v_lshlrev_b32_e32 v58, 16, v59
	v_mul_f32_e32 v59, v64, v58
	ds_bpermute_b32 v64, v16, v43
	s_waitcnt lgkmcnt(1)
	v_mul_f32_e32 v59, v59, v67
	ds_bpermute_b32 v67, v16, v42
	v_pk_add_f32 v[8:9], v[8:9], v[50:51]
	ds_bpermute_b32 v48, v20, v43
	s_waitcnt lgkmcnt(2)
	v_sub_f32_e32 v64, v60, v64
	v_lshlrev_b32_e32 v60, 16, v61
	v_mul_f32_e32 v61, v64, v60
	ds_bpermute_b32 v64, v17, v43
	s_waitcnt lgkmcnt(2)
	v_mul_f32_e32 v61, v61, v67
	ds_bpermute_b32 v67, v17, v42
	v_pk_add_f32 v[8:9], v[8:9], v[52:53]
	ds_bpermute_b32 v49, v20, v42
	;; [unrolled: 10-line block ×3, first 2 shown]
	s_waitcnt lgkmcnt(2)
	v_sub_f32_e32 v65, v65, v64
	v_lshlrev_b32_e32 v64, 16, v66
	ds_bpermute_b32 v66, v19, v43
	v_mul_f32_e32 v65, v65, v64
	s_waitcnt lgkmcnt(2)
	v_mul_f32_e32 v65, v65, v67
	ds_bpermute_b32 v67, v19, v42
	v_pk_add_f32 v[8:9], v[8:9], v[56:57]
	s_waitcnt lgkmcnt(1)
	v_sub_f32_e32 v68, v68, v66
	s_waitcnt vmcnt(0)
	v_lshlrev_b32_e32 v66, 16, v69
	v_mul_f32_e32 v68, v68, v66
	s_waitcnt lgkmcnt(0)
	v_mul_f32_e32 v67, v68, v67
	global_load_ushort v68, v[44:45], off
	global_load_ushort v69, v[46:47], off
	v_lshl_add_u64 v[44:45], v[44:45], 0, s[34:35]
	global_load_ushort v70, v[44:45], off
	v_lshl_add_u64 v[46:47], v[46:47], 0, s[34:35]
	;; [unrolled: 2-line block ×14, first 2 shown]
	global_load_ushort v83, v[46:47], off
	v_pk_add_f32 v[8:9], v[8:9], v[58:59]
	v_lshl_add_u64 v[44:45], v[44:45], 0, s[34:35]
	v_pk_add_f32 v[8:9], v[8:9], v[60:61]
	v_lshl_add_u64 v[46:47], v[46:47], 0, s[34:35]
	v_pk_add_f32 v[8:9], v[8:9], v[62:63]
	ds_bpermute_b32 v53, v22, v42
	v_pk_add_f32 v[8:9], v[8:9], v[64:65]
	global_load_ushort v64, v[44:45], off
	global_load_ushort v65, v[46:47], off
	v_lshl_add_u64 v[44:45], v[44:45], 0, s[34:35]
	v_pk_add_f32 v[8:9], v[8:9], v[66:67]
	global_load_ushort v66, v[44:45], off
	v_lshl_add_u64 v[46:47], v[46:47], 0, s[34:35]
	global_load_ushort v67, v[46:47], off
	ds_bpermute_b32 v55, v23, v42
	ds_bpermute_b32 v57, v24, v42
	;; [unrolled: 1-line block ×5, first 2 shown]
	v_lshl_add_u64 v[44:45], v[44:45], 0, s[34:35]
	v_lshl_add_u64 v[46:47], v[46:47], 0, s[34:35]
	s_waitcnt vmcnt(19)
	v_lshlrev_b32_e32 v50, 16, v68
	v_sub_f32_e32 v50, v50, v48
	s_waitcnt vmcnt(18)
	v_lshlrev_b32_e32 v48, 16, v69
	v_mul_f32_e32 v50, v50, v48
	v_mul_f32_e32 v49, v50, v49
	ds_bpermute_b32 v50, v21, v43
	s_waitcnt vmcnt(17)
	v_lshlrev_b32_e32 v52, 16, v70
	s_waitcnt vmcnt(15)
	v_lshlrev_b32_e32 v54, 16, v72
	ds_bpermute_b32 v69, v28, v42
	v_pk_add_f32 v[8:9], v[8:9], v[48:49]
	s_waitcnt lgkmcnt(1)
	v_sub_f32_e32 v52, v52, v50
	v_lshlrev_b32_e32 v50, 16, v71
	v_mul_f32_e32 v52, v52, v50
	v_mul_f32_e32 v51, v52, v51
	ds_bpermute_b32 v52, v22, v43
	s_waitcnt vmcnt(13)
	v_lshlrev_b32_e32 v56, 16, v74
	s_waitcnt vmcnt(11)
	v_lshlrev_b32_e32 v58, 16, v76
	v_pk_add_f32 v[8:9], v[8:9], v[50:51]
	ds_bpermute_b32 v70, v30, v42
	s_waitcnt lgkmcnt(1)
	v_sub_f32_e32 v54, v54, v52
	v_lshlrev_b32_e32 v52, 16, v73
	v_mul_f32_e32 v54, v54, v52
	v_mul_f32_e32 v53, v54, v53
	ds_bpermute_b32 v54, v23, v43
	s_waitcnt vmcnt(9)
	v_lshlrev_b32_e32 v60, 16, v78
	s_waitcnt vmcnt(7)
	v_lshlrev_b32_e32 v62, 16, v80
	v_pk_add_f32 v[8:9], v[8:9], v[52:53]
	s_waitcnt vmcnt(5)
	v_lshlrev_b32_e32 v68, 16, v82
	s_waitcnt lgkmcnt(0)
	v_sub_f32_e32 v56, v56, v54
	v_lshlrev_b32_e32 v54, 16, v75
	v_mul_f32_e32 v56, v56, v54
	v_mul_f32_e32 v55, v56, v55
	ds_bpermute_b32 v56, v24, v43
	v_pk_add_f32 v[8:9], v[8:9], v[54:55]
	s_waitcnt lgkmcnt(0)
	v_sub_f32_e32 v58, v58, v56
	v_lshlrev_b32_e32 v56, 16, v77
	v_mul_f32_e32 v58, v58, v56
	v_mul_f32_e32 v57, v58, v57
	ds_bpermute_b32 v58, v25, v43
	s_waitcnt vmcnt(3)
	v_lshlrev_b32_e32 v64, 16, v64
	s_waitcnt vmcnt(1)
	v_lshlrev_b32_e32 v66, 16, v66
	v_pk_add_f32 v[8:9], v[8:9], v[56:57]
	s_waitcnt lgkmcnt(0)
	v_sub_f32_e32 v60, v60, v58
	v_lshlrev_b32_e32 v58, 16, v79
	v_mul_f32_e32 v60, v60, v58
	v_mul_f32_e32 v59, v60, v59
	ds_bpermute_b32 v60, v26, v43
	v_pk_add_f32 v[8:9], v[8:9], v[58:59]
	s_waitcnt lgkmcnt(0)
	v_sub_f32_e32 v62, v62, v60
	v_lshlrev_b32_e32 v60, 16, v81
	v_mul_f32_e32 v62, v62, v60
	v_mul_f32_e32 v61, v62, v61
	ds_bpermute_b32 v62, v27, v43
	v_pk_add_f32 v[8:9], v[8:9], v[60:61]
	s_waitcnt lgkmcnt(0)
	v_sub_f32_e32 v68, v68, v62
	v_lshlrev_b32_e32 v62, 16, v83
	v_mul_f32_e32 v68, v68, v62
	v_mul_f32_e32 v63, v68, v63
	ds_bpermute_b32 v68, v28, v43
	v_pk_add_f32 v[8:9], v[8:9], v[62:63]
	s_waitcnt lgkmcnt(0)
	v_sub_f32_e32 v68, v64, v68
	v_lshlrev_b32_e32 v64, 16, v65
	v_mul_f32_e32 v65, v68, v64
	ds_bpermute_b32 v68, v29, v43
	v_mul_f32_e32 v65, v65, v69
	ds_bpermute_b32 v69, v29, v42
	v_pk_add_f32 v[8:9], v[8:9], v[64:65]
	s_waitcnt lgkmcnt(1)
	v_sub_f32_e32 v68, v66, v68
	s_waitcnt vmcnt(0)
	v_lshlrev_b32_e32 v66, 16, v67
	v_mul_f32_e32 v67, v68, v66
	global_load_ushort v68, v[44:45], off
	s_waitcnt lgkmcnt(0)
	v_mul_f32_e32 v67, v67, v69
	ds_bpermute_b32 v69, v30, v43
	v_lshl_add_u64 v[44:45], v[44:45], 0, s[34:35]
	global_load_ushort v48, v[44:45], off
	v_lshl_add_u64 v[44:45], v[44:45], 0, s[34:35]
	global_load_ushort v50, v[44:45], off
	;; [unrolled: 2-line block ×9, first 2 shown]
	v_lshl_add_u64 v[44:45], v[44:45], 0, s[34:35]
	v_pk_add_f32 v[8:9], v[8:9], v[66:67]
	global_load_ushort v66, v[44:45], off
	v_lshl_add_u64 v[44:45], v[44:45], 0, s[34:35]
	global_load_ushort v71, v[44:45], off
	ds_bpermute_b32 v44, v31, v43
	ds_bpermute_b32 v45, v31, v42
	s_waitcnt vmcnt(11)
	v_lshlrev_b32_e32 v68, 16, v68
	s_waitcnt lgkmcnt(2)
	v_sub_f32_e32 v69, v68, v69
	global_load_ushort v68, v[46:47], off
	v_lshl_add_u64 v[46:47], v[46:47], 0, s[34:35]
	global_load_ushort v49, v[46:47], off
	v_lshl_add_u64 v[46:47], v[46:47], 0, s[34:35]
	;; [unrolled: 2-line block ×11, first 2 shown]
	s_waitcnt vmcnt(10)
	v_lshlrev_b32_e32 v68, 16, v68
	v_mul_f32_e32 v69, v69, v68
	v_mul_f32_e32 v69, v69, v70
	global_load_ushort v70, v[46:47], off
	ds_bpermute_b32 v47, v32, v43
	v_lshlrev_b32_e32 v46, 16, v48
	s_waitcnt lgkmcnt(2)
	v_sub_f32_e32 v46, v46, v44
	s_waitcnt vmcnt(10)
	v_lshlrev_b32_e32 v44, 16, v49
	ds_bpermute_b32 v48, v32, v42
	v_mul_f32_e32 v46, v46, v44
	ds_bpermute_b32 v49, v33, v43
	s_waitcnt lgkmcnt(3)
	v_mul_f32_e32 v45, v46, v45
	v_lshlrev_b32_e32 v46, 16, v50
	s_waitcnt lgkmcnt(2)
	v_sub_f32_e32 v47, v46, v47
	s_waitcnt vmcnt(9)
	v_lshlrev_b32_e32 v46, 16, v51
	ds_bpermute_b32 v50, v33, v42
	v_mul_f32_e32 v47, v47, v46
	ds_bpermute_b32 v51, v34, v43
	s_waitcnt lgkmcnt(3)
	v_mul_f32_e32 v47, v47, v48
	;; [unrolled: 10-line block ×6, first 2 shown]
	v_lshlrev_b32_e32 v56, 16, v60
	s_waitcnt lgkmcnt(2)
	v_sub_f32_e32 v57, v56, v57
	s_waitcnt vmcnt(4)
	v_lshlrev_b32_e32 v56, 16, v61
	ds_bpermute_b32 v60, v38, v42
	v_mul_f32_e32 v57, v57, v56
	ds_bpermute_b32 v61, v39, v43
	v_pk_add_f32 v[8:9], v[8:9], v[68:69]
	s_waitcnt lgkmcnt(3)
	v_mul_f32_e32 v57, v57, v58
	v_lshlrev_b32_e32 v58, 16, v62
	s_waitcnt lgkmcnt(2)
	v_sub_f32_e32 v59, v58, v59
	s_waitcnt vmcnt(3)
	v_lshlrev_b32_e32 v58, 16, v63
	ds_bpermute_b32 v62, v39, v42
	v_pk_add_f32 v[8:9], v[8:9], v[44:45]
	v_mul_f32_e32 v59, v59, v58
	ds_bpermute_b32 v63, v40, v43
	v_pk_add_f32 v[8:9], v[8:9], v[46:47]
	ds_bpermute_b32 v43, v41, v43
	s_waitcnt lgkmcnt(4)
	v_mul_f32_e32 v59, v59, v60
	v_lshlrev_b32_e32 v60, 16, v64
	v_pk_add_f32 v[8:9], v[8:9], v[48:49]
	s_waitcnt lgkmcnt(3)
	v_sub_f32_e32 v61, v60, v61
	s_waitcnt vmcnt(2)
	v_lshlrev_b32_e32 v60, 16, v65
	ds_bpermute_b32 v64, v40, v42
	v_pk_add_f32 v[8:9], v[8:9], v[50:51]
	ds_bpermute_b32 v42, v41, v42
	v_mul_f32_e32 v61, v61, v60
	v_pk_add_f32 v[8:9], v[8:9], v[52:53]
	s_waitcnt lgkmcnt(4)
	v_mul_f32_e32 v61, v61, v62
	v_lshlrev_b32_e32 v62, 16, v66
	v_pk_add_f32 v[8:9], v[8:9], v[54:55]
	v_lshlrev_b32_e32 v45, 16, v71
	s_waitcnt lgkmcnt(3)
	v_sub_f32_e32 v63, v62, v63
	s_waitcnt vmcnt(1)
	v_lshlrev_b32_e32 v62, 16, v67
	v_pk_add_f32 v[8:9], v[8:9], v[56:57]
	s_waitcnt lgkmcnt(2)
	v_sub_f32_e32 v43, v45, v43
	v_mul_f32_e32 v63, v63, v62
	s_waitcnt vmcnt(0)
	v_lshlrev_b32_e32 v44, 16, v70
	v_pk_add_f32 v[8:9], v[8:9], v[58:59]
	v_mul_f32_e32 v43, v43, v44
	s_waitcnt lgkmcnt(1)
	v_mul_f32_e32 v63, v63, v64
	v_pk_add_f32 v[8:9], v[8:9], v[60:61]
	s_waitcnt lgkmcnt(0)
	v_mul_f32_e32 v45, v43, v42
	v_mov_b64_e32 v[42:43], s[16:17]
	v_pk_add_f32 v[8:9], v[8:9], v[62:63]
	v_cmp_lt_i64_e32 vcc, s[6:7], v[42:43]
	v_pk_add_f32 v[8:9], v[8:9], v[44:45]
	s_cbranch_vccz .LBB106_10
.LBB106_7:                              ; =>This Inner Loop Header: Depth=1
	v_mov_b32_e32 v42, 0
	v_mov_b32_e32 v43, 0
	s_and_saveexec_b64 s[36:37], s[0:1]
	s_cbranch_execz .LBB106_6
; %bb.8:                                ;   in Loop: Header=BB106_7 Depth=1
	v_cmp_gt_i64_e32 vcc, s[16:17], v[2:3]
	v_mov_b32_e32 v43, 0
	v_mov_b32_e32 v42, 0
	s_and_saveexec_b64 s[38:39], vcc
	s_cbranch_execz .LBB106_5
; %bb.9:                                ;   in Loop: Header=BB106_7 Depth=1
	v_lshl_add_u64 v[46:47], s[12:13], 0, v[4:5]
	v_lshl_add_u64 v[44:45], s[14:15], 0, v[4:5]
	global_load_dword v43, v[46:47], off
	global_load_dword v42, v[44:45], off
	s_branch .LBB106_5
.LBB106_10:
	v_mov_b32_e32 v2, v1
.LBB106_11:
	s_load_dword s5, s[24:25], 0xc
	s_mov_b32 s3, 0
	v_mov_b32_e32 v1, 0
	s_lshl_b64 s[0:1], s[2:3], 5
	v_lshl_add_u64 v[4:5], s[0:1], 0, v[0:1]
	s_waitcnt lgkmcnt(0)
	s_lshr_b32 s0, s5, 16
	v_mov_b32_e32 v3, v1
	v_mov_b32_e32 v0, s4
	v_mad_u64_u32 v[0:1], s[0:1], s0, v0, v[2:3]
	s_cmp_eq_u64 s[20:21], 0
	v_mul_lo_u32 v1, v1, s18
	v_mul_lo_u32 v2, v0, s19
	s_cbranch_scc1 .LBB106_13
; %bb.12:
	v_bfe_u32 v3, v9, 16, 1
	s_movk_i32 s0, 0x7fff
	v_add3_u32 v3, v9, v3, s0
	v_cmp_o_f32_e32 vcc, v9, v9
	v_mov_b32_e32 v6, 0x7fc0
	s_nop 0
	v_cndmask_b32_sdwa v3, v6, v3, vcc dst_sel:DWORD dst_unused:UNUSED_PAD src0_sel:DWORD src1_sel:WORD_1
	v_mad_u64_u32 v[6:7], s[0:1], v0, s18, 0
	v_add3_u32 v7, v7, v2, v1
	v_lshl_add_u64 v[6:7], v[6:7], 1, s[20:21]
	v_lshl_add_u64 v[6:7], v[4:5], 1, v[6:7]
	global_store_short v[6:7], v3, off
.LBB106_13:
	s_cmp_eq_u64 s[22:23], 0
	s_cbranch_scc1 .LBB106_15
; %bb.14:
	v_bfe_u32 v3, v8, 16, 1
	s_movk_i32 s0, 0x7fff
	v_add3_u32 v3, v8, v3, s0
	v_cmp_o_f32_e32 vcc, v8, v8
	v_mov_b32_e32 v6, 0x7fc0
	s_nop 0
	v_cndmask_b32_sdwa v3, v6, v3, vcc dst_sel:DWORD dst_unused:UNUSED_PAD src0_sel:DWORD src1_sel:WORD_1
	v_mad_u64_u32 v[6:7], s[0:1], v0, s18, 0
	v_add3_u32 v7, v7, v2, v1
	v_lshl_add_u64 v[0:1], v[6:7], 1, s[22:23]
	v_lshl_add_u64 v[0:1], v[4:5], 1, v[0:1]
	global_store_short v[0:1], v3, off
.LBB106_15:
	s_endpgm
	.section	.rodata,"a",@progbits
	.p2align	6, 0x0
	.amdhsa_kernel _ZN2at6native12_GLOBAL__N_135GammaBetaBackwardCUDAKernelTemplateIN3c108BFloat16EfLj32ELj1ELj32ELb1ELb1ELb0EEEvllPKT_S7_PKT0_SA_PS5_SB_
		.amdhsa_group_segment_fixed_size 0
		.amdhsa_private_segment_fixed_size 0
		.amdhsa_kernarg_size 320
		.amdhsa_user_sgpr_count 2
		.amdhsa_user_sgpr_dispatch_ptr 0
		.amdhsa_user_sgpr_queue_ptr 0
		.amdhsa_user_sgpr_kernarg_segment_ptr 1
		.amdhsa_user_sgpr_dispatch_id 0
		.amdhsa_user_sgpr_kernarg_preload_length 0
		.amdhsa_user_sgpr_kernarg_preload_offset 0
		.amdhsa_user_sgpr_private_segment_size 0
		.amdhsa_uses_dynamic_stack 0
		.amdhsa_enable_private_segment 0
		.amdhsa_system_sgpr_workgroup_id_x 1
		.amdhsa_system_sgpr_workgroup_id_y 1
		.amdhsa_system_sgpr_workgroup_id_z 0
		.amdhsa_system_sgpr_workgroup_info 0
		.amdhsa_system_vgpr_workitem_id 1
		.amdhsa_next_free_vgpr 84
		.amdhsa_next_free_sgpr 40
		.amdhsa_accum_offset 84
		.amdhsa_reserve_vcc 1
		.amdhsa_float_round_mode_32 0
		.amdhsa_float_round_mode_16_64 0
		.amdhsa_float_denorm_mode_32 3
		.amdhsa_float_denorm_mode_16_64 3
		.amdhsa_dx10_clamp 1
		.amdhsa_ieee_mode 1
		.amdhsa_fp16_overflow 0
		.amdhsa_tg_split 0
		.amdhsa_exception_fp_ieee_invalid_op 0
		.amdhsa_exception_fp_denorm_src 0
		.amdhsa_exception_fp_ieee_div_zero 0
		.amdhsa_exception_fp_ieee_overflow 0
		.amdhsa_exception_fp_ieee_underflow 0
		.amdhsa_exception_fp_ieee_inexact 0
		.amdhsa_exception_int_div_zero 0
	.end_amdhsa_kernel
	.section	.text._ZN2at6native12_GLOBAL__N_135GammaBetaBackwardCUDAKernelTemplateIN3c108BFloat16EfLj32ELj1ELj32ELb1ELb1ELb0EEEvllPKT_S7_PKT0_SA_PS5_SB_,"axG",@progbits,_ZN2at6native12_GLOBAL__N_135GammaBetaBackwardCUDAKernelTemplateIN3c108BFloat16EfLj32ELj1ELj32ELb1ELb1ELb0EEEvllPKT_S7_PKT0_SA_PS5_SB_,comdat
.Lfunc_end106:
	.size	_ZN2at6native12_GLOBAL__N_135GammaBetaBackwardCUDAKernelTemplateIN3c108BFloat16EfLj32ELj1ELj32ELb1ELb1ELb0EEEvllPKT_S7_PKT0_SA_PS5_SB_, .Lfunc_end106-_ZN2at6native12_GLOBAL__N_135GammaBetaBackwardCUDAKernelTemplateIN3c108BFloat16EfLj32ELj1ELj32ELb1ELb1ELb0EEEvllPKT_S7_PKT0_SA_PS5_SB_
                                        ; -- End function
	.set _ZN2at6native12_GLOBAL__N_135GammaBetaBackwardCUDAKernelTemplateIN3c108BFloat16EfLj32ELj1ELj32ELb1ELb1ELb0EEEvllPKT_S7_PKT0_SA_PS5_SB_.num_vgpr, 84
	.set _ZN2at6native12_GLOBAL__N_135GammaBetaBackwardCUDAKernelTemplateIN3c108BFloat16EfLj32ELj1ELj32ELb1ELb1ELb0EEEvllPKT_S7_PKT0_SA_PS5_SB_.num_agpr, 0
	.set _ZN2at6native12_GLOBAL__N_135GammaBetaBackwardCUDAKernelTemplateIN3c108BFloat16EfLj32ELj1ELj32ELb1ELb1ELb0EEEvllPKT_S7_PKT0_SA_PS5_SB_.numbered_sgpr, 40
	.set _ZN2at6native12_GLOBAL__N_135GammaBetaBackwardCUDAKernelTemplateIN3c108BFloat16EfLj32ELj1ELj32ELb1ELb1ELb0EEEvllPKT_S7_PKT0_SA_PS5_SB_.num_named_barrier, 0
	.set _ZN2at6native12_GLOBAL__N_135GammaBetaBackwardCUDAKernelTemplateIN3c108BFloat16EfLj32ELj1ELj32ELb1ELb1ELb0EEEvllPKT_S7_PKT0_SA_PS5_SB_.private_seg_size, 0
	.set _ZN2at6native12_GLOBAL__N_135GammaBetaBackwardCUDAKernelTemplateIN3c108BFloat16EfLj32ELj1ELj32ELb1ELb1ELb0EEEvllPKT_S7_PKT0_SA_PS5_SB_.uses_vcc, 1
	.set _ZN2at6native12_GLOBAL__N_135GammaBetaBackwardCUDAKernelTemplateIN3c108BFloat16EfLj32ELj1ELj32ELb1ELb1ELb0EEEvllPKT_S7_PKT0_SA_PS5_SB_.uses_flat_scratch, 0
	.set _ZN2at6native12_GLOBAL__N_135GammaBetaBackwardCUDAKernelTemplateIN3c108BFloat16EfLj32ELj1ELj32ELb1ELb1ELb0EEEvllPKT_S7_PKT0_SA_PS5_SB_.has_dyn_sized_stack, 0
	.set _ZN2at6native12_GLOBAL__N_135GammaBetaBackwardCUDAKernelTemplateIN3c108BFloat16EfLj32ELj1ELj32ELb1ELb1ELb0EEEvllPKT_S7_PKT0_SA_PS5_SB_.has_recursion, 0
	.set _ZN2at6native12_GLOBAL__N_135GammaBetaBackwardCUDAKernelTemplateIN3c108BFloat16EfLj32ELj1ELj32ELb1ELb1ELb0EEEvllPKT_S7_PKT0_SA_PS5_SB_.has_indirect_call, 0
	.section	.AMDGPU.csdata,"",@progbits
; Kernel info:
; codeLenInByte = 3704
; TotalNumSgprs: 46
; NumVgprs: 84
; NumAgprs: 0
; TotalNumVgprs: 84
; ScratchSize: 0
; MemoryBound: 0
; FloatMode: 240
; IeeeMode: 1
; LDSByteSize: 0 bytes/workgroup (compile time only)
; SGPRBlocks: 5
; VGPRBlocks: 10
; NumSGPRsForWavesPerEU: 46
; NumVGPRsForWavesPerEU: 84
; AccumOffset: 84
; Occupancy: 5
; WaveLimiterHint : 0
; COMPUTE_PGM_RSRC2:SCRATCH_EN: 0
; COMPUTE_PGM_RSRC2:USER_SGPR: 2
; COMPUTE_PGM_RSRC2:TRAP_HANDLER: 0
; COMPUTE_PGM_RSRC2:TGID_X_EN: 1
; COMPUTE_PGM_RSRC2:TGID_Y_EN: 1
; COMPUTE_PGM_RSRC2:TGID_Z_EN: 0
; COMPUTE_PGM_RSRC2:TIDIG_COMP_CNT: 1
; COMPUTE_PGM_RSRC3_GFX90A:ACCUM_OFFSET: 20
; COMPUTE_PGM_RSRC3_GFX90A:TG_SPLIT: 0
	.section	.text._ZN2at6native12_GLOBAL__N_135GammaBetaBackwardCUDAKernelTemplateIN3c108BFloat16EfLj32ELj1ELj32ELb1ELb0ELb0EEEvllPKT_S7_PKT0_SA_PS5_SB_,"axG",@progbits,_ZN2at6native12_GLOBAL__N_135GammaBetaBackwardCUDAKernelTemplateIN3c108BFloat16EfLj32ELj1ELj32ELb1ELb0ELb0EEEvllPKT_S7_PKT0_SA_PS5_SB_,comdat
	.globl	_ZN2at6native12_GLOBAL__N_135GammaBetaBackwardCUDAKernelTemplateIN3c108BFloat16EfLj32ELj1ELj32ELb1ELb0ELb0EEEvllPKT_S7_PKT0_SA_PS5_SB_ ; -- Begin function _ZN2at6native12_GLOBAL__N_135GammaBetaBackwardCUDAKernelTemplateIN3c108BFloat16EfLj32ELj1ELj32ELb1ELb0ELb0EEEvllPKT_S7_PKT0_SA_PS5_SB_
	.p2align	8
	.type	_ZN2at6native12_GLOBAL__N_135GammaBetaBackwardCUDAKernelTemplateIN3c108BFloat16EfLj32ELj1ELj32ELb1ELb0ELb0EEEvllPKT_S7_PKT0_SA_PS5_SB_,@function
_ZN2at6native12_GLOBAL__N_135GammaBetaBackwardCUDAKernelTemplateIN3c108BFloat16EfLj32ELj1ELj32ELb1ELb0ELb0EEEvllPKT_S7_PKT0_SA_PS5_SB_: ; @_ZN2at6native12_GLOBAL__N_135GammaBetaBackwardCUDAKernelTemplateIN3c108BFloat16EfLj32ELj1ELj32ELb1ELb0ELb0EEEvllPKT_S7_PKT0_SA_PS5_SB_
; %bb.0:
	s_load_dwordx8 s[12:19], s[0:1], 0x0
	s_load_dwordx4 s[20:23], s[0:1], 0x20
	s_mov_b32 s8, s3
	s_lshl_b32 s3, s2, 5
	s_or_b32 s4, s3, 31
	s_mov_b32 s11, 0
	v_mov_b32_e32 v2, s4
	v_mov_b32_e32 v3, 0
	s_lshl_b32 s10, s8, 5
	s_waitcnt lgkmcnt(0)
	v_cmp_le_i64_e32 vcc, s[14:15], v[2:3]
	v_mov_b64_e32 v[2:3], s[10:11]
	v_cmp_gt_i64_e64 s[4:5], s[12:13], v[2:3]
	s_nop 1
	v_cndmask_b32_e64 v1, 0, 1, s[4:5]
	v_cmp_ne_u32_e64 s[4:5], 1, v1
	s_cbranch_vccz .LBB107_144
; %bb.1:
	s_and_b64 vcc, exec, s[4:5]
	s_cbranch_vccnz .LBB107_145
; %bb.2:
	v_and_b32_e32 v172, 0x3ff, v0
	v_mov_b32_e32 v2, 0
	v_bfe_u32 v173, v0, 10, 10
	v_add_u32_e32 v4, s3, v172
	v_mov_b32_e32 v5, v2
	v_lshlrev_b32_e32 v222, 5, v173
	v_mov_b32_e32 v223, v2
	v_cmp_gt_i64_e64 s[6:7], s[14:15], v[4:5]
	v_lshlrev_b64 v[36:37], 1, v[4:5]
	v_lshl_add_u64 v[4:5], v[222:223], 0, s[10:11]
	v_mul_lo_u32 v3, s15, v4
	v_mul_lo_u32 v8, s14, v5
	v_mad_u64_u32 v[6:7], s[28:29], s14, v4, 0
	v_add3_u32 v7, v7, v8, v3
	v_lshlrev_b64 v[6:7], 1, v[6:7]
	v_lshl_add_u64 v[38:39], s[16:17], 0, v[6:7]
	v_lshl_add_u64 v[40:41], s[18:19], 0, v[6:7]
	v_lshl_add_u64 v[6:7], v[4:5], 0, 31
	v_mul_lo_u32 v9, s15, v6
	v_mul_lo_u32 v10, s14, v7
	v_mad_u64_u32 v[6:7], s[34:35], s14, v6, 0
	v_add3_u32 v7, v7, v10, v9
	v_lshlrev_b64 v[6:7], 1, v[6:7]
	v_lshl_add_u64 v[42:43], s[16:17], 0, v[6:7]
	v_lshl_add_u64 v[44:45], s[18:19], 0, v[6:7]
	;; [unrolled: 8-line block ×30, first 2 shown]
	v_lshl_add_u64 v[6:7], v[4:5], 0, 2
	s_load_dword s9, s[0:1], 0x44
	v_mul_lo_u32 v5, s15, v6
	v_mul_lo_u32 v9, s14, v7
	v_mad_u64_u32 v[6:7], s[34:35], s14, v6, 0
	v_add3_u32 v7, v7, v9, v5
	v_lshlrev_b64 v[6:7], 1, v[6:7]
	v_lshl_add_u64 v[160:161], s[16:17], 0, v[6:7]
	v_lshl_add_u64 v[162:163], s[18:19], 0, v[6:7]
	v_mov_b64_e32 v[6:7], s[14:15]
	s_add_u32 s24, s0, 64
	v_mad_u64_u32 v[4:5], s[34:35], s14, v4, v[6:7]
	s_addc_u32 s25, s1, 0
	s_waitcnt lgkmcnt(0)
	s_lshl_b32 s26, s9, 5
	v_add3_u32 v5, v3, v5, v8
	v_mbcnt_lo_u32_b32 v3, -1, 0
	s_mul_i32 s9, s15, s26
	s_mul_hi_u32 s28, s14, s26
	v_mbcnt_hi_u32_b32 v3, -1, v3
	s_add_i32 s29, s28, s9
	s_mul_i32 s28, s14, s26
	v_lshlrev_b64 v[4:5], 1, v[4:5]
	v_lshlrev_b32_e32 v3, 2, v3
	s_mov_b32 s27, s11
	s_lshl_b64 s[28:29], s[28:29], 1
	s_mov_b64 s[30:31], 31
	v_lshl_add_u64 v[164:165], s[16:17], 0, v[4:5]
	v_lshl_add_u64 v[166:167], s[18:19], 0, v[4:5]
	v_and_b32_e32 v174, 0x100, v3
	v_mov_b32_e32 v168, 0
	v_mov_b32_e32 v169, v2
	s_mov_b64 s[34:35], s[10:11]
	s_branch .LBB107_5
.LBB107_3:                              ;   in Loop: Header=BB107_5 Depth=1
	s_or_b64 exec, exec, s[36:37]
	s_waitcnt vmcnt(1)
	ds_bpermute_b32 v204, v174, v171
	s_waitcnt vmcnt(0)
	ds_bpermute_b32 v205, v174, v170
	ds_bpermute_b32 v207, v174, v171 offset:4
	ds_bpermute_b32 v206, v174, v170 offset:4
	;; [unrolled: 1-line block ×3, first 2 shown]
	s_waitcnt lgkmcnt(4)
	v_sub_f32_e32 v175, v175, v204
	v_mul_f32_e32 v175, v4, v175
	s_waitcnt lgkmcnt(3)
	v_mul_f32_e32 v205, v175, v205
	s_waitcnt lgkmcnt(2)
	v_sub_f32_e32 v102, v102, v207
	ds_bpermute_b32 v175, v174, v170 offset:8
	v_mul_f32_e32 v102, v5, v102
	s_waitcnt lgkmcnt(2)
	v_mul_f32_e32 v207, v102, v206
	ds_bpermute_b32 v102, v174, v171 offset:12
	s_waitcnt lgkmcnt(2)
	v_sub_f32_e32 v3, v3, v208
	v_mul_f32_e32 v3, v6, v3
	s_waitcnt lgkmcnt(1)
	v_mul_f32_e32 v209, v3, v175
	ds_bpermute_b32 v3, v174, v170 offset:12
	ds_bpermute_b32 v175, v174, v171 offset:16
	s_waitcnt lgkmcnt(2)
	v_sub_f32_e32 v102, v177, v102
	ds_bpermute_b32 v177, v174, v170 offset:16
	v_mul_f32_e32 v102, v7, v102
	s_waitcnt lgkmcnt(2)
	v_mul_f32_e32 v211, v102, v3
	s_waitcnt lgkmcnt(1)
	v_sub_f32_e32 v3, v103, v175
	ds_bpermute_b32 v102, v174, v171 offset:20
	v_mul_f32_e32 v3, v8, v3
	s_waitcnt lgkmcnt(1)
	v_mul_f32_e32 v103, v3, v177
	ds_bpermute_b32 v3, v174, v170 offset:20
	ds_bpermute_b32 v175, v174, v171 offset:24
	ds_bpermute_b32 v177, v174, v170 offset:24
	s_waitcnt lgkmcnt(3)
	v_sub_f32_e32 v102, v179, v102
	v_mul_f32_e32 v102, v9, v102
	s_waitcnt lgkmcnt(2)
	v_mul_f32_e32 v179, v102, v3
	s_waitcnt lgkmcnt(1)
	v_sub_f32_e32 v3, v178, v175
	ds_bpermute_b32 v102, v174, v171 offset:28
	v_mul_f32_e32 v3, v10, v3
	s_waitcnt lgkmcnt(1)
	v_mul_f32_e32 v213, v3, v177
	ds_bpermute_b32 v3, v174, v170 offset:28
	ds_bpermute_b32 v175, v174, v171 offset:32
	ds_bpermute_b32 v177, v174, v170 offset:32
	s_waitcnt lgkmcnt(3)
	v_sub_f32_e32 v102, v181, v102
	;; [unrolled: 14-line block ×3, first 2 shown]
	v_mul_f32_e32 v102, v13, v102
	s_waitcnt lgkmcnt(2)
	v_mul_f32_e32 v217, v102, v3
	s_waitcnt lgkmcnt(1)
	v_sub_f32_e32 v3, v183, v175
	v_mul_f32_e32 v3, v14, v3
	s_waitcnt lgkmcnt(0)
	v_mul_f32_e32 v219, v3, v177
	ds_bpermute_b32 v3, v174, v171 offset:44
	v_mov_b32_e32 v208, v6
	ds_bpermute_b32 v6, v174, v170 offset:44
	v_mov_b32_e32 v102, v8
	ds_bpermute_b32 v8, v174, v171 offset:48
	s_waitcnt lgkmcnt(2)
	v_sub_f32_e32 v3, v184, v3
	v_mul_f32_e32 v3, v15, v3
	v_mov_b32_e32 v210, v7
	s_waitcnt lgkmcnt(1)
	v_mul_f32_e32 v7, v3, v6
	ds_bpermute_b32 v3, v174, v170 offset:48
	ds_bpermute_b32 v6, v174, v171 offset:52
	v_mov_b32_e32 v212, v10
	ds_bpermute_b32 v10, v174, v170 offset:52
	s_waitcnt lgkmcnt(3)
	v_sub_f32_e32 v8, v182, v8
	v_mul_f32_e32 v8, v16, v8
	v_mov_b32_e32 v178, v9
	s_waitcnt lgkmcnt(2)
	v_mul_f32_e32 v9, v8, v3
	s_waitcnt lgkmcnt(1)
	v_sub_f32_e32 v3, v187, v6
	ds_bpermute_b32 v6, v174, v171 offset:56
	v_mul_f32_e32 v3, v17, v3
	v_mov_b32_e32 v180, v11
	s_waitcnt lgkmcnt(1)
	v_mul_f32_e32 v11, v3, v10
	ds_bpermute_b32 v3, v174, v170 offset:56
	ds_bpermute_b32 v8, v174, v171 offset:60
	v_mov_b32_e32 v204, v4
	ds_bpermute_b32 v10, v174, v170 offset:60
	v_pk_add_f32 v[168:169], v[168:169], v[204:205]
	v_mov_b32_e32 v206, v5
	s_waitcnt lgkmcnt(3)
	v_sub_f32_e32 v6, v186, v6
	v_pk_add_f32 v[4:5], v[206:207], v[168:169]
	v_mul_f32_e32 v6, v18, v6
	v_pk_add_f32 v[4:5], v[208:209], v[4:5]
	v_mov_b32_e32 v216, v13
	s_waitcnt lgkmcnt(2)
	v_mul_f32_e32 v13, v6, v3
	s_waitcnt lgkmcnt(1)
	v_sub_f32_e32 v3, v189, v8
	ds_bpermute_b32 v6, v174, v171 offset:64
	v_pk_add_f32 v[4:5], v[210:211], v[4:5]
	v_mul_f32_e32 v3, v19, v3
	v_pk_add_f32 v[4:5], v[102:103], v[4:5]
	s_waitcnt lgkmcnt(1)
	v_mul_f32_e32 v103, v3, v10
	ds_bpermute_b32 v3, v174, v170 offset:64
	ds_bpermute_b32 v8, v174, v171 offset:68
	;; [unrolled: 1-line block ×3, first 2 shown]
	s_waitcnt lgkmcnt(3)
	v_sub_f32_e32 v6, v188, v6
	v_mul_f32_e32 v6, v20, v6
	s_waitcnt lgkmcnt(2)
	v_mul_f32_e32 v169, v6, v3
	s_waitcnt lgkmcnt(1)
	v_sub_f32_e32 v3, v191, v8
	ds_bpermute_b32 v6, v174, v171 offset:72
	v_mul_f32_e32 v3, v21, v3
	v_pk_add_f32 v[4:5], v[178:179], v[4:5]
	s_waitcnt lgkmcnt(1)
	v_mul_f32_e32 v179, v3, v10
	ds_bpermute_b32 v3, v174, v170 offset:72
	ds_bpermute_b32 v8, v174, v171 offset:76
	;; [unrolled: 1-line block ×3, first 2 shown]
	s_waitcnt lgkmcnt(3)
	v_sub_f32_e32 v6, v190, v6
	v_pk_add_f32 v[4:5], v[212:213], v[4:5]
	v_mul_f32_e32 v6, v22, v6
	v_pk_add_f32 v[4:5], v[180:181], v[4:5]
	s_waitcnt lgkmcnt(2)
	v_mul_f32_e32 v181, v6, v3
	s_waitcnt lgkmcnt(1)
	v_sub_f32_e32 v3, v194, v8
	ds_bpermute_b32 v6, v174, v171 offset:80
	v_mul_f32_e32 v3, v23, v3
	s_waitcnt lgkmcnt(1)
	v_mul_f32_e32 v183, v3, v10
	ds_bpermute_b32 v3, v174, v170 offset:80
	ds_bpermute_b32 v8, v174, v171 offset:84
	;; [unrolled: 1-line block ×3, first 2 shown]
	s_waitcnt lgkmcnt(3)
	v_sub_f32_e32 v6, v193, v6
	v_mov_b32_e32 v214, v12
	v_mul_f32_e32 v6, v24, v6
	v_pk_add_f32 v[4:5], v[214:215], v[4:5]
	s_waitcnt lgkmcnt(2)
	v_mul_f32_e32 v185, v6, v3
	s_waitcnt lgkmcnt(1)
	v_sub_f32_e32 v3, v197, v8
	v_pk_add_f32 v[4:5], v[216:217], v[4:5]
	v_mov_b32_e32 v218, v14
	v_mul_f32_e32 v3, v25, v3
	v_pk_add_f32 v[4:5], v[218:219], v[4:5]
	s_waitcnt lgkmcnt(0)
	v_mul_f32_e32 v187, v3, v10
	v_mov_b32_e32 v6, v15
	ds_bpermute_b32 v3, v174, v171 offset:88
	v_pk_add_f32 v[4:5], v[6:7], v[4:5]
	v_mov_b32_e32 v8, v16
	v_pk_add_f32 v[4:5], v[8:9], v[4:5]
	ds_bpermute_b32 v6, v174, v170 offset:88
	ds_bpermute_b32 v8, v174, v171 offset:92
	ds_bpermute_b32 v9, v174, v170 offset:92
	s_waitcnt lgkmcnt(3)
	v_sub_f32_e32 v3, v192, v3
	v_mul_f32_e32 v3, v26, v3
	s_waitcnt lgkmcnt(2)
	v_mul_f32_e32 v7, v3, v6
	s_waitcnt lgkmcnt(1)
	v_sub_f32_e32 v3, v196, v8
	ds_bpermute_b32 v6, v174, v171 offset:96
	v_mul_f32_e32 v3, v27, v3
	s_waitcnt lgkmcnt(1)
	v_mul_f32_e32 v9, v3, v9
	ds_bpermute_b32 v3, v174, v170 offset:96
	ds_bpermute_b32 v8, v174, v171 offset:100
	v_mov_b32_e32 v10, v17
	v_pk_add_f32 v[4:5], v[10:11], v[4:5]
	ds_bpermute_b32 v10, v174, v170 offset:100
	s_waitcnt lgkmcnt(3)
	v_sub_f32_e32 v6, v195, v6
	v_mul_f32_e32 v6, v28, v6
	s_waitcnt lgkmcnt(2)
	v_mul_f32_e32 v11, v6, v3
	s_waitcnt lgkmcnt(1)
	v_sub_f32_e32 v3, v199, v8
	ds_bpermute_b32 v6, v174, v171 offset:104
	v_mov_b32_e32 v12, v18
	v_mul_f32_e32 v3, v29, v3
	v_pk_add_f32 v[4:5], v[12:13], v[4:5]
	s_waitcnt lgkmcnt(1)
	v_mul_f32_e32 v13, v3, v10
	ds_bpermute_b32 v3, v174, v170 offset:104
	ds_bpermute_b32 v8, v174, v171 offset:108
	;; [unrolled: 1-line block ×3, first 2 shown]
	s_waitcnt lgkmcnt(3)
	v_sub_f32_e32 v6, v198, v6
	v_mul_f32_e32 v6, v30, v6
	v_mov_b32_e32 v102, v19
	s_waitcnt lgkmcnt(2)
	v_mul_f32_e32 v15, v6, v3
	s_waitcnt lgkmcnt(1)
	v_sub_f32_e32 v3, v202, v8
	ds_bpermute_b32 v6, v174, v171 offset:112
	v_pk_add_f32 v[4:5], v[102:103], v[4:5]
	v_mov_b32_e32 v168, v20
	v_mul_f32_e32 v3, v31, v3
	v_pk_add_f32 v[4:5], v[168:169], v[4:5]
	v_mov_b32_e32 v178, v21
	s_waitcnt lgkmcnt(1)
	v_mul_f32_e32 v17, v3, v10
	ds_bpermute_b32 v3, v174, v170 offset:112
	ds_bpermute_b32 v8, v174, v171 offset:116
	v_pk_add_f32 v[4:5], v[178:179], v[4:5]
	v_mov_b32_e32 v180, v22
	v_pk_add_f32 v[4:5], v[180:181], v[4:5]
	v_mov_b32_e32 v182, v23
	ds_bpermute_b32 v10, v174, v170 offset:116
	v_pk_add_f32 v[4:5], v[182:183], v[4:5]
	v_mov_b32_e32 v184, v24
	s_waitcnt lgkmcnt(3)
	v_sub_f32_e32 v6, v200, v6
	v_pk_add_f32 v[4:5], v[184:185], v[4:5]
	v_mov_b32_e32 v186, v25
	v_mul_f32_e32 v6, v32, v6
	v_pk_add_f32 v[4:5], v[186:187], v[4:5]
	s_waitcnt lgkmcnt(2)
	v_mul_f32_e32 v19, v6, v3
	s_waitcnt lgkmcnt(1)
	v_sub_f32_e32 v3, v203, v8
	v_mov_b32_e32 v6, v26
	v_mul_f32_e32 v3, v33, v3
	v_pk_add_f32 v[4:5], v[6:7], v[4:5]
	v_mov_b32_e32 v8, v27
	s_waitcnt lgkmcnt(0)
	v_mul_f32_e32 v21, v3, v10
	v_pk_add_f32 v[4:5], v[8:9], v[4:5]
	v_mov_b32_e32 v10, v28
	v_pk_add_f32 v[4:5], v[10:11], v[4:5]
	v_mov_b32_e32 v12, v29
	;; [unrolled: 2-line block ×4, first 2 shown]
	ds_bpermute_b32 v3, v174, v171 offset:120
	v_pk_add_f32 v[4:5], v[16:17], v[4:5]
	v_mov_b32_e32 v18, v32
	v_pk_add_f32 v[4:5], v[18:19], v[4:5]
	v_mov_b32_e32 v20, v33
	v_pk_add_f32 v[6:7], v[20:21], v[4:5]
	ds_bpermute_b32 v5, v174, v170 offset:120
	s_waitcnt lgkmcnt(1)
	v_sub_f32_e32 v8, v201, v3
	ds_bpermute_b32 v3, v174, v170 offset:124
	ds_bpermute_b32 v4, v174, v171 offset:124
	v_mul_f32_e32 v8, v34, v8
	s_waitcnt lgkmcnt(2)
	v_mul_f32_e32 v9, v8, v5
	v_mov_b32_e32 v8, v34
	v_pk_add_f32 v[170:171], v[8:9], v[6:7]
.LBB107_4:                              ;   in Loop: Header=BB107_5 Depth=1
	s_waitcnt lgkmcnt(0)
	v_sub_f32_e32 v4, v176, v4
	v_mul_f32_e32 v4, v35, v4
	v_mul_f32_e32 v5, v4, v3
	v_mov_b32_e32 v4, v35
	s_add_u32 s34, s34, s26
	v_pk_add_f32 v[168:169], v[170:171], v[4:5]
	s_addc_u32 s35, s35, 0
	v_mov_b64_e32 v[4:5], s[12:13]
	s_add_u32 s30, s30, s26
	v_cmp_lt_i64_e32 vcc, s[34:35], v[4:5]
	v_lshl_add_u64 v[38:39], v[38:39], 0, s[28:29]
	v_lshl_add_u64 v[40:41], v[40:41], 0, s[28:29]
	;; [unrolled: 1-line block ×65, first 2 shown]
	s_addc_u32 s31, 0, s31
	s_cbranch_vccz .LBB107_146
.LBB107_5:                              ; =>This Inner Loop Header: Depth=1
	s_add_u32 s36, s10, s30
	s_addc_u32 s37, 0, s31
	v_mov_b64_e32 v[4:5], s[12:13]
	v_cmp_ge_i64_e32 vcc, s[36:37], v[4:5]
	v_lshl_add_u64 v[102:103], s[10:11], 0, v[222:223]
	s_mov_b64 s[36:37], -1
	s_and_b64 vcc, exec, vcc
                                        ; implicit-def: $vgpr4_vgpr5_vgpr6_vgpr7_vgpr8_vgpr9_vgpr10_vgpr11_vgpr12_vgpr13_vgpr14_vgpr15_vgpr16_vgpr17_vgpr18_vgpr19_vgpr20_vgpr21_vgpr22_vgpr23_vgpr24_vgpr25_vgpr26_vgpr27_vgpr28_vgpr29_vgpr30_vgpr31_vgpr32_vgpr33_vgpr34_vgpr35
                                        ; implicit-def: $vgpr170_vgpr171
                                        ; implicit-def: $vgpr3
                                        ; implicit-def: $vgpr176
                                        ; implicit-def: $vgpr4
	s_cbranch_vccz .LBB107_75
; %bb.6:                                ;   in Loop: Header=BB107_5 Depth=1
	s_load_dword s9, s[24:25], 0xc
	v_mov_b32_e32 v175, 0
	v_mov_b32_e32 v170, 0
	;; [unrolled: 1-line block ×3, first 2 shown]
	s_waitcnt lgkmcnt(0)
	s_and_b32 s9, s9, 0xffff
	v_mad_u32_u24 v3, v173, s9, v172
	v_and_b32_e32 v4, 63, v3
	v_cmp_gt_u32_e32 vcc, 32, v4
	s_and_saveexec_b64 s[36:37], vcc
	s_cbranch_execz .LBB107_10
; %bb.7:                                ;   in Loop: Header=BB107_5 Depth=1
	v_mov_b32_e32 v5, v2
	v_lshl_add_u64 v[4:5], v[102:103], 0, v[4:5]
	v_cmp_gt_i64_e32 vcc, s[12:13], v[4:5]
	v_mov_b32_e32 v171, 0
	v_mov_b32_e32 v170, 0
	s_and_saveexec_b64 s[38:39], vcc
	s_cbranch_execz .LBB107_9
; %bb.8:                                ;   in Loop: Header=BB107_5 Depth=1
	v_lshlrev_b64 v[4:5], 2, v[4:5]
	v_lshl_add_u64 v[6:7], s[22:23], 0, v[4:5]
	v_lshl_add_u64 v[4:5], s[20:21], 0, v[4:5]
	global_load_dword v171, v[4:5], off
	global_load_dword v170, v[6:7], off
.LBB107_9:                              ;   in Loop: Header=BB107_5 Depth=1
	s_or_b64 exec, exec, s[38:39]
.LBB107_10:                             ;   in Loop: Header=BB107_5 Depth=1
	s_or_b64 exec, exec, s[36:37]
	v_mov_b32_e32 v4, v2
	v_mov_b32_e32 v5, v2
	;; [unrolled: 1-line block ×30, first 2 shown]
	v_cmp_gt_i64_e32 vcc, s[12:13], v[102:103]
	v_mov_b32_e32 v3, v2
	v_mov_b64_e32 v[34:35], v[32:33]
	s_and_b64 s[38:39], s[6:7], vcc
	v_mov_b64_e32 v[32:33], v[30:31]
	v_mov_b64_e32 v[30:31], v[28:29]
	;; [unrolled: 1-line block ×15, first 2 shown]
	s_and_saveexec_b64 s[36:37], s[38:39]
	s_cbranch_execz .LBB107_12
; %bb.11:                               ;   in Loop: Header=BB107_5 Depth=1
	v_lshl_add_u64 v[4:5], v[38:39], 0, v[36:37]
	global_load_ushort v3, v[4:5], off
	v_lshl_add_u64 v[4:5], v[40:41], 0, v[36:37]
	global_load_ushort v175, v[4:5], off
	v_mov_b32_e32 v5, v2
	v_mov_b32_e32 v6, v2
	;; [unrolled: 1-line block ×31, first 2 shown]
	s_waitcnt vmcnt(1)
	v_lshlrev_b32_e32 v4, 16, v3
	s_waitcnt vmcnt(0)
	v_lshlrev_b32_e32 v175, 16, v175
.LBB107_12:                             ;   in Loop: Header=BB107_5 Depth=1
	s_or_b64 exec, exec, s[36:37]
	v_lshl_add_u64 v[176:177], v[102:103], 0, 1
	v_cmp_gt_i64_e32 vcc, s[12:13], v[176:177]
	s_and_b64 s[38:39], s[6:7], vcc
	v_mov_b32_e32 v3, 0
	v_mov_b32_e32 v177, 0
	s_and_saveexec_b64 s[36:37], s[38:39]
	s_cbranch_execz .LBB107_14
; %bb.13:                               ;   in Loop: Header=BB107_5 Depth=1
	v_lshl_add_u64 v[176:177], v[164:165], 0, v[36:37]
	global_load_ushort v5, v[176:177], off
	v_lshl_add_u64 v[176:177], v[166:167], 0, v[36:37]
	global_load_ushort v176, v[176:177], off
	s_waitcnt vmcnt(1)
	v_lshlrev_b32_e32 v5, 16, v5
	s_waitcnt vmcnt(0)
	v_lshlrev_b32_e32 v177, 16, v176
.LBB107_14:                             ;   in Loop: Header=BB107_5 Depth=1
	s_or_b64 exec, exec, s[36:37]
	v_lshl_add_u64 v[178:179], v[102:103], 0, 2
	v_cmp_gt_i64_e32 vcc, s[12:13], v[178:179]
	s_and_b64 s[38:39], s[6:7], vcc
	s_and_saveexec_b64 s[36:37], s[38:39]
	s_cbranch_execz .LBB107_16
; %bb.15:                               ;   in Loop: Header=BB107_5 Depth=1
	v_lshl_add_u64 v[178:179], v[160:161], 0, v[36:37]
	global_load_ushort v3, v[178:179], off
	v_lshl_add_u64 v[178:179], v[162:163], 0, v[36:37]
	global_load_ushort v176, v[178:179], off
	s_waitcnt vmcnt(1)
	v_lshlrev_b32_e32 v6, 16, v3
	s_waitcnt vmcnt(0)
	v_lshlrev_b32_e32 v3, 16, v176
.LBB107_16:                             ;   in Loop: Header=BB107_5 Depth=1
	s_or_b64 exec, exec, s[36:37]
	v_lshl_add_u64 v[178:179], v[102:103], 0, 3
	v_cmp_gt_i64_e32 vcc, s[12:13], v[178:179]
	s_and_b64 s[38:39], s[6:7], vcc
	v_mov_b32_e32 v178, 0
	v_mov_b32_e32 v179, 0
	s_and_saveexec_b64 s[36:37], s[38:39]
	s_cbranch_execz .LBB107_18
; %bb.17:                               ;   in Loop: Header=BB107_5 Depth=1
	v_lshl_add_u64 v[180:181], v[156:157], 0, v[36:37]
	global_load_ushort v7, v[180:181], off
	v_lshl_add_u64 v[180:181], v[158:159], 0, v[36:37]
	global_load_ushort v176, v[180:181], off
	s_waitcnt vmcnt(1)
	v_lshlrev_b32_e32 v7, 16, v7
	s_waitcnt vmcnt(0)
	v_lshlrev_b32_e32 v179, 16, v176
.LBB107_18:                             ;   in Loop: Header=BB107_5 Depth=1
	s_or_b64 exec, exec, s[36:37]
	v_lshl_add_u64 v[180:181], v[102:103], 0, 4
	v_cmp_gt_i64_e32 vcc, s[12:13], v[180:181]
	s_and_b64 s[38:39], s[6:7], vcc
	s_and_saveexec_b64 s[36:37], s[38:39]
	s_cbranch_execz .LBB107_20
; %bb.19:                               ;   in Loop: Header=BB107_5 Depth=1
	v_lshl_add_u64 v[180:181], v[152:153], 0, v[36:37]
	global_load_ushort v8, v[180:181], off
	v_lshl_add_u64 v[180:181], v[154:155], 0, v[36:37]
	global_load_ushort v176, v[180:181], off
	s_waitcnt vmcnt(1)
	v_lshlrev_b32_e32 v8, 16, v8
	s_waitcnt vmcnt(0)
	v_lshlrev_b32_e32 v178, 16, v176
.LBB107_20:                             ;   in Loop: Header=BB107_5 Depth=1
	;; [unrolled: 34-line block ×15, first 2 shown]
	s_or_b64 exec, exec, s[36:37]
	v_lshl_add_u64 v[206:207], v[102:103], 0, 31
	v_cmp_gt_i64_e32 vcc, s[12:13], v[206:207]
	s_and_b64 s[38:39], s[6:7], vcc
	v_mov_b32_e32 v176, 0
	s_and_saveexec_b64 s[36:37], s[38:39]
	s_cbranch_execz .LBB107_74
; %bb.73:                               ;   in Loop: Header=BB107_5 Depth=1
	v_lshl_add_u64 v[206:207], v[42:43], 0, v[36:37]
	global_load_ushort v35, v[206:207], off
	v_lshl_add_u64 v[206:207], v[44:45], 0, v[36:37]
	global_load_ushort v176, v[206:207], off
	s_waitcnt vmcnt(1)
	v_lshlrev_b32_e32 v35, 16, v35
	s_waitcnt vmcnt(0)
	v_lshlrev_b32_e32 v176, 16, v176
.LBB107_74:                             ;   in Loop: Header=BB107_5 Depth=1
	s_or_b64 exec, exec, s[36:37]
	s_waitcnt vmcnt(1)
	ds_bpermute_b32 v206, v174, v171
	s_waitcnt vmcnt(0)
	ds_bpermute_b32 v207, v174, v170
	ds_bpermute_b32 v209, v174, v171 offset:4
	ds_bpermute_b32 v208, v174, v170 offset:4
	;; [unrolled: 1-line block ×3, first 2 shown]
	s_waitcnt lgkmcnt(4)
	v_sub_f32_e32 v175, v175, v206
	v_mul_f32_e32 v175, v4, v175
	s_waitcnt lgkmcnt(3)
	v_mul_f32_e32 v207, v175, v207
	s_waitcnt lgkmcnt(2)
	v_sub_f32_e32 v175, v177, v209
	ds_bpermute_b32 v177, v174, v170 offset:8
	v_mul_f32_e32 v175, v5, v175
	s_waitcnt lgkmcnt(2)
	v_mul_f32_e32 v209, v175, v208
	s_waitcnt lgkmcnt(1)
	v_sub_f32_e32 v3, v3, v210
	ds_bpermute_b32 v175, v174, v171 offset:12
	v_mul_f32_e32 v3, v6, v3
	s_waitcnt lgkmcnt(1)
	v_mul_f32_e32 v211, v3, v177
	ds_bpermute_b32 v3, v174, v170 offset:12
	ds_bpermute_b32 v177, v174, v171 offset:16
	ds_bpermute_b32 v206, v174, v170 offset:16
	s_waitcnt lgkmcnt(3)
	v_sub_f32_e32 v175, v179, v175
	v_mul_f32_e32 v175, v7, v175
	s_waitcnt lgkmcnt(2)
	v_mul_f32_e32 v179, v175, v3
	s_waitcnt lgkmcnt(1)
	v_sub_f32_e32 v3, v178, v177
	ds_bpermute_b32 v175, v174, v171 offset:20
	v_mul_f32_e32 v3, v8, v3
	s_waitcnt lgkmcnt(1)
	v_mul_f32_e32 v213, v3, v206
	ds_bpermute_b32 v3, v174, v170 offset:20
	ds_bpermute_b32 v177, v174, v171 offset:24
	ds_bpermute_b32 v178, v174, v170 offset:24
	s_waitcnt lgkmcnt(3)
	v_sub_f32_e32 v175, v181, v175
	;; [unrolled: 14-line block ×4, first 2 shown]
	v_mul_f32_e32 v175, v13, v175
	s_waitcnt lgkmcnt(2)
	v_mul_f32_e32 v219, v175, v3
	s_waitcnt lgkmcnt(1)
	v_sub_f32_e32 v3, v185, v177
	v_mul_f32_e32 v3, v14, v3
	s_waitcnt lgkmcnt(0)
	v_mul_f32_e32 v221, v3, v178
	ds_bpermute_b32 v3, v174, v171 offset:44
	v_mov_b32_e32 v210, v6
	ds_bpermute_b32 v6, v174, v170 offset:44
	v_mov_b32_e32 v212, v8
	ds_bpermute_b32 v8, v174, v171 offset:48
	s_waitcnt lgkmcnt(2)
	v_sub_f32_e32 v3, v187, v3
	v_mul_f32_e32 v3, v15, v3
	v_mov_b32_e32 v178, v7
	s_waitcnt lgkmcnt(1)
	v_mul_f32_e32 v7, v3, v6
	ds_bpermute_b32 v3, v174, v170 offset:48
	ds_bpermute_b32 v6, v174, v171 offset:52
	v_mov_b32_e32 v214, v10
	ds_bpermute_b32 v10, v174, v170 offset:52
	s_waitcnt lgkmcnt(3)
	v_sub_f32_e32 v8, v184, v8
	v_mul_f32_e32 v8, v16, v8
	v_mov_b32_e32 v180, v9
	s_waitcnt lgkmcnt(2)
	v_mul_f32_e32 v9, v8, v3
	s_waitcnt lgkmcnt(1)
	v_sub_f32_e32 v3, v189, v6
	ds_bpermute_b32 v6, v174, v171 offset:56
	v_mul_f32_e32 v3, v17, v3
	v_mov_b32_e32 v182, v11
	s_waitcnt lgkmcnt(1)
	v_mul_f32_e32 v11, v3, v10
	ds_bpermute_b32 v3, v174, v170 offset:56
	ds_bpermute_b32 v8, v174, v171 offset:60
	;; [unrolled: 1-line block ×3, first 2 shown]
	v_mov_b32_e32 v206, v4
	s_waitcnt lgkmcnt(3)
	v_sub_f32_e32 v6, v188, v6
	v_pk_add_f32 v[206:207], v[168:169], v[206:207]
	v_mov_b32_e32 v208, v5
	v_mul_f32_e32 v6, v18, v6
	v_pk_add_f32 v[4:5], v[208:209], v[206:207]
	v_mov_b32_e32 v218, v13
	s_waitcnt lgkmcnt(2)
	v_mul_f32_e32 v13, v6, v3
	s_waitcnt lgkmcnt(1)
	v_sub_f32_e32 v3, v191, v8
	ds_bpermute_b32 v6, v174, v171 offset:64
	v_pk_add_f32 v[4:5], v[210:211], v[4:5]
	v_mul_f32_e32 v3, v19, v3
	v_pk_add_f32 v[4:5], v[178:179], v[4:5]
	s_waitcnt lgkmcnt(1)
	v_mul_f32_e32 v179, v3, v10
	ds_bpermute_b32 v3, v174, v170 offset:64
	ds_bpermute_b32 v8, v174, v171 offset:68
	;; [unrolled: 1-line block ×3, first 2 shown]
	s_waitcnt lgkmcnt(3)
	v_sub_f32_e32 v6, v190, v6
	v_pk_add_f32 v[4:5], v[212:213], v[4:5]
	v_mul_f32_e32 v6, v20, v6
	v_pk_add_f32 v[4:5], v[180:181], v[4:5]
	s_waitcnt lgkmcnt(2)
	v_mul_f32_e32 v181, v6, v3
	s_waitcnt lgkmcnt(1)
	v_sub_f32_e32 v3, v193, v8
	ds_bpermute_b32 v6, v174, v171 offset:72
	v_pk_add_f32 v[4:5], v[214:215], v[4:5]
	v_mul_f32_e32 v3, v21, v3
	v_pk_add_f32 v[4:5], v[182:183], v[4:5]
	s_waitcnt lgkmcnt(1)
	v_mul_f32_e32 v183, v3, v10
	ds_bpermute_b32 v3, v174, v170 offset:72
	ds_bpermute_b32 v8, v174, v171 offset:76
	;; [unrolled: 1-line block ×3, first 2 shown]
	s_waitcnt lgkmcnt(3)
	v_sub_f32_e32 v6, v192, v6
	v_mul_f32_e32 v6, v22, v6
	s_waitcnt lgkmcnt(2)
	v_mul_f32_e32 v185, v6, v3
	s_waitcnt lgkmcnt(1)
	v_sub_f32_e32 v3, v196, v8
	ds_bpermute_b32 v6, v174, v171 offset:80
	v_mul_f32_e32 v3, v23, v3
	s_waitcnt lgkmcnt(1)
	v_mul_f32_e32 v187, v3, v10
	ds_bpermute_b32 v3, v174, v170 offset:80
	ds_bpermute_b32 v8, v174, v171 offset:84
	;; [unrolled: 1-line block ×3, first 2 shown]
	s_waitcnt lgkmcnt(3)
	v_sub_f32_e32 v6, v194, v6
	v_mov_b32_e32 v216, v12
	v_mul_f32_e32 v6, v24, v6
	v_pk_add_f32 v[4:5], v[216:217], v[4:5]
	s_waitcnt lgkmcnt(2)
	v_mul_f32_e32 v189, v6, v3
	s_waitcnt lgkmcnt(1)
	v_sub_f32_e32 v3, v198, v8
	v_pk_add_f32 v[4:5], v[218:219], v[4:5]
	v_mov_b32_e32 v220, v14
	v_mul_f32_e32 v3, v25, v3
	v_pk_add_f32 v[4:5], v[220:221], v[4:5]
	s_waitcnt lgkmcnt(0)
	v_mul_f32_e32 v191, v3, v10
	v_mov_b32_e32 v6, v15
	ds_bpermute_b32 v3, v174, v171 offset:88
	v_pk_add_f32 v[4:5], v[6:7], v[4:5]
	v_mov_b32_e32 v8, v16
	v_pk_add_f32 v[4:5], v[8:9], v[4:5]
	ds_bpermute_b32 v6, v174, v170 offset:88
	ds_bpermute_b32 v8, v174, v171 offset:92
	;; [unrolled: 1-line block ×3, first 2 shown]
	s_waitcnt lgkmcnt(3)
	v_sub_f32_e32 v3, v195, v3
	v_mul_f32_e32 v3, v26, v3
	s_waitcnt lgkmcnt(2)
	v_mul_f32_e32 v7, v3, v6
	s_waitcnt lgkmcnt(1)
	v_sub_f32_e32 v3, v199, v8
	ds_bpermute_b32 v6, v174, v171 offset:96
	v_mul_f32_e32 v3, v27, v3
	s_waitcnt lgkmcnt(1)
	v_mul_f32_e32 v9, v3, v9
	ds_bpermute_b32 v3, v174, v170 offset:96
	ds_bpermute_b32 v8, v174, v171 offset:100
	v_mov_b32_e32 v10, v17
	v_pk_add_f32 v[4:5], v[10:11], v[4:5]
	ds_bpermute_b32 v10, v174, v170 offset:100
	s_waitcnt lgkmcnt(3)
	v_sub_f32_e32 v6, v197, v6
	v_mul_f32_e32 v6, v28, v6
	s_waitcnt lgkmcnt(2)
	v_mul_f32_e32 v11, v6, v3
	s_waitcnt lgkmcnt(1)
	v_sub_f32_e32 v3, v201, v8
	ds_bpermute_b32 v6, v174, v171 offset:104
	v_mov_b32_e32 v12, v18
	v_mul_f32_e32 v3, v29, v3
	v_pk_add_f32 v[4:5], v[12:13], v[4:5]
	s_waitcnt lgkmcnt(1)
	v_mul_f32_e32 v13, v3, v10
	ds_bpermute_b32 v3, v174, v170 offset:104
	ds_bpermute_b32 v8, v174, v171 offset:108
	;; [unrolled: 1-line block ×3, first 2 shown]
	s_waitcnt lgkmcnt(3)
	v_sub_f32_e32 v6, v200, v6
	v_mul_f32_e32 v6, v30, v6
	v_mov_b32_e32 v178, v19
	s_waitcnt lgkmcnt(2)
	v_mul_f32_e32 v15, v6, v3
	s_waitcnt lgkmcnt(1)
	v_sub_f32_e32 v3, v203, v8
	ds_bpermute_b32 v6, v174, v171 offset:112
	v_pk_add_f32 v[4:5], v[178:179], v[4:5]
	v_mov_b32_e32 v180, v20
	v_mul_f32_e32 v3, v31, v3
	v_pk_add_f32 v[4:5], v[180:181], v[4:5]
	v_mov_b32_e32 v182, v21
	s_waitcnt lgkmcnt(1)
	v_mul_f32_e32 v17, v3, v10
	ds_bpermute_b32 v3, v174, v170 offset:112
	ds_bpermute_b32 v8, v174, v171 offset:116
	v_pk_add_f32 v[4:5], v[182:183], v[4:5]
	v_mov_b32_e32 v184, v22
	v_pk_add_f32 v[4:5], v[184:185], v[4:5]
	v_mov_b32_e32 v186, v23
	ds_bpermute_b32 v10, v174, v170 offset:116
	v_pk_add_f32 v[4:5], v[186:187], v[4:5]
	v_mov_b32_e32 v188, v24
	s_waitcnt lgkmcnt(3)
	v_sub_f32_e32 v6, v202, v6
	v_pk_add_f32 v[4:5], v[188:189], v[4:5]
	v_mov_b32_e32 v190, v25
	v_mul_f32_e32 v6, v32, v6
	v_pk_add_f32 v[4:5], v[190:191], v[4:5]
	s_waitcnt lgkmcnt(2)
	v_mul_f32_e32 v19, v6, v3
	s_waitcnt lgkmcnt(1)
	v_sub_f32_e32 v3, v205, v8
	v_mov_b32_e32 v6, v26
	v_mul_f32_e32 v3, v33, v3
	v_pk_add_f32 v[4:5], v[6:7], v[4:5]
	v_mov_b32_e32 v8, v27
	s_waitcnt lgkmcnt(0)
	v_mul_f32_e32 v21, v3, v10
	v_pk_add_f32 v[4:5], v[8:9], v[4:5]
	v_mov_b32_e32 v10, v28
	v_pk_add_f32 v[4:5], v[10:11], v[4:5]
	v_mov_b32_e32 v12, v29
	;; [unrolled: 2-line block ×3, first 2 shown]
	ds_bpermute_b32 v3, v174, v171 offset:120
	v_pk_add_f32 v[4:5], v[14:15], v[4:5]
	v_mov_b32_e32 v16, v31
	v_pk_add_f32 v[4:5], v[16:17], v[4:5]
	v_mov_b32_e32 v18, v32
	;; [unrolled: 2-line block ×3, first 2 shown]
	v_pk_add_f32 v[6:7], v[20:21], v[4:5]
	ds_bpermute_b32 v5, v174, v170 offset:120
	s_waitcnt lgkmcnt(1)
	v_sub_f32_e32 v3, v204, v3
	v_mul_f32_e32 v8, v34, v3
	ds_bpermute_b32 v3, v174, v170 offset:124
	ds_bpermute_b32 v4, v174, v171 offset:124
	s_waitcnt lgkmcnt(2)
	v_mul_f32_e32 v9, v8, v5
	v_mov_b32_e32 v8, v34
	v_pk_add_f32 v[170:171], v[8:9], v[6:7]
	s_mov_b64 s[36:37], 0
.LBB107_75:                             ;   in Loop: Header=BB107_5 Depth=1
	s_and_b64 vcc, exec, s[36:37]
	s_cbranch_vccz .LBB107_4
; %bb.76:                               ;   in Loop: Header=BB107_5 Depth=1
	s_load_dword s9, s[24:25], 0x0
	v_mov_b32_e32 v175, 0
	v_mov_b32_e32 v170, 0
	;; [unrolled: 1-line block ×3, first 2 shown]
	s_waitcnt lgkmcnt(0)
	s_cmp_lt_u32 s2, s9
	s_cselect_b32 s9, 12, 18
	s_add_u32 s36, s24, s9
	s_addc_u32 s37, s25, 0
	global_load_ushort v3, v2, s[36:37]
	s_waitcnt vmcnt(0)
	v_mad_u32_u24 v3, v173, v3, v172
	v_and_b32_e32 v4, 63, v3
	v_cmp_gt_u32_e32 vcc, 32, v4
	s_and_saveexec_b64 s[36:37], vcc
	s_cbranch_execz .LBB107_80
; %bb.77:                               ;   in Loop: Header=BB107_5 Depth=1
	v_mov_b32_e32 v5, v2
	v_lshl_add_u64 v[4:5], v[102:103], 0, v[4:5]
	v_cmp_gt_i64_e32 vcc, s[12:13], v[4:5]
	v_mov_b32_e32 v171, 0
	v_mov_b32_e32 v170, 0
	s_and_saveexec_b64 s[38:39], vcc
	s_cbranch_execz .LBB107_79
; %bb.78:                               ;   in Loop: Header=BB107_5 Depth=1
	v_lshlrev_b64 v[4:5], 2, v[4:5]
	v_lshl_add_u64 v[6:7], s[22:23], 0, v[4:5]
	v_lshl_add_u64 v[4:5], s[20:21], 0, v[4:5]
	global_load_dword v171, v[4:5], off
	global_load_dword v170, v[6:7], off
.LBB107_79:                             ;   in Loop: Header=BB107_5 Depth=1
	s_or_b64 exec, exec, s[38:39]
.LBB107_80:                             ;   in Loop: Header=BB107_5 Depth=1
	s_or_b64 exec, exec, s[36:37]
	v_mov_b32_e32 v4, v2
	v_mov_b32_e32 v5, v2
	;; [unrolled: 1-line block ×31, first 2 shown]
	v_mov_b64_e32 v[34:35], v[32:33]
	v_mov_b64_e32 v[32:33], v[30:31]
	v_mov_b64_e32 v[30:31], v[28:29]
	v_mov_b64_e32 v[28:29], v[26:27]
	v_mov_b64_e32 v[26:27], v[24:25]
	v_mov_b64_e32 v[24:25], v[22:23]
	v_mov_b64_e32 v[22:23], v[20:21]
	v_mov_b64_e32 v[20:21], v[18:19]
	v_mov_b64_e32 v[18:19], v[16:17]
	v_mov_b64_e32 v[16:17], v[14:15]
	v_mov_b64_e32 v[14:15], v[12:13]
	v_mov_b64_e32 v[12:13], v[10:11]
	v_mov_b64_e32 v[10:11], v[8:9]
	v_mov_b64_e32 v[8:9], v[6:7]
	v_mov_b64_e32 v[6:7], v[4:5]
	v_mov_b64_e32 v[4:5], v[2:3]
	s_and_saveexec_b64 s[36:37], s[6:7]
	s_cbranch_execz .LBB107_82
; %bb.81:                               ;   in Loop: Header=BB107_5 Depth=1
	v_lshl_add_u64 v[4:5], v[38:39], 0, v[36:37]
	global_load_ushort v3, v[4:5], off
	v_lshl_add_u64 v[4:5], v[40:41], 0, v[36:37]
	global_load_ushort v102, v[4:5], off
	v_mov_b32_e32 v5, v2
	v_mov_b32_e32 v6, v2
	;; [unrolled: 1-line block ×31, first 2 shown]
	s_waitcnt vmcnt(1)
	v_lshlrev_b32_e32 v4, 16, v3
	s_waitcnt vmcnt(0)
	v_lshlrev_b32_e32 v175, 16, v102
.LBB107_82:                             ;   in Loop: Header=BB107_5 Depth=1
	s_or_b64 exec, exec, s[36:37]
	v_mov_b32_e32 v3, 0
	v_mov_b32_e32 v102, 0
	s_and_saveexec_b64 s[36:37], s[6:7]
	s_cbranch_execz .LBB107_84
; %bb.83:                               ;   in Loop: Header=BB107_5 Depth=1
	v_lshl_add_u64 v[102:103], v[164:165], 0, v[36:37]
	global_load_ushort v5, v[102:103], off
	v_lshl_add_u64 v[102:103], v[166:167], 0, v[36:37]
	global_load_ushort v102, v[102:103], off
	s_waitcnt vmcnt(1)
	v_lshlrev_b32_e32 v5, 16, v5
	s_waitcnt vmcnt(0)
	v_lshlrev_b32_e32 v102, 16, v102
.LBB107_84:                             ;   in Loop: Header=BB107_5 Depth=1
	s_or_b64 exec, exec, s[36:37]
	s_and_saveexec_b64 s[36:37], s[6:7]
	s_cbranch_execz .LBB107_86
; %bb.85:                               ;   in Loop: Header=BB107_5 Depth=1
	v_lshl_add_u64 v[176:177], v[160:161], 0, v[36:37]
	global_load_ushort v3, v[176:177], off
	v_lshl_add_u64 v[176:177], v[162:163], 0, v[36:37]
	global_load_ushort v103, v[176:177], off
	s_waitcnt vmcnt(1)
	v_lshlrev_b32_e32 v6, 16, v3
	s_waitcnt vmcnt(0)
	v_lshlrev_b32_e32 v3, 16, v103
.LBB107_86:                             ;   in Loop: Header=BB107_5 Depth=1
	s_or_b64 exec, exec, s[36:37]
	v_mov_b32_e32 v103, 0
	v_mov_b32_e32 v177, 0
	s_and_saveexec_b64 s[36:37], s[6:7]
	s_cbranch_execz .LBB107_88
; %bb.87:                               ;   in Loop: Header=BB107_5 Depth=1
	v_lshl_add_u64 v[176:177], v[156:157], 0, v[36:37]
	global_load_ushort v7, v[176:177], off
	v_lshl_add_u64 v[176:177], v[158:159], 0, v[36:37]
	global_load_ushort v176, v[176:177], off
	s_waitcnt vmcnt(1)
	v_lshlrev_b32_e32 v7, 16, v7
	s_waitcnt vmcnt(0)
	v_lshlrev_b32_e32 v177, 16, v176
.LBB107_88:                             ;   in Loop: Header=BB107_5 Depth=1
	s_or_b64 exec, exec, s[36:37]
	s_and_saveexec_b64 s[36:37], s[6:7]
	s_cbranch_execz .LBB107_90
; %bb.89:                               ;   in Loop: Header=BB107_5 Depth=1
	v_lshl_add_u64 v[178:179], v[152:153], 0, v[36:37]
	global_load_ushort v8, v[178:179], off
	v_lshl_add_u64 v[178:179], v[154:155], 0, v[36:37]
	global_load_ushort v103, v[178:179], off
	s_waitcnt vmcnt(1)
	v_lshlrev_b32_e32 v8, 16, v8
	s_waitcnt vmcnt(0)
	v_lshlrev_b32_e32 v103, 16, v103
.LBB107_90:                             ;   in Loop: Header=BB107_5 Depth=1
	;; [unrolled: 28-line block ×4, first 2 shown]
	s_or_b64 exec, exec, s[36:37]
	v_mov_b32_e32 v183, 0
	v_mov_b32_e32 v185, 0
	s_and_saveexec_b64 s[36:37], s[6:7]
	s_cbranch_execz .LBB107_100
; %bb.99:                               ;   in Loop: Header=BB107_5 Depth=1
	v_lshl_add_u64 v[184:185], v[132:133], 0, v[36:37]
	global_load_ushort v13, v[184:185], off
	v_lshl_add_u64 v[184:185], v[134:135], 0, v[36:37]
	global_load_ushort v176, v[184:185], off
	s_waitcnt vmcnt(1)
	v_lshlrev_b32_e32 v13, 16, v13
	s_waitcnt vmcnt(0)
	v_lshlrev_b32_e32 v185, 16, v176
.LBB107_100:                            ;   in Loop: Header=BB107_5 Depth=1
	s_or_b64 exec, exec, s[36:37]
	s_and_saveexec_b64 s[36:37], s[6:7]
	s_cbranch_execz .LBB107_102
; %bb.101:                              ;   in Loop: Header=BB107_5 Depth=1
	v_lshl_add_u64 v[182:183], v[128:129], 0, v[36:37]
	global_load_ushort v14, v[182:183], off
	v_lshl_add_u64 v[182:183], v[130:131], 0, v[36:37]
	global_load_ushort v176, v[182:183], off
	s_waitcnt vmcnt(1)
	v_lshlrev_b32_e32 v14, 16, v14
	s_waitcnt vmcnt(0)
	v_lshlrev_b32_e32 v183, 16, v176
.LBB107_102:                            ;   in Loop: Header=BB107_5 Depth=1
	s_or_b64 exec, exec, s[36:37]
	v_mov_b32_e32 v182, 0
	v_mov_b32_e32 v184, 0
	s_and_saveexec_b64 s[36:37], s[6:7]
	s_cbranch_execz .LBB107_104
; %bb.103:                              ;   in Loop: Header=BB107_5 Depth=1
	v_lshl_add_u64 v[186:187], v[124:125], 0, v[36:37]
	global_load_ushort v15, v[186:187], off
	v_lshl_add_u64 v[186:187], v[126:127], 0, v[36:37]
	global_load_ushort v176, v[186:187], off
	s_waitcnt vmcnt(1)
	v_lshlrev_b32_e32 v15, 16, v15
	s_waitcnt vmcnt(0)
	v_lshlrev_b32_e32 v184, 16, v176
.LBB107_104:                            ;   in Loop: Header=BB107_5 Depth=1
	s_or_b64 exec, exec, s[36:37]
	s_and_saveexec_b64 s[36:37], s[6:7]
	s_cbranch_execz .LBB107_106
; %bb.105:                              ;   in Loop: Header=BB107_5 Depth=1
	v_lshl_add_u64 v[186:187], v[120:121], 0, v[36:37]
	global_load_ushort v16, v[186:187], off
	v_lshl_add_u64 v[186:187], v[122:123], 0, v[36:37]
	global_load_ushort v176, v[186:187], off
	s_waitcnt vmcnt(1)
	v_lshlrev_b32_e32 v16, 16, v16
	s_waitcnt vmcnt(0)
	v_lshlrev_b32_e32 v182, 16, v176
.LBB107_106:                            ;   in Loop: Header=BB107_5 Depth=1
	s_or_b64 exec, exec, s[36:37]
	v_mov_b32_e32 v186, 0
	v_mov_b32_e32 v187, 0
	s_and_saveexec_b64 s[36:37], s[6:7]
	s_cbranch_execz .LBB107_108
; %bb.107:                              ;   in Loop: Header=BB107_5 Depth=1
	v_lshl_add_u64 v[188:189], v[116:117], 0, v[36:37]
	global_load_ushort v17, v[188:189], off
	v_lshl_add_u64 v[188:189], v[118:119], 0, v[36:37]
	global_load_ushort v176, v[188:189], off
	s_waitcnt vmcnt(1)
	v_lshlrev_b32_e32 v17, 16, v17
	s_waitcnt vmcnt(0)
	v_lshlrev_b32_e32 v187, 16, v176
.LBB107_108:                            ;   in Loop: Header=BB107_5 Depth=1
	;; [unrolled: 28-line block ×9, first 2 shown]
	s_or_b64 exec, exec, s[36:37]
	s_and_saveexec_b64 s[36:37], s[6:7]
	s_cbranch_execz .LBB107_138
; %bb.137:                              ;   in Loop: Header=BB107_5 Depth=1
	v_lshl_add_u64 v[200:201], v[54:55], 0, v[36:37]
	global_load_ushort v32, v[200:201], off
	v_lshl_add_u64 v[200:201], v[56:57], 0, v[36:37]
	global_load_ushort v176, v[200:201], off
	s_waitcnt vmcnt(1)
	v_lshlrev_b32_e32 v32, 16, v32
	s_waitcnt vmcnt(0)
	v_lshlrev_b32_e32 v200, 16, v176
.LBB107_138:                            ;   in Loop: Header=BB107_5 Depth=1
	s_or_b64 exec, exec, s[36:37]
	v_mov_b32_e32 v201, 0
	v_mov_b32_e32 v203, 0
	s_and_saveexec_b64 s[36:37], s[6:7]
	s_cbranch_execnz .LBB107_141
; %bb.139:                              ;   in Loop: Header=BB107_5 Depth=1
	s_or_b64 exec, exec, s[36:37]
	s_and_saveexec_b64 s[36:37], s[6:7]
	s_cbranch_execnz .LBB107_142
.LBB107_140:                            ;   in Loop: Header=BB107_5 Depth=1
	s_or_b64 exec, exec, s[36:37]
	v_mov_b32_e32 v176, 0
	s_and_saveexec_b64 s[36:37], s[6:7]
	s_cbranch_execz .LBB107_3
	s_branch .LBB107_143
.LBB107_141:                            ;   in Loop: Header=BB107_5 Depth=1
	v_lshl_add_u64 v[204:205], v[50:51], 0, v[36:37]
	global_load_ushort v33, v[204:205], off
	v_lshl_add_u64 v[204:205], v[52:53], 0, v[36:37]
	global_load_ushort v176, v[204:205], off
	s_waitcnt vmcnt(1)
	v_lshlrev_b32_e32 v33, 16, v33
	s_waitcnt vmcnt(0)
	v_lshlrev_b32_e32 v203, 16, v176
	s_or_b64 exec, exec, s[36:37]
	s_and_saveexec_b64 s[36:37], s[6:7]
	s_cbranch_execz .LBB107_140
.LBB107_142:                            ;   in Loop: Header=BB107_5 Depth=1
	v_lshl_add_u64 v[204:205], v[46:47], 0, v[36:37]
	global_load_ushort v34, v[204:205], off
	v_lshl_add_u64 v[204:205], v[48:49], 0, v[36:37]
	global_load_ushort v176, v[204:205], off
	s_waitcnt vmcnt(1)
	v_lshlrev_b32_e32 v34, 16, v34
	s_waitcnt vmcnt(0)
	v_lshlrev_b32_e32 v201, 16, v176
	s_or_b64 exec, exec, s[36:37]
	v_mov_b32_e32 v176, 0
	s_and_saveexec_b64 s[36:37], s[6:7]
	s_cbranch_execz .LBB107_3
.LBB107_143:                            ;   in Loop: Header=BB107_5 Depth=1
	v_lshl_add_u64 v[204:205], v[42:43], 0, v[36:37]
	global_load_ushort v35, v[204:205], off
	v_lshl_add_u64 v[204:205], v[44:45], 0, v[36:37]
	global_load_ushort v176, v[204:205], off
	s_waitcnt vmcnt(1)
	v_lshlrev_b32_e32 v35, 16, v35
	s_waitcnt vmcnt(0)
	v_lshlrev_b32_e32 v176, 16, v176
	s_branch .LBB107_3
.LBB107_144:
                                        ; implicit-def: $vgpr168_vgpr169
	s_branch .LBB107_147
.LBB107_145:
	v_mov_b32_e32 v168, 0
	v_mov_b32_e32 v169, v168
.LBB107_146:
	s_cbranch_execnz .LBB107_228
.LBB107_147:
	s_and_b64 vcc, exec, s[4:5]
	s_mov_b32 s5, 0
	s_cbranch_vccnz .LBB107_226
; %bb.148:
	v_mov_b32_e32 v2, 0
	v_bfe_u32 v6, v0, 10, 10
	v_and_b32_e32 v1, 0x3ff, v0
	v_lshlrev_b32_e32 v104, 5, v6
	v_mov_b32_e32 v105, v2
	v_accvgpr_write_b32 a1, v1
	v_add_u32_e32 v4, s3, v1
	v_mov_b32_e32 v5, v2
	v_accvgpr_write_b32 a0, v0
	v_lshl_add_u64 v[0:1], v[104:105], 0, s[10:11]
	v_lshlrev_b64 v[38:39], 1, v[4:5]
	v_mul_lo_u32 v3, s15, v0
	v_mul_lo_u32 v70, s14, v1
	v_mad_u64_u32 v[4:5], s[24:25], s14, v0, 0
	v_add3_u32 v5, v5, v70, v3
	v_lshlrev_b64 v[4:5], 1, v[4:5]
	v_lshl_add_u64 v[8:9], s[16:17], 0, v[4:5]
	v_lshl_add_u64 v[4:5], s[18:19], 0, v[4:5]
	v_accvgpr_write_b32 a9, v5
	v_accvgpr_write_b32 a8, v4
	v_lshlrev_b32_e32 v4, 6, v6
	v_mov_b32_e32 v5, v2
	v_lshl_add_u64 v[4:5], s[10:11], 1, v[4:5]
	v_lshl_add_u64 v[58:59], v[4:5], 0, 2
	v_mov_b64_e32 v[68:69], s[16:17]
	v_accvgpr_write_b32 a2, v6
	v_mad_u64_u32 v[6:7], s[26:27], s14, v58, v[68:69]
	v_mul_lo_u32 v59, s14, v59
	v_mul_lo_u32 v71, s15, v58
	v_add3_u32 v7, v71, v7, v59
	v_accvgpr_write_b32 a11, v7
	v_lshl_add_u64 v[62:63], v[4:5], 0, 4
	v_accvgpr_write_b32 a10, v6
	v_mad_u64_u32 v[6:7], s[26:27], s14, v62, v[68:69]
	v_mul_lo_u32 v63, s14, v63
	v_mul_lo_u32 v72, s15, v62
	v_add3_u32 v7, v72, v7, v63
	v_accvgpr_write_b32 a13, v7
	v_lshl_add_u64 v[64:65], v[4:5], 0, 6
	;; [unrolled: 7-line block ×27, first 2 shown]
	v_accvgpr_write_b32 a62, v6
	v_mad_u64_u32 v[6:7], s[26:27], s14, v10, v[68:69]
	v_mul_lo_u32 v11, s14, v11
	v_mul_lo_u32 v98, s15, v10
	v_accvgpr_write_b32 a6, v8
	v_add3_u32 v7, v98, v7, v11
	v_accvgpr_write_b32 a7, v9
	v_accvgpr_write_b32 a65, v7
	v_lshl_add_u64 v[8:9], v[4:5], 0, 58
	v_accvgpr_write_b32 a64, v6
	v_mad_u64_u32 v[6:7], s[26:27], s14, v8, v[68:69]
	v_mul_lo_u32 v9, s14, v9
	v_mul_lo_u32 v99, s15, v8
	v_add3_u32 v7, v99, v7, v9
	v_accvgpr_write_b32 a67, v7
	v_accvgpr_write_b32 a66, v6
	v_lshl_add_u64 v[6:7], v[4:5], 0, 60
	v_lshl_add_u64 v[4:5], v[4:5], 0, 62
	v_mad_u64_u32 v[102:103], s[26:27], s14, v6, v[68:69]
	v_mul_lo_u32 v100, s14, v7
	v_mad_u64_u32 v[68:69], s[26:27], s14, v4, v[68:69]
	v_mul_lo_u32 v5, s14, v5
	v_mul_lo_u32 v7, s15, v4
	v_add3_u32 v69, v7, v69, v5
	v_accvgpr_write_b32 a71, v69
	v_accvgpr_write_b32 a70, v68
	v_mov_b64_e32 v[68:69], s[18:19]
	v_mad_u64_u32 v[166:167], s[26:27], s14, v4, v[68:69]
	v_add3_u32 v167, v7, v167, v5
	v_lshl_add_u64 v[4:5], v[0:1], 0, 31
	v_mul_lo_u32 v101, s15, v6
	v_mad_u64_u32 v[164:165], s[26:27], s14, v6, v[68:69]
	v_mul_lo_u32 v6, s15, v4
	v_mul_lo_u32 v7, s14, v5
	v_mad_u64_u32 v[4:5], s[28:29], s14, v4, 0
	v_add3_u32 v5, v5, v7, v6
	v_mad_u64_u32 v[124:125], s[26:27], s14, v48, v[68:69]
	v_mad_u64_u32 v[126:127], s[26:27], s14, v46, v[68:69]
	v_lshlrev_b64 v[4:5], 1, v[4:5]
	v_add3_u32 v125, v80, v125, v49
	v_add3_u32 v127, v81, v127, v47
	v_lshl_add_u64 v[80:81], s[16:17], 0, v[4:5]
	v_lshl_add_u64 v[170:171], s[18:19], 0, v[4:5]
	v_lshl_add_u64 v[4:5], v[0:1], 0, 30
	v_mul_lo_u32 v6, s15, v4
	v_mul_lo_u32 v7, s14, v5
	v_mad_u64_u32 v[4:5], s[28:29], s14, v4, 0
	v_add3_u32 v5, v5, v7, v6
	v_lshlrev_b64 v[4:5], 1, v[4:5]
	v_lshl_add_u64 v[172:173], s[16:17], 0, v[4:5]
	v_lshl_add_u64 v[174:175], s[18:19], 0, v[4:5]
	v_lshl_add_u64 v[4:5], v[0:1], 0, 29
	v_mul_lo_u32 v6, s15, v4
	v_mul_lo_u32 v7, s14, v5
	v_mad_u64_u32 v[4:5], s[28:29], s14, v4, 0
	v_add3_u32 v5, v5, v7, v6
	v_lshlrev_b64 v[4:5], 1, v[4:5]
	;; [unrolled: 8-line block ×8, first 2 shown]
	v_lshl_add_u64 v[200:201], s[16:17], 0, v[4:5]
	v_lshl_add_u64 v[202:203], s[18:19], 0, v[4:5]
	;; [unrolled: 1-line block ×3, first 2 shown]
	v_mul_lo_u32 v6, s15, v4
	v_mul_lo_u32 v7, s14, v5
	v_mad_u64_u32 v[4:5], s[28:29], s14, v4, 0
	v_mad_u64_u32 v[162:163], s[26:27], s14, v8, v[68:69]
	v_add3_u32 v5, v5, v7, v6
	v_lshl_add_u64 v[6:7], v[0:1], 0, 21
	v_add3_u32 v163, v99, v163, v9
	v_mul_lo_u32 v8, s15, v6
	v_mul_lo_u32 v9, s14, v7
	v_mad_u64_u32 v[6:7], s[28:29], s14, v6, 0
	v_mad_u64_u32 v[160:161], s[26:27], s14, v10, v[68:69]
	v_add3_u32 v7, v7, v9, v8
	v_lshl_add_u64 v[8:9], v[0:1], 0, 20
	v_add3_u32 v161, v98, v161, v11
	;; [unrolled: 7-line block ×14, first 2 shown]
	v_mul_lo_u32 v34, s15, v32
	v_mul_lo_u32 v35, s14, v33
	v_mad_u64_u32 v[32:33], s[28:29], s14, v32, 0
	v_add3_u32 v103, v101, v103, v100
	v_accvgpr_write_b32 a68, v102
	v_mad_u64_u32 v[134:135], s[26:27], s14, v36, v[68:69]
	v_add3_u32 v33, v33, v35, v34
	v_lshl_add_u64 v[34:35], v[0:1], 0, 7
	v_accvgpr_write_b32 a69, v103
	v_mad_u64_u32 v[102:103], s[26:27], s14, v58, v[68:69]
	v_add3_u32 v135, v85, v135, v37
	v_mul_lo_u32 v36, s15, v34
	v_mul_lo_u32 v37, s14, v35
	v_mad_u64_u32 v[34:35], s[28:29], s14, v34, 0
	v_add3_u32 v103, v71, v103, v59
	v_mad_u64_u32 v[58:59], s[26:27], s14, v62, v[68:69]
	v_mad_u64_u32 v[132:133], s[26:27], s14, v40, v[68:69]
	v_add3_u32 v35, v35, v37, v36
	v_lshl_add_u64 v[36:37], v[0:1], 0, 6
	v_add3_u32 v59, v72, v59, v63
	v_add3_u32 v133, v84, v133, v41
	v_mul_lo_u32 v40, s15, v36
	v_mul_lo_u32 v41, s14, v37
	v_mad_u64_u32 v[36:37], s[28:29], s14, v36, 0
	v_accvgpr_write_b32 a75, v59
	v_mad_u64_u32 v[130:131], s[26:27], s14, v42, v[68:69]
	v_add3_u32 v37, v37, v41, v40
	v_lshl_add_u64 v[40:41], v[0:1], 0, 5
	v_accvgpr_write_b32 a74, v58
	v_mad_u64_u32 v[58:59], s[26:27], s14, v64, v[68:69]
	v_add3_u32 v131, v83, v131, v43
	v_mul_lo_u32 v42, s15, v40
	v_mul_lo_u32 v43, s14, v41
	v_mad_u64_u32 v[40:41], s[28:29], s14, v40, 0
	v_add3_u32 v59, v73, v59, v65
	v_mad_u64_u32 v[128:129], s[26:27], s14, v44, v[68:69]
	v_add3_u32 v41, v41, v43, v42
	v_lshl_add_u64 v[42:43], v[0:1], 0, 4
	v_accvgpr_write_b32 a77, v59
	v_add3_u32 v129, v82, v129, v45
	v_mul_lo_u32 v44, s15, v42
	v_mul_lo_u32 v45, s14, v43
	v_mad_u64_u32 v[42:43], s[28:29], s14, v42, 0
	v_accvgpr_write_b32 a76, v58
	v_mad_u64_u32 v[58:59], s[26:27], s14, v66, v[68:69]
	v_add3_u32 v43, v43, v45, v44
	v_lshl_add_u64 v[44:45], v[0:1], 0, 3
	v_add3_u32 v59, v74, v59, v67
	v_mul_lo_u32 v46, s15, v44
	v_mul_lo_u32 v45, s14, v45
	v_mad_u64_u32 v[66:67], s[28:29], s14, v44, 0
	v_add3_u32 v67, v67, v45, v46
	v_lshl_add_u64 v[44:45], v[0:1], 0, 2
	v_accvgpr_write_b32 a79, v59
	v_mul_lo_u32 v1, s15, v44
	v_mul_lo_u32 v45, s14, v45
	v_mad_u64_u32 v[72:73], s[28:29], s14, v44, 0
	v_accvgpr_write_b32 a78, v58
	v_mad_u64_u32 v[58:59], s[26:27], s14, v60, v[68:69]
	v_add3_u32 v73, v73, v45, v1
	v_mov_b64_e32 v[44:45], s[14:15]
	v_add3_u32 v59, v75, v59, v61
	v_mad_u64_u32 v[74:75], s[28:29], s14, v0, v[44:45]
	v_lshlrev_b64 v[0:1], 1, v[6:7]
	v_lshl_add_u64 v[208:209], s[16:17], 0, v[0:1]
	v_lshl_add_u64 v[210:211], s[18:19], 0, v[0:1]
	v_lshlrev_b64 v[0:1], 1, v[8:9]
	v_accvgpr_write_b32 a81, v59
	v_lshl_add_u64 v[212:213], s[16:17], 0, v[0:1]
	v_lshl_add_u64 v[214:215], s[18:19], 0, v[0:1]
	v_lshlrev_b64 v[0:1], 1, v[10:11]
	v_accvgpr_write_b32 a80, v58
	v_mad_u64_u32 v[58:59], s[26:27], s14, v56, v[68:69]
	v_lshl_add_u64 v[216:217], s[16:17], 0, v[0:1]
	v_lshl_add_u64 v[218:219], s[18:19], 0, v[0:1]
	v_lshlrev_b64 v[0:1], 1, v[12:13]
	v_add3_u32 v59, v76, v59, v57
	v_mad_u64_u32 v[56:57], s[26:27], s14, v54, v[68:69]
	v_lshlrev_b64 v[4:5], 1, v[4:5]
	v_lshl_add_u64 v[220:221], s[16:17], 0, v[0:1]
	v_lshl_add_u64 v[222:223], s[18:19], 0, v[0:1]
	v_lshlrev_b64 v[0:1], 1, v[14:15]
	s_load_dword s3, s[0:1], 0x44
	v_add3_u32 v57, v77, v57, v55
	v_mad_u64_u32 v[54:55], s[26:27], s14, v52, v[68:69]
	v_lshl_add_u64 v[204:205], s[16:17], 0, v[4:5]
	v_lshl_add_u64 v[206:207], s[18:19], 0, v[4:5]
	;; [unrolled: 1-line block ×4, first 2 shown]
	v_lshlrev_b64 v[0:1], 1, v[16:17]
	v_lshlrev_b64 v[4:5], 1, v[32:33]
	v_add3_u32 v55, v78, v55, v53
	v_mad_u64_u32 v[122:123], s[26:27], s14, v50, v[68:69]
	v_lshl_add_u64 v[228:229], s[16:17], 0, v[0:1]
	v_lshl_add_u64 v[230:231], s[18:19], 0, v[0:1]
	v_lshlrev_b64 v[0:1], 1, v[18:19]
	v_lshl_add_u64 v[46:47], s[16:17], 0, v[4:5]
	v_lshl_add_u64 v[48:49], s[18:19], 0, v[4:5]
	v_lshlrev_b64 v[4:5], 1, v[34:35]
	v_accvgpr_write_b32 a85, v57
	v_accvgpr_write_b32 a87, v55
	v_add3_u32 v123, v79, v123, v51
	v_lshl_add_u64 v[232:233], s[16:17], 0, v[0:1]
	v_lshl_add_u64 v[234:235], s[18:19], 0, v[0:1]
	v_lshlrev_b64 v[0:1], 1, v[20:21]
	v_lshl_add_u64 v[50:51], s[16:17], 0, v[4:5]
	v_lshl_add_u64 v[52:53], s[18:19], 0, v[4:5]
	v_lshlrev_b64 v[4:5], 1, v[36:37]
	v_accvgpr_write_b32 a83, v59
	v_accvgpr_write_b32 a84, v56
	;; [unrolled: 1-line block ×3, first 2 shown]
	v_lshl_add_u64 v[236:237], s[16:17], 0, v[0:1]
	v_lshl_add_u64 v[238:239], s[18:19], 0, v[0:1]
	v_lshlrev_b64 v[0:1], 1, v[22:23]
	v_lshl_add_u64 v[54:55], s[16:17], 0, v[4:5]
	v_lshl_add_u64 v[56:57], s[18:19], 0, v[4:5]
	v_lshlrev_b64 v[4:5], 1, v[40:41]
	s_add_u32 s6, s0, 64
	v_accvgpr_write_b32 a82, v58
	v_lshl_add_u64 v[240:241], s[16:17], 0, v[0:1]
	v_lshl_add_u64 v[242:243], s[18:19], 0, v[0:1]
	v_lshlrev_b64 v[0:1], 1, v[24:25]
	v_lshl_add_u64 v[58:59], s[16:17], 0, v[4:5]
	v_lshl_add_u64 v[60:61], s[18:19], 0, v[4:5]
	v_lshlrev_b64 v[4:5], 1, v[42:43]
	s_addc_u32 s7, s1, 0
	s_waitcnt lgkmcnt(0)
	s_lshl_b32 s4, s3, 5
	v_add3_u32 v75, v3, v75, v70
	v_lshl_add_u64 v[244:245], s[16:17], 0, v[0:1]
	v_lshl_add_u64 v[246:247], s[18:19], 0, v[0:1]
	v_lshlrev_b64 v[0:1], 1, v[26:27]
	v_lshl_add_u64 v[62:63], s[16:17], 0, v[4:5]
	v_lshl_add_u64 v[64:65], s[18:19], 0, v[4:5]
	v_lshlrev_b64 v[4:5], 1, v[66:67]
	v_mbcnt_lo_u32_b32 v3, -1, 0
	s_mul_i32 s3, s15, s4
	s_mul_hi_u32 s9, s14, s4
	v_lshl_add_u64 v[248:249], s[16:17], 0, v[0:1]
	v_lshl_add_u64 v[250:251], s[18:19], 0, v[0:1]
	v_lshlrev_b64 v[0:1], 1, v[28:29]
	v_lshl_add_u64 v[66:67], s[16:17], 0, v[4:5]
	v_lshl_add_u64 v[68:69], s[18:19], 0, v[4:5]
	v_lshlrev_b64 v[4:5], 1, v[72:73]
	v_mbcnt_hi_u32_b32 v3, -1, v3
	s_add_i32 s25, s9, s3
	s_mul_i32 s24, s14, s4
	v_accvgpr_write_b32 a72, v102
	v_lshl_add_u64 v[252:253], s[16:17], 0, v[0:1]
	v_lshl_add_u64 v[254:255], s[18:19], 0, v[0:1]
	v_lshlrev_b64 v[0:1], 1, v[30:31]
	v_lshl_add_u64 v[70:71], s[16:17], 0, v[4:5]
	v_lshl_add_u64 v[72:73], s[18:19], 0, v[4:5]
	v_lshlrev_b64 v[4:5], 1, v[74:75]
	v_lshlrev_b32_e32 v3, 2, v3
	s_lshl_b64 s[24:25], s[24:25], 1
	v_accvgpr_write_b32 a73, v103
	v_add3_u32 v165, v101, v165, v100
	s_mov_b64 s[26:27], 31
	v_lshl_add_u64 v[44:45], s[16:17], 0, v[0:1]
	v_lshl_add_u64 v[0:1], s[18:19], 0, v[0:1]
	;; [unrolled: 1-line block ×4, first 2 shown]
	v_and_b32_e32 v106, 0x100, v3
	v_mov_b32_e32 v102, 0
	v_mov_b32_e32 v103, v2
	s_mov_b64 s[16:17], s[10:11]
	s_branch .LBB107_152
.LBB107_149:                            ;   in Loop: Header=BB107_152 Depth=1
	s_or_b64 exec, exec, s[28:29]
.LBB107_150:                            ;   in Loop: Header=BB107_152 Depth=1
	s_or_b64 exec, exec, s[18:19]
	v_accvgpr_read_b32 v4, a6
	v_accvgpr_read_b32 v5, a7
	v_lshl_add_u64 v[4:5], v[4:5], 0, v[38:39]
	global_load_ushort v4, v[4:5], off
	v_lshl_add_u64 v[6:7], v[148:149], 0, v[38:39]
	v_lshl_add_u64 v[8:9], v[150:151], 0, v[38:39]
	;; [unrolled: 1-line block ×9, first 2 shown]
	s_waitcnt vmcnt(0)
	v_lshlrev_b32_e32 v42, 16, v4
	v_accvgpr_read_b32 v4, a8
	v_accvgpr_read_b32 v5, a9
	v_lshl_add_u64 v[4:5], v[4:5], 0, v[38:39]
	global_load_ushort v4, v[4:5], off
	s_waitcnt vmcnt(0)
	v_lshlrev_b32_e32 v43, 16, v4
	v_accvgpr_read_b32 v4, a10
	v_accvgpr_read_b32 v5, a11
	v_lshl_add_u64 v[4:5], v[4:5], 0, v[38:39]
	global_load_ushort v4, v[4:5], off
	;; [unrolled: 6-line block ×18, first 2 shown]
	s_waitcnt vmcnt(0)
	v_lshlrev_b32_e32 v104, 16, v4
	v_lshl_add_u64 v[4:5], v[122:123], 0, v[38:39]
	global_load_ushort v4, v[4:5], off
	s_waitcnt vmcnt(0)
	v_lshlrev_b32_e32 v105, 16, v4
	v_accvgpr_read_b32 v4, a28
	v_accvgpr_read_b32 v5, a29
	v_lshl_add_u64 v[4:5], v[4:5], 0, v[38:39]
	global_load_ushort v4, v[4:5], off
	s_waitcnt vmcnt(0)
	v_lshlrev_b32_e32 v36, 16, v4
	v_lshl_add_u64 v[4:5], v[124:125], 0, v[38:39]
	global_load_ushort v4, v[4:5], off
	s_waitcnt vmcnt(0)
	v_lshlrev_b32_e32 v37, 16, v4
	v_accvgpr_read_b32 v4, a30
	v_accvgpr_read_b32 v5, a31
	v_lshl_add_u64 v[4:5], v[4:5], 0, v[38:39]
	global_load_ushort v4, v[4:5], off
	s_waitcnt vmcnt(0)
	v_lshlrev_b32_e32 v24, 16, v4
	v_lshl_add_u64 v[4:5], v[126:127], 0, v[38:39]
	global_load_ushort v4, v[4:5], off
	s_waitcnt vmcnt(0)
	v_lshlrev_b32_e32 v25, 16, v4
	v_accvgpr_read_b32 v4, a32
	v_accvgpr_read_b32 v5, a33
	v_lshl_add_u64 v[4:5], v[4:5], 0, v[38:39]
	global_load_ushort v4, v[4:5], off
	s_waitcnt vmcnt(0)
	v_lshlrev_b32_e32 v26, 16, v4
	v_lshl_add_u64 v[4:5], v[128:129], 0, v[38:39]
	global_load_ushort v4, v[4:5], off
	s_waitcnt vmcnt(0)
	v_lshlrev_b32_e32 v27, 16, v4
	v_accvgpr_read_b32 v4, a34
	v_accvgpr_read_b32 v5, a35
	v_lshl_add_u64 v[4:5], v[4:5], 0, v[38:39]
	global_load_ushort v4, v[4:5], off
	s_waitcnt vmcnt(0)
	v_lshlrev_b32_e32 v28, 16, v4
	v_lshl_add_u64 v[4:5], v[130:131], 0, v[38:39]
	global_load_ushort v4, v[4:5], off
	s_waitcnt vmcnt(0)
	v_lshlrev_b32_e32 v29, 16, v4
	v_accvgpr_read_b32 v4, a36
	v_accvgpr_read_b32 v5, a37
	v_lshl_add_u64 v[4:5], v[4:5], 0, v[38:39]
	global_load_ushort v4, v[4:5], off
	s_waitcnt vmcnt(0)
	v_lshlrev_b32_e32 v30, 16, v4
	v_lshl_add_u64 v[4:5], v[132:133], 0, v[38:39]
	global_load_ushort v4, v[4:5], off
	s_waitcnt vmcnt(0)
	v_lshlrev_b32_e32 v31, 16, v4
	v_accvgpr_read_b32 v4, a38
	v_accvgpr_read_b32 v5, a39
	v_lshl_add_u64 v[4:5], v[4:5], 0, v[38:39]
	global_load_ushort v4, v[4:5], off
	s_waitcnt vmcnt(0)
	v_lshlrev_b32_e32 v32, 16, v4
	v_lshl_add_u64 v[4:5], v[134:135], 0, v[38:39]
	global_load_ushort v4, v[4:5], off
	s_waitcnt vmcnt(0)
	v_lshlrev_b32_e32 v33, 16, v4
	v_accvgpr_read_b32 v4, a40
	v_accvgpr_read_b32 v5, a41
	v_lshl_add_u64 v[4:5], v[4:5], 0, v[38:39]
	global_load_ushort v4, v[4:5], off
	s_waitcnt vmcnt(0)
	v_lshlrev_b32_e32 v34, 16, v4
	v_lshl_add_u64 v[4:5], v[136:137], 0, v[38:39]
	global_load_ushort v4, v[4:5], off
	s_waitcnt vmcnt(0)
	v_lshlrev_b32_e32 v35, 16, v4
	v_accvgpr_read_b32 v4, a42
	v_accvgpr_read_b32 v5, a43
	v_lshl_add_u64 v[4:5], v[4:5], 0, v[38:39]
	global_load_ushort v4, v[4:5], off
	s_waitcnt vmcnt(0)
	v_lshlrev_b32_e32 v82, 16, v4
	v_lshl_add_u64 v[4:5], v[138:139], 0, v[38:39]
	global_load_ushort v4, v[4:5], off
	s_waitcnt vmcnt(0)
	v_lshlrev_b32_e32 v83, 16, v4
	v_accvgpr_read_b32 v4, a44
	v_accvgpr_read_b32 v5, a45
	v_lshl_add_u64 v[4:5], v[4:5], 0, v[38:39]
	global_load_ushort v4, v[4:5], off
	s_waitcnt vmcnt(0)
	v_lshlrev_b32_e32 v168, 16, v4
	v_lshl_add_u64 v[4:5], v[140:141], 0, v[38:39]
	global_load_ushort v4, v[4:5], off
	s_waitcnt vmcnt(0)
	v_lshlrev_b32_e32 v169, 16, v4
	v_accvgpr_read_b32 v4, a46
	v_accvgpr_read_b32 v5, a47
	v_lshl_add_u64 v[4:5], v[4:5], 0, v[38:39]
	global_load_ushort v4, v[4:5], off
	s_waitcnt vmcnt(0)
	v_lshlrev_b32_e32 v84, 16, v4
	v_lshl_add_u64 v[4:5], v[142:143], 0, v[38:39]
	global_load_ushort v4, v[4:5], off
	s_waitcnt vmcnt(0)
	v_lshlrev_b32_e32 v85, 16, v4
	v_accvgpr_read_b32 v4, a48
	v_accvgpr_read_b32 v5, a49
	v_lshl_add_u64 v[4:5], v[4:5], 0, v[38:39]
	global_load_ushort v4, v[4:5], off
	s_waitcnt vmcnt(0)
	v_lshlrev_b32_e32 v40, 16, v4
	v_lshl_add_u64 v[4:5], v[144:145], 0, v[38:39]
	global_load_ushort v4, v[4:5], off
	s_waitcnt vmcnt(0)
	v_lshlrev_b32_e32 v41, 16, v4
	v_accvgpr_read_b32 v4, a50
	v_accvgpr_read_b32 v5, a51
	v_lshl_add_u64 v[4:5], v[4:5], 0, v[38:39]
	global_load_ushort v4, v[4:5], off
	s_waitcnt vmcnt(0)
	v_lshlrev_b32_e32 v86, 16, v4
	v_lshl_add_u64 v[4:5], v[146:147], 0, v[38:39]
	global_load_ushort v4, v[4:5], off
	s_waitcnt vmcnt(0)
	v_lshlrev_b32_e32 v87, 16, v4
	v_accvgpr_read_b32 v4, a52
	v_accvgpr_read_b32 v5, a53
	v_lshl_add_u64 v[4:5], v[4:5], 0, v[38:39]
	global_load_ushort v4, v[4:5], off
	s_waitcnt vmcnt(0)
	v_lshlrev_b32_e32 v4, 16, v4
	global_load_ushort v5, v[6:7], off
	v_accvgpr_read_b32 v6, a54
	v_accvgpr_read_b32 v7, a55
	v_lshl_add_u64 v[6:7], v[6:7], 0, v[38:39]
	global_load_ushort v6, v[6:7], off
	s_waitcnt vmcnt(1)
	v_lshlrev_b32_e32 v5, 16, v5
	global_load_ushort v7, v[8:9], off
	v_accvgpr_read_b32 v8, a56
	v_accvgpr_read_b32 v9, a57
	v_lshl_add_u64 v[8:9], v[8:9], 0, v[38:39]
	global_load_ushort v8, v[8:9], off
	;; [unrolled: 7-line block ×5, first 2 shown]
	v_lshlrev_b32_e32 v8, 16, v8
	global_load_ushort v15, v[18:19], off
	v_accvgpr_read_b32 v18, a64
	v_accvgpr_read_b32 v19, a65
	v_lshl_add_u64 v[18:19], v[18:19], 0, v[38:39]
	global_load_ushort v16, v[18:19], off
	s_waitcnt vmcnt(6)
	v_lshlrev_b32_e32 v10, 16, v10
	s_waitcnt vmcnt(5)
	v_lshlrev_b32_e32 v11, 16, v11
	;; [unrolled: 2-line block ×7, first 2 shown]
	global_load_ushort v16, v[20:21], off
	v_accvgpr_read_b32 v20, a66
	v_accvgpr_read_b32 v21, a67
	v_lshl_add_u64 v[20:21], v[20:21], 0, v[38:39]
	s_waitcnt vmcnt(0)
	v_lshlrev_b32_e32 v19, 16, v16
	global_load_ushort v16, v[20:21], off
	s_waitcnt vmcnt(0)
	v_lshlrev_b32_e32 v20, 16, v16
	global_load_ushort v16, v[22:23], off
	v_accvgpr_read_b32 v22, a68
	v_accvgpr_read_b32 v23, a69
	v_lshl_add_u64 v[22:23], v[22:23], 0, v[38:39]
	s_waitcnt vmcnt(0)
	v_lshlrev_b32_e32 v21, 16, v16
	global_load_ushort v16, v[22:23], off
	s_waitcnt vmcnt(0)
	v_lshlrev_b32_e32 v22, 16, v16
	global_load_ushort v16, v[108:109], off
	v_accvgpr_read_b32 v109, a71
	v_accvgpr_read_b32 v108, a70
	v_lshl_add_u64 v[108:109], v[108:109], 0, v[38:39]
	s_waitcnt vmcnt(0)
	v_lshlrev_b32_e32 v23, 16, v16
	global_load_ushort v16, v[108:109], off
	v_lshl_add_u64 v[108:109], v[166:167], 0, v[38:39]
	global_load_ushort v107, v[108:109], off
	ds_bpermute_b32 v109, v106, v3
	ds_bpermute_b32 v108, v106, v17
	s_waitcnt lgkmcnt(1)
	v_sub_f32_e32 v43, v43, v109
	ds_bpermute_b32 v109, v106, v3 offset:4
	v_mul_f32_e32 v43, v43, v42
	s_waitcnt lgkmcnt(1)
	v_mul_f32_e32 v43, v43, v108
	ds_bpermute_b32 v108, v106, v17 offset:4
	v_pk_add_f32 v[42:43], v[102:103], v[42:43]
	s_waitcnt lgkmcnt(1)
	v_sub_f32_e32 v89, v89, v109
	ds_bpermute_b32 v109, v106, v3 offset:8
	v_mul_f32_e32 v89, v89, v88
	s_waitcnt lgkmcnt(1)
	v_mul_f32_e32 v89, v89, v108
	ds_bpermute_b32 v108, v106, v17 offset:8
	v_pk_add_f32 v[42:43], v[42:43], v[88:89]
	;; [unrolled: 8-line block ×10, first 2 shown]
	s_waitcnt lgkmcnt(1)
	v_sub_f32_e32 v37, v37, v109
	v_mul_f32_e32 v37, v37, v36
	s_waitcnt lgkmcnt(0)
	v_mul_f32_e32 v37, v37, v108
	v_pk_add_f32 v[36:37], v[42:43], v[36:37]
	ds_bpermute_b32 v43, v106, v3 offset:44
	ds_bpermute_b32 v42, v106, v17 offset:44
	s_waitcnt lgkmcnt(1)
	v_sub_f32_e32 v25, v25, v43
	ds_bpermute_b32 v43, v106, v3 offset:48
	v_mul_f32_e32 v25, v25, v24
	s_waitcnt lgkmcnt(1)
	v_mul_f32_e32 v25, v25, v42
	ds_bpermute_b32 v42, v106, v17 offset:48
	v_pk_add_f32 v[24:25], v[36:37], v[24:25]
	s_waitcnt lgkmcnt(1)
	v_sub_f32_e32 v27, v27, v43
	ds_bpermute_b32 v43, v106, v3 offset:52
	v_mul_f32_e32 v27, v27, v26
	s_waitcnt lgkmcnt(1)
	v_mul_f32_e32 v27, v27, v42
	ds_bpermute_b32 v42, v106, v17 offset:52
	v_pk_add_f32 v[24:25], v[24:25], v[26:27]
	s_waitcnt lgkmcnt(1)
	v_sub_f32_e32 v29, v29, v43
	ds_bpermute_b32 v43, v106, v3 offset:56
	v_mul_f32_e32 v29, v29, v28
	s_waitcnt lgkmcnt(1)
	v_mul_f32_e32 v29, v29, v42
	ds_bpermute_b32 v42, v106, v17 offset:56
	ds_bpermute_b32 v27, v106, v3 offset:88
	s_waitcnt lgkmcnt(2)
	v_sub_f32_e32 v31, v31, v43
	ds_bpermute_b32 v43, v106, v3 offset:60
	v_mul_f32_e32 v31, v31, v30
	s_waitcnt lgkmcnt(2)
	v_mul_f32_e32 v31, v31, v42
	ds_bpermute_b32 v42, v106, v17 offset:60
	ds_bpermute_b32 v26, v106, v17 offset:88
	s_waitcnt lgkmcnt(2)
	v_sub_f32_e32 v33, v33, v43
	ds_bpermute_b32 v43, v106, v3 offset:64
	v_mul_f32_e32 v33, v33, v32
	s_waitcnt lgkmcnt(2)
	v_mul_f32_e32 v33, v33, v42
	ds_bpermute_b32 v42, v106, v17 offset:64
	v_sub_f32_e32 v5, v5, v27
	s_waitcnt lgkmcnt(1)
	v_sub_f32_e32 v35, v35, v43
	ds_bpermute_b32 v43, v106, v3 offset:68
	ds_bpermute_b32 v27, v106, v3 offset:92
	v_mul_f32_e32 v35, v35, v34
	v_mul_f32_e32 v5, v5, v4
	s_waitcnt lgkmcnt(2)
	v_mul_f32_e32 v35, v35, v42
	ds_bpermute_b32 v42, v106, v17 offset:68
	v_mul_f32_e32 v5, v5, v26
	ds_bpermute_b32 v26, v106, v17 offset:92
	s_waitcnt lgkmcnt(3)
	v_sub_f32_e32 v43, v83, v43
	s_waitcnt lgkmcnt(2)
	v_sub_f32_e32 v7, v7, v27
	ds_bpermute_b32 v27, v106, v3 offset:96
	v_mul_f32_e32 v43, v43, v82
	v_mul_f32_e32 v7, v7, v6
	s_waitcnt lgkmcnt(2)
	v_mul_f32_e32 v83, v43, v42
	ds_bpermute_b32 v43, v106, v3 offset:72
	s_waitcnt lgkmcnt(2)
	v_mul_f32_e32 v7, v7, v26
	ds_bpermute_b32 v26, v106, v17 offset:96
	ds_bpermute_b32 v42, v106, v17 offset:72
	s_waitcnt lgkmcnt(3)
	v_sub_f32_e32 v9, v9, v27
	ds_bpermute_b32 v27, v106, v3 offset:100
	v_mul_f32_e32 v9, v9, v8
	s_waitcnt lgkmcnt(3)
	v_sub_f32_e32 v43, v169, v43
	s_waitcnt lgkmcnt(2)
	v_mul_f32_e32 v9, v9, v26
	ds_bpermute_b32 v26, v106, v17 offset:100
	v_mul_f32_e32 v43, v43, v168
	s_waitcnt lgkmcnt(2)
	v_mul_f32_e32 v169, v43, v42
	ds_bpermute_b32 v43, v106, v3 offset:76
	s_waitcnt lgkmcnt(2)
	v_sub_f32_e32 v11, v11, v27
	ds_bpermute_b32 v27, v106, v3 offset:104
	ds_bpermute_b32 v42, v106, v17 offset:76
	v_mul_f32_e32 v11, v11, v10
	s_waitcnt lgkmcnt(3)
	v_mul_f32_e32 v11, v11, v26
	ds_bpermute_b32 v26, v106, v17 offset:104
	s_waitcnt lgkmcnt(3)
	v_sub_f32_e32 v43, v85, v43
	v_mul_f32_e32 v43, v43, v84
	s_waitcnt lgkmcnt(2)
	v_sub_f32_e32 v13, v13, v27
	ds_bpermute_b32 v27, v106, v3 offset:108
	s_waitcnt lgkmcnt(2)
	v_mul_f32_e32 v85, v43, v42
	ds_bpermute_b32 v43, v106, v3 offset:80
	v_mul_f32_e32 v13, v13, v12
	s_waitcnt lgkmcnt(2)
	v_mul_f32_e32 v13, v13, v26
	ds_bpermute_b32 v26, v106, v17 offset:108
	ds_bpermute_b32 v42, v106, v17 offset:80
	s_waitcnt lgkmcnt(3)
	v_sub_f32_e32 v15, v15, v27
	ds_bpermute_b32 v27, v106, v3 offset:112
	s_waitcnt lgkmcnt(3)
	v_sub_f32_e32 v41, v41, v43
	ds_bpermute_b32 v43, v106, v3 offset:84
	v_pk_add_f32 v[24:25], v[24:25], v[28:29]
	v_mul_f32_e32 v15, v15, v14
	v_mul_f32_e32 v41, v41, v40
	v_pk_add_f32 v[24:25], v[24:25], v[30:31]
	s_waitcnt lgkmcnt(3)
	v_mul_f32_e32 v15, v15, v26
	ds_bpermute_b32 v26, v106, v17 offset:112
	s_waitcnt lgkmcnt(3)
	v_mul_f32_e32 v41, v41, v42
	ds_bpermute_b32 v42, v106, v17 offset:84
	v_pk_add_f32 v[24:25], v[24:25], v[32:33]
	s_waitcnt lgkmcnt(3)
	v_sub_f32_e32 v19, v19, v27
	v_pk_add_f32 v[24:25], v[24:25], v[34:35]
	ds_bpermute_b32 v27, v106, v3 offset:116
	v_pk_add_f32 v[24:25], v[24:25], v[82:83]
	s_waitcnt lgkmcnt(3)
	v_sub_f32_e32 v43, v87, v43
	v_pk_add_f32 v[24:25], v[24:25], v[168:169]
	v_mul_f32_e32 v19, v19, v18
	v_mul_f32_e32 v43, v43, v86
	v_pk_add_f32 v[24:25], v[24:25], v[84:85]
	s_waitcnt lgkmcnt(2)
	v_mul_f32_e32 v19, v19, v26
	ds_bpermute_b32 v26, v106, v17 offset:116
	s_waitcnt lgkmcnt(2)
	v_mul_f32_e32 v87, v43, v42
	v_pk_add_f32 v[24:25], v[24:25], v[40:41]
	s_waitcnt lgkmcnt(1)
	v_sub_f32_e32 v21, v21, v27
	v_pk_add_f32 v[24:25], v[24:25], v[86:87]
	ds_bpermute_b32 v27, v106, v3 offset:120
	v_pk_add_f32 v[4:5], v[24:25], v[4:5]
	v_mul_f32_e32 v21, v21, v20
	v_pk_add_f32 v[4:5], v[4:5], v[6:7]
	ds_bpermute_b32 v3, v106, v3 offset:124
	s_waitcnt lgkmcnt(2)
	v_mul_f32_e32 v21, v21, v26
	ds_bpermute_b32 v26, v106, v17 offset:120
	v_pk_add_f32 v[4:5], v[4:5], v[8:9]
	ds_bpermute_b32 v6, v106, v17 offset:124
	v_pk_add_f32 v[4:5], v[4:5], v[10:11]
	s_waitcnt vmcnt(0)
	v_lshlrev_b32_e32 v107, 16, v107
	v_pk_add_f32 v[4:5], v[4:5], v[12:13]
	s_waitcnt lgkmcnt(3)
	v_sub_f32_e32 v23, v23, v27
	v_pk_add_f32 v[4:5], v[4:5], v[14:15]
	v_lshlrev_b32_e32 v16, 16, v16
	v_mul_f32_e32 v23, v23, v22
	v_pk_add_f32 v[4:5], v[4:5], v[18:19]
	s_waitcnt lgkmcnt(2)
	v_sub_f32_e32 v3, v107, v3
	s_waitcnt lgkmcnt(1)
	v_mul_f32_e32 v23, v23, v26
	v_pk_add_f32 v[4:5], v[4:5], v[20:21]
	v_mul_f32_e32 v3, v3, v16
	v_pk_add_f32 v[4:5], v[4:5], v[22:23]
	s_waitcnt lgkmcnt(0)
	v_mul_f32_e32 v17, v3, v6
	v_pk_add_f32 v[168:169], v[4:5], v[16:17]
.LBB107_151:                            ;   in Loop: Header=BB107_152 Depth=1
	s_add_u32 s16, s16, s4
	s_addc_u32 s17, s17, 0
	v_mov_b64_e32 v[4:5], s[12:13]
	v_cmp_ge_i64_e32 vcc, s[16:17], v[4:5]
	v_accvgpr_read_b32 v4, a6
	v_accvgpr_read_b32 v5, a7
	v_lshl_add_u64 v[4:5], v[4:5], 0, s[24:25]
	v_accvgpr_write_b32 a7, v5
	v_accvgpr_write_b32 a6, v4
	v_accvgpr_read_b32 v4, a8
	v_accvgpr_read_b32 v5, a9
	v_lshl_add_u64 v[4:5], v[4:5], 0, s[24:25]
	v_accvgpr_write_b32 a9, v5
	v_accvgpr_write_b32 a8, v4
	;; [unrolled: 5-line block ×40, first 2 shown]
	v_accvgpr_read_b32 v4, a86
	v_accvgpr_read_b32 v5, a87
	;; [unrolled: 1-line block ×3, first 2 shown]
	v_lshl_add_u64 v[4:5], v[4:5], 0, s[24:25]
	v_accvgpr_read_b32 v104, a4
	v_accvgpr_write_b32 a87, v5
	s_add_u32 s26, s26, s4
	v_lshl_add_u64 v[104:105], v[104:105], 0, s[4:5]
	v_accvgpr_write_b32 a86, v4
	v_lshl_add_u64 v[122:123], v[122:123], 0, s[24:25]
	v_lshl_add_u64 v[124:125], v[124:125], 0, s[24:25]
	;; [unrolled: 1-line block ×85, first 2 shown]
	s_addc_u32 s27, 0, s27
	v_mov_b32_e32 v102, v168
	v_mov_b32_e32 v103, v169
	s_cbranch_vccnz .LBB107_227
.LBB107_152:                            ; =>This Inner Loop Header: Depth=1
	s_add_u32 s18, s10, s26
	s_addc_u32 s19, 0, s27
	v_mov_b64_e32 v[4:5], s[12:13]
	v_cmp_ge_i64_e32 vcc, s[18:19], v[4:5]
	v_accvgpr_write_b32 a4, v104
	v_accvgpr_write_b32 a5, v105
	v_lshl_add_u64 v[82:83], s[10:11], 0, v[104:105]
	s_mov_b64 s[18:19], -1
                                        ; implicit-def: $vgpr168_vgpr169
	s_cbranch_vccz .LBB107_222
; %bb.153:                              ;   in Loop: Header=BB107_152 Depth=1
	s_load_dword s3, s[6:7], 0xc
	v_accvgpr_read_b32 v3, a1
	v_accvgpr_read_b32 v4, a2
	v_mov_b32_e32 v36, 0
	v_mov_b32_e32 v43, 0
	s_waitcnt lgkmcnt(0)
	s_and_b32 s3, s3, 0xffff
	v_mad_u32_u24 v3, v4, s3, v3
	v_and_b32_e32 v4, 63, v3
	v_cmp_gt_u32_e32 vcc, 32, v4
	v_mov_b32_e32 v42, 0
	s_and_saveexec_b64 s[18:19], vcc
	s_cbranch_execz .LBB107_157
; %bb.154:                              ;   in Loop: Header=BB107_152 Depth=1
	v_mov_b32_e32 v5, v2
	v_lshl_add_u64 v[4:5], v[82:83], 0, v[4:5]
	v_cmp_gt_i64_e32 vcc, s[12:13], v[4:5]
	v_mov_b32_e32 v42, 0
	v_mov_b32_e32 v43, 0
	s_and_saveexec_b64 s[28:29], vcc
	s_cbranch_execz .LBB107_156
; %bb.155:                              ;   in Loop: Header=BB107_152 Depth=1
	v_lshlrev_b64 v[4:5], 2, v[4:5]
	v_lshl_add_u64 v[6:7], s[22:23], 0, v[4:5]
	v_lshl_add_u64 v[4:5], s[20:21], 0, v[4:5]
	global_load_dword v42, v[4:5], off
	global_load_dword v43, v[6:7], off
.LBB107_156:                            ;   in Loop: Header=BB107_152 Depth=1
	s_or_b64 exec, exec, s[28:29]
.LBB107_157:                            ;   in Loop: Header=BB107_152 Depth=1
	s_or_b64 exec, exec, s[18:19]
	v_mov_b32_e32 v4, v2
	v_mov_b32_e32 v5, v2
	;; [unrolled: 1-line block ×31, first 2 shown]
	v_mov_b64_e32 v[34:35], v[32:33]
	v_cmp_gt_i64_e32 vcc, s[12:13], v[82:83]
	v_mov_b64_e32 v[32:33], v[30:31]
	v_mov_b64_e32 v[30:31], v[28:29]
	;; [unrolled: 1-line block ×15, first 2 shown]
	s_and_saveexec_b64 s[18:19], vcc
	s_cbranch_execz .LBB107_159
; %bb.158:                              ;   in Loop: Header=BB107_152 Depth=1
	v_accvgpr_read_b32 v4, a6
	v_accvgpr_read_b32 v5, a7
	v_lshl_add_u64 v[4:5], v[4:5], 0, v[38:39]
	global_load_ushort v3, v[4:5], off
	v_accvgpr_read_b32 v4, a8
	v_accvgpr_read_b32 v5, a9
	v_lshl_add_u64 v[4:5], v[4:5], 0, v[38:39]
	global_load_ushort v36, v[4:5], off
	v_mov_b32_e32 v5, v2
	v_mov_b32_e32 v6, v2
	;; [unrolled: 1-line block ×31, first 2 shown]
	s_waitcnt vmcnt(1)
	v_lshlrev_b32_e32 v4, 16, v3
	s_waitcnt vmcnt(0)
	v_lshlrev_b32_e32 v36, 16, v36
.LBB107_159:                            ;   in Loop: Header=BB107_152 Depth=1
	s_or_b64 exec, exec, s[18:19]
	v_lshl_add_u64 v[40:41], v[82:83], 0, 1
	v_cmp_gt_i64_e32 vcc, s[12:13], v[40:41]
	v_mov_b32_e32 v168, 0
	v_mov_b32_e32 v41, 0
	s_and_saveexec_b64 s[18:19], vcc
	s_cbranch_execz .LBB107_161
; %bb.160:                              ;   in Loop: Header=BB107_152 Depth=1
	v_lshl_add_u64 v[40:41], v[74:75], 0, v[38:39]
	global_load_ushort v3, v[40:41], off
	v_lshl_add_u64 v[40:41], v[76:77], 0, v[38:39]
	global_load_ushort v37, v[40:41], off
	s_waitcnt vmcnt(1)
	v_lshlrev_b32_e32 v5, 16, v3
	s_waitcnt vmcnt(0)
	v_lshlrev_b32_e32 v41, 16, v37
.LBB107_161:                            ;   in Loop: Header=BB107_152 Depth=1
	s_or_b64 exec, exec, s[18:19]
	v_lshl_add_u64 v[78:79], v[82:83], 0, 2
	v_cmp_gt_i64_e32 vcc, s[12:13], v[78:79]
	s_and_saveexec_b64 s[18:19], vcc
	s_cbranch_execz .LBB107_163
; %bb.162:                              ;   in Loop: Header=BB107_152 Depth=1
	v_lshl_add_u64 v[78:79], v[70:71], 0, v[38:39]
	global_load_ushort v3, v[78:79], off
	v_lshl_add_u64 v[78:79], v[72:73], 0, v[38:39]
	global_load_ushort v37, v[78:79], off
	s_waitcnt vmcnt(1)
	v_lshlrev_b32_e32 v6, 16, v3
	s_waitcnt vmcnt(0)
	v_lshlrev_b32_e32 v168, 16, v37
.LBB107_163:                            ;   in Loop: Header=BB107_152 Depth=1
	s_or_b64 exec, exec, s[18:19]
	v_lshl_add_u64 v[78:79], v[82:83], 0, 3
	v_cmp_gt_i64_e32 vcc, s[12:13], v[78:79]
	v_mov_b32_e32 v107, 0
	v_mov_b32_e32 v110, 0
	s_and_saveexec_b64 s[18:19], vcc
	s_cbranch_execz .LBB107_165
; %bb.164:                              ;   in Loop: Header=BB107_152 Depth=1
	v_lshl_add_u64 v[78:79], v[66:67], 0, v[38:39]
	global_load_ushort v3, v[78:79], off
	v_lshl_add_u64 v[78:79], v[68:69], 0, v[38:39]
	global_load_ushort v37, v[78:79], off
	s_waitcnt vmcnt(1)
	v_lshlrev_b32_e32 v7, 16, v3
	s_waitcnt vmcnt(0)
	v_lshlrev_b32_e32 v110, 16, v37
.LBB107_165:                            ;   in Loop: Header=BB107_152 Depth=1
	s_or_b64 exec, exec, s[18:19]
	v_lshl_add_u64 v[78:79], v[82:83], 0, 4
	v_cmp_gt_i64_e32 vcc, s[12:13], v[78:79]
	s_and_saveexec_b64 s[18:19], vcc
	s_cbranch_execz .LBB107_167
; %bb.166:                              ;   in Loop: Header=BB107_152 Depth=1
	v_lshl_add_u64 v[78:79], v[62:63], 0, v[38:39]
	global_load_ushort v3, v[78:79], off
	v_lshl_add_u64 v[78:79], v[64:65], 0, v[38:39]
	global_load_ushort v37, v[78:79], off
	s_waitcnt vmcnt(1)
	v_lshlrev_b32_e32 v8, 16, v3
	s_waitcnt vmcnt(0)
	v_lshlrev_b32_e32 v107, 16, v37
.LBB107_167:                            ;   in Loop: Header=BB107_152 Depth=1
	;; [unrolled: 32-line block ×15, first 2 shown]
	s_or_b64 exec, exec, s[18:19]
	v_lshl_add_u64 v[112:113], v[82:83], 0, 31
	v_cmp_gt_i64_e32 vcc, s[12:13], v[112:113]
	v_mov_b32_e32 v3, 0
	s_and_saveexec_b64 s[18:19], vcc
	s_cbranch_execz .LBB107_221
; %bb.220:                              ;   in Loop: Header=BB107_152 Depth=1
	v_lshl_add_u64 v[112:113], v[80:81], 0, v[38:39]
	global_load_ushort v3, v[112:113], off
	v_lshl_add_u64 v[112:113], v[170:171], 0, v[38:39]
	global_load_ushort v37, v[112:113], off
	s_waitcnt vmcnt(1)
	v_lshlrev_b32_e32 v35, 16, v3
	s_waitcnt vmcnt(0)
	v_lshlrev_b32_e32 v3, 16, v37
.LBB107_221:                            ;   in Loop: Header=BB107_152 Depth=1
	s_or_b64 exec, exec, s[18:19]
	s_waitcnt vmcnt(1)
	ds_bpermute_b32 v111, v106, v42
	s_waitcnt vmcnt(0)
	ds_bpermute_b32 v37, v106, v43
	ds_bpermute_b32 v112, v106, v42 offset:12
	v_mov_b32_e32 v114, v8
	v_mov_b32_e32 v116, v11
	s_waitcnt lgkmcnt(2)
	v_sub_f32_e32 v36, v36, v111
	ds_bpermute_b32 v111, v106, v42 offset:4
	v_mul_f32_e32 v36, v4, v36
	s_waitcnt lgkmcnt(2)
	v_mul_f32_e32 v37, v36, v37
	ds_bpermute_b32 v36, v106, v43 offset:4
	s_waitcnt lgkmcnt(2)
	v_sub_f32_e32 v110, v110, v112
	s_waitcnt lgkmcnt(1)
	v_sub_f32_e32 v41, v41, v111
	ds_bpermute_b32 v111, v106, v42 offset:8
	v_mul_f32_e32 v41, v5, v41
	s_waitcnt lgkmcnt(1)
	v_mul_f32_e32 v41, v41, v36
	ds_bpermute_b32 v36, v106, v43 offset:8
	v_mul_f32_e32 v110, v7, v110
	s_waitcnt lgkmcnt(1)
	v_sub_f32_e32 v111, v168, v111
	v_mul_f32_e32 v111, v6, v111
	v_mov_b32_e32 v112, v7
	s_waitcnt lgkmcnt(0)
	v_mul_f32_e32 v111, v111, v36
	ds_bpermute_b32 v36, v106, v43 offset:12
	ds_bpermute_b32 v7, v106, v42 offset:44
	v_mov_b32_e32 v168, v13
	v_mov_b32_e32 v118, v12
	;; [unrolled: 1-line block ×3, first 2 shown]
	s_waitcnt lgkmcnt(1)
	v_mul_f32_e32 v113, v110, v36
	ds_bpermute_b32 v110, v106, v42 offset:16
	ds_bpermute_b32 v36, v106, v43 offset:16
	s_waitcnt lgkmcnt(2)
	v_sub_f32_e32 v7, v101, v7
	v_mul_f32_e32 v7, v15, v7
	s_mov_b64 s[18:19], 0
	s_waitcnt lgkmcnt(1)
	v_sub_f32_e32 v107, v107, v110
	v_mul_f32_e32 v107, v8, v107
	s_waitcnt lgkmcnt(0)
	v_mul_f32_e32 v115, v107, v36
	ds_bpermute_b32 v107, v106, v42 offset:20
	ds_bpermute_b32 v36, v106, v43 offset:20
	v_mov_b32_e32 v110, v6
	ds_bpermute_b32 v6, v106, v43 offset:44
	ds_bpermute_b32 v8, v106, v42 offset:48
	s_waitcnt lgkmcnt(3)
	v_sub_f32_e32 v107, v109, v107
	v_mul_f32_e32 v107, v9, v107
	s_waitcnt lgkmcnt(2)
	v_mul_f32_e32 v109, v107, v36
	ds_bpermute_b32 v107, v106, v42 offset:24
	ds_bpermute_b32 v36, v106, v43 offset:24
	s_waitcnt lgkmcnt(3)
	v_mul_f32_e32 v7, v7, v6
	ds_bpermute_b32 v6, v106, v43 offset:48
	s_waitcnt lgkmcnt(3)
	v_sub_f32_e32 v8, v95, v8
	s_waitcnt lgkmcnt(2)
	v_sub_f32_e32 v105, v105, v107
	ds_bpermute_b32 v107, v106, v42 offset:28
	v_mul_f32_e32 v105, v10, v105
	s_waitcnt lgkmcnt(2)
	v_mul_f32_e32 v105, v105, v36
	ds_bpermute_b32 v36, v106, v43 offset:28
	v_mul_f32_e32 v8, v16, v8
	s_waitcnt lgkmcnt(1)
	v_sub_f32_e32 v107, v108, v107
	v_mul_f32_e32 v107, v11, v107
	v_mov_b32_e32 v108, v9
	s_waitcnt lgkmcnt(0)
	v_mul_f32_e32 v117, v107, v36
	ds_bpermute_b32 v107, v106, v42 offset:32
	ds_bpermute_b32 v36, v106, v43 offset:32
	v_mul_f32_e32 v9, v8, v6
	ds_bpermute_b32 v8, v106, v42 offset:52
	ds_bpermute_b32 v6, v106, v43 offset:52
	s_waitcnt lgkmcnt(3)
	v_sub_f32_e32 v104, v104, v107
	v_mul_f32_e32 v104, v12, v104
	s_waitcnt lgkmcnt(2)
	v_mul_f32_e32 v119, v104, v36
	ds_bpermute_b32 v104, v106, v42 offset:36
	s_waitcnt lgkmcnt(2)
	v_sub_f32_e32 v8, v100, v8
	v_mul_f32_e32 v8, v17, v8
	ds_bpermute_b32 v36, v106, v43 offset:36
	s_waitcnt lgkmcnt(2)
	v_mul_f32_e32 v11, v8, v6
	ds_bpermute_b32 v8, v106, v42 offset:56
	ds_bpermute_b32 v6, v106, v43 offset:56
	s_waitcnt lgkmcnt(3)
	v_sub_f32_e32 v104, v169, v104
	v_mul_f32_e32 v104, v13, v104
	s_waitcnt lgkmcnt(2)
	v_mul_f32_e32 v169, v104, v36
	ds_bpermute_b32 v104, v106, v42 offset:40
	s_waitcnt lgkmcnt(2)
	v_sub_f32_e32 v8, v94, v8
	v_mul_f32_e32 v8, v18, v8
	ds_bpermute_b32 v36, v106, v43 offset:40
	s_waitcnt lgkmcnt(2)
	v_mul_f32_e32 v13, v8, v6
	ds_bpermute_b32 v8, v106, v42 offset:60
	ds_bpermute_b32 v6, v106, v43 offset:60
	s_waitcnt lgkmcnt(3)
	v_sub_f32_e32 v40, v40, v104
	v_mul_f32_e32 v40, v14, v40
	s_waitcnt lgkmcnt(2)
	v_mul_f32_e32 v121, v40, v36
	v_mov_b32_e32 v36, v4
	s_waitcnt lgkmcnt(1)
	v_sub_f32_e32 v8, v99, v8
	v_pk_add_f32 v[36:37], v[102:103], v[36:37]
	v_mov_b32_e32 v40, v5
	v_mul_f32_e32 v8, v19, v8
	v_pk_add_f32 v[4:5], v[40:41], v[36:37]
	s_waitcnt lgkmcnt(0)
	v_mul_f32_e32 v37, v8, v6
	ds_bpermute_b32 v8, v106, v42 offset:64
	ds_bpermute_b32 v6, v106, v43 offset:64
	v_pk_add_f32 v[4:5], v[110:111], v[4:5]
	v_mov_b32_e32 v104, v10
	v_pk_add_f32 v[4:5], v[112:113], v[4:5]
	s_waitcnt lgkmcnt(1)
	v_sub_f32_e32 v8, v93, v8
	v_mul_f32_e32 v8, v20, v8
	s_waitcnt lgkmcnt(0)
	v_mul_f32_e32 v41, v8, v6
	ds_bpermute_b32 v8, v106, v42 offset:68
	ds_bpermute_b32 v6, v106, v43 offset:68
	v_pk_add_f32 v[4:5], v[114:115], v[4:5]
	v_mov_b32_e32 v10, v17
	v_pk_add_f32 v[4:5], v[108:109], v[4:5]
	s_waitcnt lgkmcnt(1)
	v_sub_f32_e32 v8, v98, v8
	v_mul_f32_e32 v8, v21, v8
	;; [unrolled: 10-line block ×4, first 2 shown]
	s_waitcnt lgkmcnt(0)
	v_mul_f32_e32 v97, v8, v6
	ds_bpermute_b32 v8, v106, v42 offset:80
	ds_bpermute_b32 v6, v106, v43 offset:80
	v_pk_add_f32 v[4:5], v[120:121], v[4:5]
	v_mov_b32_e32 v92, v21
	v_mov_b32_e32 v40, v20
	s_waitcnt lgkmcnt(1)
	v_sub_f32_e32 v8, v91, v8
	v_mul_f32_e32 v8, v24, v8
	s_waitcnt lgkmcnt(0)
	v_mul_f32_e32 v99, v8, v6
	ds_bpermute_b32 v8, v106, v42 offset:84
	ds_bpermute_b32 v6, v106, v43 offset:84
	v_mov_b32_e32 v94, v22
	v_mov_b32_e32 v98, v24
	;; [unrolled: 1-line block ×3, first 2 shown]
	s_waitcnt lgkmcnt(1)
	v_sub_f32_e32 v8, v96, v8
	v_mul_f32_e32 v8, v25, v8
	s_waitcnt lgkmcnt(0)
	v_mul_f32_e32 v101, v8, v6
	v_mov_b32_e32 v6, v15
	v_pk_add_f32 v[4:5], v[6:7], v[4:5]
	ds_bpermute_b32 v7, v106, v42 offset:88
	ds_bpermute_b32 v6, v106, v43 offset:88
	v_mov_b32_e32 v8, v16
	v_pk_add_f32 v[4:5], v[8:9], v[4:5]
	ds_bpermute_b32 v8, v106, v42 offset:92
	s_waitcnt lgkmcnt(2)
	v_sub_f32_e32 v7, v86, v7
	v_mul_f32_e32 v7, v26, v7
	s_waitcnt lgkmcnt(1)
	v_mul_f32_e32 v7, v7, v6
	ds_bpermute_b32 v6, v106, v43 offset:92
	s_waitcnt lgkmcnt(1)
	v_sub_f32_e32 v8, v90, v8
	v_mul_f32_e32 v8, v27, v8
	v_pk_add_f32 v[4:5], v[10:11], v[4:5]
	v_mov_b32_e32 v96, v23
	s_waitcnt lgkmcnt(0)
	v_mul_f32_e32 v9, v8, v6
	ds_bpermute_b32 v8, v106, v42 offset:96
	ds_bpermute_b32 v6, v106, v43 offset:96
	v_pk_add_f32 v[4:5], v[12:13], v[4:5]
	v_mov_b32_e32 v10, v28
	v_pk_add_f32 v[4:5], v[36:37], v[4:5]
	s_waitcnt lgkmcnt(1)
	v_sub_f32_e32 v8, v85, v8
	v_mul_f32_e32 v8, v28, v8
	s_waitcnt lgkmcnt(0)
	v_mul_f32_e32 v11, v8, v6
	ds_bpermute_b32 v8, v106, v42 offset:100
	ds_bpermute_b32 v6, v106, v43 offset:100
	v_pk_add_f32 v[4:5], v[40:41], v[4:5]
	v_mov_b32_e32 v12, v29
	v_pk_add_f32 v[4:5], v[92:93], v[4:5]
	s_waitcnt lgkmcnt(1)
	v_sub_f32_e32 v8, v89, v8
	v_mul_f32_e32 v8, v29, v8
	;; [unrolled: 10-line block ×4, first 2 shown]
	s_waitcnt lgkmcnt(0)
	v_mul_f32_e32 v17, v8, v6
	ds_bpermute_b32 v8, v106, v42 offset:112
	ds_bpermute_b32 v6, v106, v43 offset:112
	v_mov_b32_e32 v18, v32
	v_mov_b32_e32 v20, v33
	;; [unrolled: 1-line block ×3, first 2 shown]
	s_waitcnt lgkmcnt(1)
	v_sub_f32_e32 v8, v79, v8
	v_mul_f32_e32 v8, v32, v8
	s_waitcnt lgkmcnt(0)
	v_mul_f32_e32 v19, v8, v6
	ds_bpermute_b32 v8, v106, v42 offset:116
	ds_bpermute_b32 v6, v106, v43 offset:116
	s_waitcnt lgkmcnt(1)
	v_sub_f32_e32 v8, v87, v8
	v_mul_f32_e32 v8, v33, v8
	s_waitcnt lgkmcnt(0)
	v_mul_f32_e32 v21, v8, v6
	ds_bpermute_b32 v8, v106, v42 offset:120
	ds_bpermute_b32 v6, v106, v43 offset:120
	s_waitcnt lgkmcnt(1)
	v_sub_f32_e32 v8, v78, v8
	v_mul_f32_e32 v8, v34, v8
	s_waitcnt lgkmcnt(0)
	v_mul_f32_e32 v23, v8, v6
	v_mov_b32_e32 v6, v26
	v_pk_add_f32 v[4:5], v[6:7], v[4:5]
	v_mov_b32_e32 v8, v27
	v_pk_add_f32 v[4:5], v[8:9], v[4:5]
	ds_bpermute_b32 v7, v106, v42 offset:124
	v_pk_add_f32 v[4:5], v[10:11], v[4:5]
	ds_bpermute_b32 v6, v106, v43 offset:124
	v_pk_add_f32 v[4:5], v[12:13], v[4:5]
	s_waitcnt lgkmcnt(1)
	v_sub_f32_e32 v3, v3, v7
	v_pk_add_f32 v[4:5], v[14:15], v[4:5]
	v_mul_f32_e32 v3, v35, v3
	v_pk_add_f32 v[4:5], v[16:17], v[4:5]
	s_waitcnt lgkmcnt(0)
	v_mul_f32_e32 v7, v3, v6
	v_pk_add_f32 v[4:5], v[18:19], v[4:5]
	v_mov_b32_e32 v6, v35
	v_pk_add_f32 v[4:5], v[20:21], v[4:5]
	s_nop 0
	v_pk_add_f32 v[4:5], v[22:23], v[4:5]
	s_nop 0
	v_pk_add_f32 v[168:169], v[6:7], v[4:5]
.LBB107_222:                            ;   in Loop: Header=BB107_152 Depth=1
	s_and_b64 vcc, exec, s[18:19]
	s_cbranch_vccz .LBB107_151
; %bb.223:                              ;   in Loop: Header=BB107_152 Depth=1
	s_load_dword s3, s[6:7], 0x0
	v_accvgpr_read_b32 v4, a1
	v_accvgpr_read_b32 v5, a2
	v_mov_b32_e32 v17, 0
	s_waitcnt lgkmcnt(0)
	s_cmp_lt_u32 s2, s3
	s_cselect_b32 s3, 12, 18
	s_add_u32 s18, s6, s3
	s_addc_u32 s19, s7, 0
	global_load_ushort v3, v2, s[18:19]
	s_waitcnt vmcnt(0)
	v_mad_u32_u24 v3, v5, v3, v4
	v_and_b32_e32 v4, 63, v3
	v_cmp_gt_u32_e32 vcc, 32, v4
	v_mov_b32_e32 v3, 0
	s_and_saveexec_b64 s[18:19], vcc
	s_cbranch_execz .LBB107_150
; %bb.224:                              ;   in Loop: Header=BB107_152 Depth=1
	v_mov_b32_e32 v5, v2
	v_lshl_add_u64 v[4:5], v[82:83], 0, v[4:5]
	v_cmp_gt_i64_e32 vcc, s[12:13], v[4:5]
	v_mov_b32_e32 v3, 0
	v_mov_b32_e32 v17, 0
	s_and_saveexec_b64 s[28:29], vcc
	s_cbranch_execz .LBB107_149
; %bb.225:                              ;   in Loop: Header=BB107_152 Depth=1
	v_lshlrev_b64 v[4:5], 2, v[4:5]
	v_lshl_add_u64 v[6:7], s[22:23], 0, v[4:5]
	v_lshl_add_u64 v[4:5], s[20:21], 0, v[4:5]
	global_load_dword v3, v[4:5], off
	global_load_dword v17, v[6:7], off
	s_branch .LBB107_149
.LBB107_226:
	v_mov_b32_e32 v168, 0
	v_mov_b32_e32 v169, v168
	s_branch .LBB107_228
.LBB107_227:
	v_accvgpr_read_b32 v0, a0
.LBB107_228:
	s_mov_b32 s3, 0
	s_lshl_b64 s[2:3], s[2:3], 5
	v_and_b32_e32 v1, 0x3ff, v0
	v_or_b32_e32 v8, s2, v1
	v_mov_b32_e32 v9, s3
	v_cmp_gt_i64_e32 vcc, s[14:15], v[8:9]
	s_and_saveexec_b64 s[2:3], vcc
	s_cbranch_execz .LBB107_233
; %bb.229:
	s_load_dword s2, s[0:1], 0x4c
	s_load_dwordx4 s[4:7], s[0:1], 0x30
	v_bfe_u32 v2, v0, 10, 10
	v_mov_b32_e32 v3, 0
	v_mov_b32_e32 v4, s8
	s_waitcnt lgkmcnt(0)
	s_lshr_b32 s0, s2, 16
	v_mad_u64_u32 v[2:3], s[0:1], s0, v4, v[2:3]
	s_cmp_eq_u64 s[4:5], 0
	v_mul_lo_u32 v3, v3, s14
	v_mul_lo_u32 v4, v2, s15
	s_cbranch_scc1 .LBB107_231
; %bb.230:
	v_bfe_u32 v5, v169, 16, 1
	s_movk_i32 s0, 0x7fff
	v_add3_u32 v5, v169, v5, s0
	v_cmp_o_f32_e32 vcc, v169, v169
	v_mov_b32_e32 v6, 0x7fc0
	s_nop 0
	v_cndmask_b32_sdwa v5, v6, v5, vcc dst_sel:DWORD dst_unused:UNUSED_PAD src0_sel:DWORD src1_sel:WORD_1
	v_mad_u64_u32 v[6:7], s[0:1], v2, s14, 0
	v_add3_u32 v7, v7, v4, v3
	v_lshl_add_u64 v[6:7], v[6:7], 1, s[4:5]
	v_lshl_add_u64 v[6:7], v[8:9], 1, v[6:7]
	global_store_short v[6:7], v5, off
.LBB107_231:
	s_cmp_eq_u64 s[6:7], 0
	s_cbranch_scc1 .LBB107_233
; %bb.232:
	v_bfe_u32 v5, v168, 16, 1
	s_movk_i32 s0, 0x7fff
	v_add3_u32 v5, v168, v5, s0
	v_cmp_o_f32_e32 vcc, v168, v168
	v_mov_b32_e32 v6, 0x7fc0
	s_nop 0
	v_cndmask_b32_sdwa v5, v6, v5, vcc dst_sel:DWORD dst_unused:UNUSED_PAD src0_sel:DWORD src1_sel:WORD_1
	v_mad_u64_u32 v[6:7], s[0:1], v2, s14, 0
	v_add3_u32 v7, v7, v4, v3
	v_lshl_add_u64 v[2:3], v[6:7], 1, s[6:7]
	v_lshl_add_u64 v[0:1], v[8:9], 1, v[2:3]
	global_store_short v[0:1], v5, off
.LBB107_233:
	s_endpgm
	.section	.rodata,"a",@progbits
	.p2align	6, 0x0
	.amdhsa_kernel _ZN2at6native12_GLOBAL__N_135GammaBetaBackwardCUDAKernelTemplateIN3c108BFloat16EfLj32ELj1ELj32ELb1ELb0ELb0EEEvllPKT_S7_PKT0_SA_PS5_SB_
		.amdhsa_group_segment_fixed_size 0
		.amdhsa_private_segment_fixed_size 0
		.amdhsa_kernarg_size 320
		.amdhsa_user_sgpr_count 2
		.amdhsa_user_sgpr_dispatch_ptr 0
		.amdhsa_user_sgpr_queue_ptr 0
		.amdhsa_user_sgpr_kernarg_segment_ptr 1
		.amdhsa_user_sgpr_dispatch_id 0
		.amdhsa_user_sgpr_kernarg_preload_length 0
		.amdhsa_user_sgpr_kernarg_preload_offset 0
		.amdhsa_user_sgpr_private_segment_size 0
		.amdhsa_uses_dynamic_stack 0
		.amdhsa_enable_private_segment 0
		.amdhsa_system_sgpr_workgroup_id_x 1
		.amdhsa_system_sgpr_workgroup_id_y 1
		.amdhsa_system_sgpr_workgroup_id_z 0
		.amdhsa_system_sgpr_workgroup_info 0
		.amdhsa_system_vgpr_workitem_id 1
		.amdhsa_next_free_vgpr 344
		.amdhsa_next_free_sgpr 40
		.amdhsa_accum_offset 256
		.amdhsa_reserve_vcc 1
		.amdhsa_float_round_mode_32 0
		.amdhsa_float_round_mode_16_64 0
		.amdhsa_float_denorm_mode_32 3
		.amdhsa_float_denorm_mode_16_64 3
		.amdhsa_dx10_clamp 1
		.amdhsa_ieee_mode 1
		.amdhsa_fp16_overflow 0
		.amdhsa_tg_split 0
		.amdhsa_exception_fp_ieee_invalid_op 0
		.amdhsa_exception_fp_denorm_src 0
		.amdhsa_exception_fp_ieee_div_zero 0
		.amdhsa_exception_fp_ieee_overflow 0
		.amdhsa_exception_fp_ieee_underflow 0
		.amdhsa_exception_fp_ieee_inexact 0
		.amdhsa_exception_int_div_zero 0
	.end_amdhsa_kernel
	.section	.text._ZN2at6native12_GLOBAL__N_135GammaBetaBackwardCUDAKernelTemplateIN3c108BFloat16EfLj32ELj1ELj32ELb1ELb0ELb0EEEvllPKT_S7_PKT0_SA_PS5_SB_,"axG",@progbits,_ZN2at6native12_GLOBAL__N_135GammaBetaBackwardCUDAKernelTemplateIN3c108BFloat16EfLj32ELj1ELj32ELb1ELb0ELb0EEEvllPKT_S7_PKT0_SA_PS5_SB_,comdat
.Lfunc_end107:
	.size	_ZN2at6native12_GLOBAL__N_135GammaBetaBackwardCUDAKernelTemplateIN3c108BFloat16EfLj32ELj1ELj32ELb1ELb0ELb0EEEvllPKT_S7_PKT0_SA_PS5_SB_, .Lfunc_end107-_ZN2at6native12_GLOBAL__N_135GammaBetaBackwardCUDAKernelTemplateIN3c108BFloat16EfLj32ELj1ELj32ELb1ELb0ELb0EEEvllPKT_S7_PKT0_SA_PS5_SB_
                                        ; -- End function
	.set _ZN2at6native12_GLOBAL__N_135GammaBetaBackwardCUDAKernelTemplateIN3c108BFloat16EfLj32ELj1ELj32ELb1ELb0ELb0EEEvllPKT_S7_PKT0_SA_PS5_SB_.num_vgpr, 256
	.set _ZN2at6native12_GLOBAL__N_135GammaBetaBackwardCUDAKernelTemplateIN3c108BFloat16EfLj32ELj1ELj32ELb1ELb0ELb0EEEvllPKT_S7_PKT0_SA_PS5_SB_.num_agpr, 88
	.set _ZN2at6native12_GLOBAL__N_135GammaBetaBackwardCUDAKernelTemplateIN3c108BFloat16EfLj32ELj1ELj32ELb1ELb0ELb0EEEvllPKT_S7_PKT0_SA_PS5_SB_.numbered_sgpr, 40
	.set _ZN2at6native12_GLOBAL__N_135GammaBetaBackwardCUDAKernelTemplateIN3c108BFloat16EfLj32ELj1ELj32ELb1ELb0ELb0EEEvllPKT_S7_PKT0_SA_PS5_SB_.num_named_barrier, 0
	.set _ZN2at6native12_GLOBAL__N_135GammaBetaBackwardCUDAKernelTemplateIN3c108BFloat16EfLj32ELj1ELj32ELb1ELb0ELb0EEEvllPKT_S7_PKT0_SA_PS5_SB_.private_seg_size, 0
	.set _ZN2at6native12_GLOBAL__N_135GammaBetaBackwardCUDAKernelTemplateIN3c108BFloat16EfLj32ELj1ELj32ELb1ELb0ELb0EEEvllPKT_S7_PKT0_SA_PS5_SB_.uses_vcc, 1
	.set _ZN2at6native12_GLOBAL__N_135GammaBetaBackwardCUDAKernelTemplateIN3c108BFloat16EfLj32ELj1ELj32ELb1ELb0ELb0EEEvllPKT_S7_PKT0_SA_PS5_SB_.uses_flat_scratch, 0
	.set _ZN2at6native12_GLOBAL__N_135GammaBetaBackwardCUDAKernelTemplateIN3c108BFloat16EfLj32ELj1ELj32ELb1ELb0ELb0EEEvllPKT_S7_PKT0_SA_PS5_SB_.has_dyn_sized_stack, 0
	.set _ZN2at6native12_GLOBAL__N_135GammaBetaBackwardCUDAKernelTemplateIN3c108BFloat16EfLj32ELj1ELj32ELb1ELb0ELb0EEEvllPKT_S7_PKT0_SA_PS5_SB_.has_recursion, 0
	.set _ZN2at6native12_GLOBAL__N_135GammaBetaBackwardCUDAKernelTemplateIN3c108BFloat16EfLj32ELj1ELj32ELb1ELb0ELb0EEEvllPKT_S7_PKT0_SA_PS5_SB_.has_indirect_call, 0
	.section	.AMDGPU.csdata,"",@progbits
; Kernel info:
; codeLenInByte = 27064
; TotalNumSgprs: 46
; NumVgprs: 256
; NumAgprs: 88
; TotalNumVgprs: 344
; ScratchSize: 0
; MemoryBound: 0
; FloatMode: 240
; IeeeMode: 1
; LDSByteSize: 0 bytes/workgroup (compile time only)
; SGPRBlocks: 5
; VGPRBlocks: 42
; NumSGPRsForWavesPerEU: 46
; NumVGPRsForWavesPerEU: 344
; AccumOffset: 256
; Occupancy: 1
; WaveLimiterHint : 0
; COMPUTE_PGM_RSRC2:SCRATCH_EN: 0
; COMPUTE_PGM_RSRC2:USER_SGPR: 2
; COMPUTE_PGM_RSRC2:TRAP_HANDLER: 0
; COMPUTE_PGM_RSRC2:TGID_X_EN: 1
; COMPUTE_PGM_RSRC2:TGID_Y_EN: 1
; COMPUTE_PGM_RSRC2:TGID_Z_EN: 0
; COMPUTE_PGM_RSRC2:TIDIG_COMP_CNT: 1
; COMPUTE_PGM_RSRC3_GFX90A:ACCUM_OFFSET: 63
; COMPUTE_PGM_RSRC3_GFX90A:TG_SPLIT: 0
	.section	.text._ZN2at6native12_GLOBAL__N_135GammaBetaBackwardCUDAKernelTemplateIN3c108BFloat16EfLj32ELj1ELj8ELb1ELb1ELb0EEEvllPKT_S7_PKT0_SA_PS5_SB_,"axG",@progbits,_ZN2at6native12_GLOBAL__N_135GammaBetaBackwardCUDAKernelTemplateIN3c108BFloat16EfLj32ELj1ELj8ELb1ELb1ELb0EEEvllPKT_S7_PKT0_SA_PS5_SB_,comdat
	.globl	_ZN2at6native12_GLOBAL__N_135GammaBetaBackwardCUDAKernelTemplateIN3c108BFloat16EfLj32ELj1ELj8ELb1ELb1ELb0EEEvllPKT_S7_PKT0_SA_PS5_SB_ ; -- Begin function _ZN2at6native12_GLOBAL__N_135GammaBetaBackwardCUDAKernelTemplateIN3c108BFloat16EfLj32ELj1ELj8ELb1ELb1ELb0EEEvllPKT_S7_PKT0_SA_PS5_SB_
	.p2align	8
	.type	_ZN2at6native12_GLOBAL__N_135GammaBetaBackwardCUDAKernelTemplateIN3c108BFloat16EfLj32ELj1ELj8ELb1ELb1ELb0EEEvllPKT_S7_PKT0_SA_PS5_SB_,@function
_ZN2at6native12_GLOBAL__N_135GammaBetaBackwardCUDAKernelTemplateIN3c108BFloat16EfLj32ELj1ELj8ELb1ELb1ELb0EEEvllPKT_S7_PKT0_SA_PS5_SB_: ; @_ZN2at6native12_GLOBAL__N_135GammaBetaBackwardCUDAKernelTemplateIN3c108BFloat16EfLj32ELj1ELj8ELb1ELb1ELb0EEEvllPKT_S7_PKT0_SA_PS5_SB_
; %bb.0:
	s_load_dwordx4 s[16:19], s[0:1], 0x0
	s_lshl_b32 s6, s3, 3
	s_mov_b32 s7, 0
	v_mov_b64_e32 v[2:3], s[6:7]
	s_mov_b32 s4, s3
	s_waitcnt lgkmcnt(0)
	v_cmp_gt_i64_e32 vcc, s[16:17], v[2:3]
	v_bfe_u32 v1, v0, 10, 10
	s_cbranch_vccnz .LBB108_2
; %bb.1:
	s_add_u32 s24, s0, 64
	s_addc_u32 s25, s1, 0
	s_mov_b64 s[8:9], 0
	v_bfe_u32 v4, v0, 10, 10
	s_branch .LBB108_3
.LBB108_2:
	s_mov_b64 s[8:9], -1
                                        ; implicit-def: $sgpr24_sgpr25
                                        ; implicit-def: $vgpr4
.LBB108_3:
	s_load_dwordx4 s[20:23], s[0:1], 0x30
	v_mov_b32_e32 v3, 0
	v_and_b32_e32 v0, 0x3ff, v0
	s_andn2_b64 vcc, exec, s[8:9]
	v_mov_b32_e32 v2, v3
	s_cbranch_vccnz .LBB108_11
; %bb.4:
	s_load_dword s3, s[0:1], 0x4c
	s_load_dword s5, s[0:1], 0x44
	s_load_dwordx8 s[8:15], s[0:1], 0x10
	s_add_u32 s24, s0, 64
	s_addc_u32 s25, s1, 0
	s_waitcnt lgkmcnt(0)
	s_and_b32 s0, s3, 0xffff
	v_mad_u32_u24 v2, v1, s0, v0
	v_and_b32_e32 v4, 63, v2
	v_lshlrev_b32_e32 v2, 3, v1
	v_mov_b32_e32 v3, 0
	v_mbcnt_lo_u32_b32 v6, -1, 0
	v_mov_b32_e32 v5, v3
	v_mbcnt_hi_u32_b32 v6, -1, v6
	s_lshl_b32 s26, s5, 3
	v_lshl_add_u64 v[10:11], v[2:3], 0, s[6:7]
	v_cmp_gt_u32_e64 s[0:1], 8, v4
	v_lshl_add_u32 v8, s2, 5, v0
	v_mov_b32_e32 v9, v3
	v_lshlrev_b32_e32 v6, 2, v6
	v_lshl_add_u64 v[4:5], v[10:11], 0, v[4:5]
	v_mul_lo_u32 v2, s19, v10
	v_mul_lo_u32 v20, s18, v11
	v_mad_u64_u32 v[10:11], s[30:31], s18, v10, 0
	s_mul_i32 s3, s19, s26
	s_mul_hi_u32 s5, s18, s26
	s_mov_b32 s27, 0
	v_and_b32_e32 v12, 0x100, v6
	v_add3_u32 v11, v11, v20, v2
	v_lshlrev_b64 v[8:9], 1, v[8:9]
	s_add_i32 s31, s5, s3
	s_mul_i32 s30, s18, s26
	v_or_b32_e32 v13, 4, v12
	v_or_b32_e32 v14, 8, v12
	;; [unrolled: 1-line block ×7, first 2 shown]
	v_lshlrev_b64 v[6:7], 2, v[4:5]
	s_lshl_b64 s[28:29], s[26:27], 2
	v_lshl_add_u64 v[8:9], v[10:11], 1, v[8:9]
	s_lshl_b64 s[30:31], s[30:31], 1
	s_lshl_b64 s[34:35], s[18:19], 1
	v_mov_b64_e32 v[10:11], s[16:17]
	v_mov_b32_e32 v2, v3
	s_branch .LBB108_7
.LBB108_5:                              ;   in Loop: Header=BB108_7 Depth=1
	s_or_b64 exec, exec, s[38:39]
.LBB108_6:                              ;   in Loop: Header=BB108_7 Depth=1
	s_or_b64 exec, exec, s[36:37]
	v_lshl_add_u64 v[24:25], s[10:11], 0, v[8:9]
	v_lshl_add_u64 v[22:23], s[8:9], 0, v[8:9]
	global_load_ushort v27, v[24:25], off
	v_lshl_add_u64 v[24:25], v[24:25], 0, s[34:35]
	global_load_ushort v26, v[22:23], off
	v_lshl_add_u64 v[22:23], v[22:23], 0, s[34:35]
	global_load_ushort v29, v[24:25], off
	v_lshl_add_u64 v[24:25], v[24:25], 0, s[34:35]
	global_load_ushort v28, v[22:23], off
	v_lshl_add_u64 v[22:23], v[22:23], 0, s[34:35]
	global_load_ushort v31, v[24:25], off
	v_lshl_add_u64 v[24:25], v[24:25], 0, s[34:35]
	global_load_ushort v30, v[22:23], off
	v_lshl_add_u64 v[22:23], v[22:23], 0, s[34:35]
	global_load_ushort v33, v[24:25], off
	v_lshl_add_u64 v[24:25], v[24:25], 0, s[34:35]
	global_load_ushort v32, v[22:23], off
	v_lshl_add_u64 v[22:23], v[22:23], 0, s[34:35]
	global_load_ushort v35, v[24:25], off
	v_lshl_add_u64 v[24:25], v[24:25], 0, s[34:35]
	global_load_ushort v34, v[22:23], off
	v_lshl_add_u64 v[22:23], v[22:23], 0, s[34:35]
	global_load_ushort v37, v[24:25], off
	global_load_ushort v36, v[22:23], off
	v_lshl_add_u64 v[22:23], v[22:23], 0, s[34:35]
	v_lshl_add_u64 v[24:25], v[24:25], 0, s[34:35]
	global_load_ushort v38, v[22:23], off
	global_load_ushort v39, v[24:25], off
	v_lshl_add_u64 v[22:23], v[22:23], 0, s[34:35]
	v_lshl_add_u64 v[24:25], v[24:25], 0, s[34:35]
	global_load_ushort v40, v[22:23], off
	global_load_ushort v41, v[24:25], off
	s_waitcnt vmcnt(17)
	ds_bpermute_b32 v24, v12, v20
	ds_bpermute_b32 v42, v13, v20
	s_waitcnt vmcnt(16)
	ds_bpermute_b32 v23, v12, v21
	ds_bpermute_b32 v44, v14, v20
	;; [unrolled: 1-line block ×14, first 2 shown]
	s_add_u32 s6, s6, s26
	s_addc_u32 s7, s7, 0
	v_cmp_lt_i64_e32 vcc, s[6:7], v[10:11]
	v_lshl_add_u64 v[6:7], v[6:7], 0, s[28:29]
	v_lshl_add_u64 v[4:5], v[4:5], 0, s[26:27]
	;; [unrolled: 1-line block ×3, first 2 shown]
	s_and_b64 vcc, exec, vcc
	s_waitcnt vmcnt(15)
	v_lshlrev_b32_e32 v21, 16, v27
	s_waitcnt lgkmcnt(14)
	v_sub_f32_e32 v21, v21, v24
	s_waitcnt vmcnt(14)
	v_lshlrev_b32_e32 v20, 16, v26
	v_mul_f32_e32 v21, v21, v20
	s_waitcnt vmcnt(13)
	v_lshlrev_b32_e32 v26, 16, v29
	s_waitcnt lgkmcnt(13)
	v_mul_f32_e32 v21, v21, v23
	s_waitcnt vmcnt(12)
	v_lshlrev_b32_e32 v22, 16, v28
	v_sub_f32_e32 v28, v26, v42
	s_waitcnt vmcnt(11)
	v_lshlrev_b32_e32 v27, 16, v31
	v_mul_f32_e32 v23, v28, v22
	s_waitcnt vmcnt(10)
	v_lshlrev_b32_e32 v24, 16, v30
	s_waitcnt lgkmcnt(12)
	v_sub_f32_e32 v27, v27, v44
	s_waitcnt vmcnt(9)
	v_lshlrev_b32_e32 v29, 16, v33
	s_waitcnt lgkmcnt(11)
	v_mul_f32_e32 v23, v23, v25
	s_waitcnt vmcnt(8)
	v_lshlrev_b32_e32 v26, 16, v32
	v_mul_f32_e32 v25, v27, v24
	s_waitcnt vmcnt(7)
	v_lshlrev_b32_e32 v30, 16, v35
	s_waitcnt lgkmcnt(10)
	v_sub_f32_e32 v27, v29, v46
	v_pk_add_f32 v[2:3], v[2:3], v[20:21]
	s_waitcnt vmcnt(6)
	v_lshlrev_b32_e32 v28, 16, v34
	s_waitcnt vmcnt(5)
	v_lshlrev_b32_e32 v21, 16, v37
	s_waitcnt lgkmcnt(9)
	v_mul_f32_e32 v25, v25, v43
	v_mul_f32_e32 v27, v27, v26
	s_waitcnt lgkmcnt(6)
	v_sub_f32_e32 v29, v30, v48
	v_pk_add_f32 v[2:3], v[2:3], v[22:23]
	s_waitcnt vmcnt(4)
	v_lshlrev_b32_e32 v20, 16, v36
	v_mul_f32_e32 v27, v27, v45
	v_mul_f32_e32 v29, v29, v28
	s_waitcnt lgkmcnt(2)
	v_sub_f32_e32 v21, v21, v50
	v_pk_add_f32 v[2:3], v[2:3], v[24:25]
	s_waitcnt vmcnt(2)
	v_lshlrev_b32_e32 v23, 16, v39
	v_mul_f32_e32 v29, v29, v47
	v_mul_f32_e32 v21, v21, v20
	v_pk_add_f32 v[2:3], v[2:3], v[26:27]
	v_lshlrev_b32_e32 v22, 16, v38
	s_waitcnt vmcnt(0)
	v_lshlrev_b32_e32 v25, 16, v41
	s_waitcnt lgkmcnt(1)
	v_sub_f32_e32 v23, v23, v52
	v_mul_f32_e32 v21, v21, v49
	v_pk_add_f32 v[2:3], v[2:3], v[28:29]
	v_lshlrev_b32_e32 v24, 16, v40
	v_mul_f32_e32 v23, v23, v22
	v_pk_add_f32 v[2:3], v[2:3], v[20:21]
	s_waitcnt lgkmcnt(0)
	v_sub_f32_e32 v20, v25, v54
	v_mul_f32_e32 v23, v23, v51
	v_mul_f32_e32 v20, v20, v24
	v_pk_add_f32 v[2:3], v[2:3], v[22:23]
	v_mul_f32_e32 v25, v20, v53
	v_pk_add_f32 v[2:3], v[2:3], v[24:25]
	s_cbranch_vccz .LBB108_10
.LBB108_7:                              ; =>This Inner Loop Header: Depth=1
	v_mov_b32_e32 v21, 0
	v_mov_b32_e32 v20, 0
	s_and_saveexec_b64 s[36:37], s[0:1]
	s_cbranch_execz .LBB108_6
; %bb.8:                                ;   in Loop: Header=BB108_7 Depth=1
	v_cmp_gt_i64_e32 vcc, s[16:17], v[4:5]
	v_mov_b32_e32 v20, 0
	v_mov_b32_e32 v21, 0
	s_and_saveexec_b64 s[38:39], vcc
	s_cbranch_execz .LBB108_5
; %bb.9:                                ;   in Loop: Header=BB108_7 Depth=1
	v_lshl_add_u64 v[24:25], s[12:13], 0, v[6:7]
	v_lshl_add_u64 v[22:23], s[14:15], 0, v[6:7]
	global_load_dword v20, v[24:25], off
	global_load_dword v21, v[22:23], off
	s_branch .LBB108_5
.LBB108_10:
	v_mov_b32_e32 v4, v1
.LBB108_11:
	s_load_dword s5, s[24:25], 0xc
	s_mov_b32 s3, 0
	v_mov_b32_e32 v1, 0
	s_lshl_b64 s[0:1], s[2:3], 5
	v_lshl_add_u64 v[6:7], s[0:1], 0, v[0:1]
	s_waitcnt lgkmcnt(0)
	s_lshr_b32 s0, s5, 16
	v_mov_b32_e32 v5, v1
	v_mov_b32_e32 v0, s4
	v_mad_u64_u32 v[0:1], s[0:1], s0, v0, v[4:5]
	s_cmp_eq_u64 s[20:21], 0
	v_mul_lo_u32 v1, v1, s18
	v_mul_lo_u32 v4, v0, s19
	s_cbranch_scc1 .LBB108_13
; %bb.12:
	v_bfe_u32 v5, v3, 16, 1
	s_movk_i32 s0, 0x7fff
	v_add3_u32 v5, v3, v5, s0
	v_mad_u64_u32 v[8:9], s[0:1], v0, s18, 0
	v_add3_u32 v9, v9, v4, v1
	v_cmp_o_f32_e32 vcc, v3, v3
	v_mov_b32_e32 v3, 0x7fc0
	v_lshl_add_u64 v[8:9], v[8:9], 1, s[20:21]
	v_cndmask_b32_sdwa v3, v3, v5, vcc dst_sel:DWORD dst_unused:UNUSED_PAD src0_sel:DWORD src1_sel:WORD_1
	v_lshl_add_u64 v[8:9], v[6:7], 1, v[8:9]
	global_store_short v[8:9], v3, off
.LBB108_13:
	s_cmp_eq_u64 s[22:23], 0
	s_cbranch_scc1 .LBB108_15
; %bb.14:
	v_bfe_u32 v3, v2, 16, 1
	s_movk_i32 s0, 0x7fff
	v_add3_u32 v3, v2, v3, s0
	v_cmp_o_f32_e32 vcc, v2, v2
	v_mov_b32_e32 v2, 0x7fc0
	s_nop 0
	v_cndmask_b32_sdwa v5, v2, v3, vcc dst_sel:DWORD dst_unused:UNUSED_PAD src0_sel:DWORD src1_sel:WORD_1
	v_mad_u64_u32 v[2:3], s[0:1], v0, s18, 0
	v_add3_u32 v3, v3, v4, v1
	v_lshl_add_u64 v[0:1], v[2:3], 1, s[22:23]
	v_lshl_add_u64 v[0:1], v[6:7], 1, v[0:1]
	global_store_short v[0:1], v5, off
.LBB108_15:
	s_endpgm
	.section	.rodata,"a",@progbits
	.p2align	6, 0x0
	.amdhsa_kernel _ZN2at6native12_GLOBAL__N_135GammaBetaBackwardCUDAKernelTemplateIN3c108BFloat16EfLj32ELj1ELj8ELb1ELb1ELb0EEEvllPKT_S7_PKT0_SA_PS5_SB_
		.amdhsa_group_segment_fixed_size 0
		.amdhsa_private_segment_fixed_size 0
		.amdhsa_kernarg_size 320
		.amdhsa_user_sgpr_count 2
		.amdhsa_user_sgpr_dispatch_ptr 0
		.amdhsa_user_sgpr_queue_ptr 0
		.amdhsa_user_sgpr_kernarg_segment_ptr 1
		.amdhsa_user_sgpr_dispatch_id 0
		.amdhsa_user_sgpr_kernarg_preload_length 0
		.amdhsa_user_sgpr_kernarg_preload_offset 0
		.amdhsa_user_sgpr_private_segment_size 0
		.amdhsa_uses_dynamic_stack 0
		.amdhsa_enable_private_segment 0
		.amdhsa_system_sgpr_workgroup_id_x 1
		.amdhsa_system_sgpr_workgroup_id_y 1
		.amdhsa_system_sgpr_workgroup_id_z 0
		.amdhsa_system_sgpr_workgroup_info 0
		.amdhsa_system_vgpr_workitem_id 1
		.amdhsa_next_free_vgpr 55
		.amdhsa_next_free_sgpr 40
		.amdhsa_accum_offset 56
		.amdhsa_reserve_vcc 1
		.amdhsa_float_round_mode_32 0
		.amdhsa_float_round_mode_16_64 0
		.amdhsa_float_denorm_mode_32 3
		.amdhsa_float_denorm_mode_16_64 3
		.amdhsa_dx10_clamp 1
		.amdhsa_ieee_mode 1
		.amdhsa_fp16_overflow 0
		.amdhsa_tg_split 0
		.amdhsa_exception_fp_ieee_invalid_op 0
		.amdhsa_exception_fp_denorm_src 0
		.amdhsa_exception_fp_ieee_div_zero 0
		.amdhsa_exception_fp_ieee_overflow 0
		.amdhsa_exception_fp_ieee_underflow 0
		.amdhsa_exception_fp_ieee_inexact 0
		.amdhsa_exception_int_div_zero 0
	.end_amdhsa_kernel
	.section	.text._ZN2at6native12_GLOBAL__N_135GammaBetaBackwardCUDAKernelTemplateIN3c108BFloat16EfLj32ELj1ELj8ELb1ELb1ELb0EEEvllPKT_S7_PKT0_SA_PS5_SB_,"axG",@progbits,_ZN2at6native12_GLOBAL__N_135GammaBetaBackwardCUDAKernelTemplateIN3c108BFloat16EfLj32ELj1ELj8ELb1ELb1ELb0EEEvllPKT_S7_PKT0_SA_PS5_SB_,comdat
.Lfunc_end108:
	.size	_ZN2at6native12_GLOBAL__N_135GammaBetaBackwardCUDAKernelTemplateIN3c108BFloat16EfLj32ELj1ELj8ELb1ELb1ELb0EEEvllPKT_S7_PKT0_SA_PS5_SB_, .Lfunc_end108-_ZN2at6native12_GLOBAL__N_135GammaBetaBackwardCUDAKernelTemplateIN3c108BFloat16EfLj32ELj1ELj8ELb1ELb1ELb0EEEvllPKT_S7_PKT0_SA_PS5_SB_
                                        ; -- End function
	.set _ZN2at6native12_GLOBAL__N_135GammaBetaBackwardCUDAKernelTemplateIN3c108BFloat16EfLj32ELj1ELj8ELb1ELb1ELb0EEEvllPKT_S7_PKT0_SA_PS5_SB_.num_vgpr, 55
	.set _ZN2at6native12_GLOBAL__N_135GammaBetaBackwardCUDAKernelTemplateIN3c108BFloat16EfLj32ELj1ELj8ELb1ELb1ELb0EEEvllPKT_S7_PKT0_SA_PS5_SB_.num_agpr, 0
	.set _ZN2at6native12_GLOBAL__N_135GammaBetaBackwardCUDAKernelTemplateIN3c108BFloat16EfLj32ELj1ELj8ELb1ELb1ELb0EEEvllPKT_S7_PKT0_SA_PS5_SB_.numbered_sgpr, 40
	.set _ZN2at6native12_GLOBAL__N_135GammaBetaBackwardCUDAKernelTemplateIN3c108BFloat16EfLj32ELj1ELj8ELb1ELb1ELb0EEEvllPKT_S7_PKT0_SA_PS5_SB_.num_named_barrier, 0
	.set _ZN2at6native12_GLOBAL__N_135GammaBetaBackwardCUDAKernelTemplateIN3c108BFloat16EfLj32ELj1ELj8ELb1ELb1ELb0EEEvllPKT_S7_PKT0_SA_PS5_SB_.private_seg_size, 0
	.set _ZN2at6native12_GLOBAL__N_135GammaBetaBackwardCUDAKernelTemplateIN3c108BFloat16EfLj32ELj1ELj8ELb1ELb1ELb0EEEvllPKT_S7_PKT0_SA_PS5_SB_.uses_vcc, 1
	.set _ZN2at6native12_GLOBAL__N_135GammaBetaBackwardCUDAKernelTemplateIN3c108BFloat16EfLj32ELj1ELj8ELb1ELb1ELb0EEEvllPKT_S7_PKT0_SA_PS5_SB_.uses_flat_scratch, 0
	.set _ZN2at6native12_GLOBAL__N_135GammaBetaBackwardCUDAKernelTemplateIN3c108BFloat16EfLj32ELj1ELj8ELb1ELb1ELb0EEEvllPKT_S7_PKT0_SA_PS5_SB_.has_dyn_sized_stack, 0
	.set _ZN2at6native12_GLOBAL__N_135GammaBetaBackwardCUDAKernelTemplateIN3c108BFloat16EfLj32ELj1ELj8ELb1ELb1ELb0EEEvllPKT_S7_PKT0_SA_PS5_SB_.has_recursion, 0
	.set _ZN2at6native12_GLOBAL__N_135GammaBetaBackwardCUDAKernelTemplateIN3c108BFloat16EfLj32ELj1ELj8ELb1ELb1ELb0EEEvllPKT_S7_PKT0_SA_PS5_SB_.has_indirect_call, 0
	.section	.AMDGPU.csdata,"",@progbits
; Kernel info:
; codeLenInByte = 1460
; TotalNumSgprs: 46
; NumVgprs: 55
; NumAgprs: 0
; TotalNumVgprs: 55
; ScratchSize: 0
; MemoryBound: 0
; FloatMode: 240
; IeeeMode: 1
; LDSByteSize: 0 bytes/workgroup (compile time only)
; SGPRBlocks: 5
; VGPRBlocks: 6
; NumSGPRsForWavesPerEU: 46
; NumVGPRsForWavesPerEU: 55
; AccumOffset: 56
; Occupancy: 8
; WaveLimiterHint : 0
; COMPUTE_PGM_RSRC2:SCRATCH_EN: 0
; COMPUTE_PGM_RSRC2:USER_SGPR: 2
; COMPUTE_PGM_RSRC2:TRAP_HANDLER: 0
; COMPUTE_PGM_RSRC2:TGID_X_EN: 1
; COMPUTE_PGM_RSRC2:TGID_Y_EN: 1
; COMPUTE_PGM_RSRC2:TGID_Z_EN: 0
; COMPUTE_PGM_RSRC2:TIDIG_COMP_CNT: 1
; COMPUTE_PGM_RSRC3_GFX90A:ACCUM_OFFSET: 13
; COMPUTE_PGM_RSRC3_GFX90A:TG_SPLIT: 0
	.section	.text._ZN2at6native12_GLOBAL__N_135GammaBetaBackwardCUDAKernelTemplateIN3c108BFloat16EfLj32ELj1ELj8ELb1ELb0ELb0EEEvllPKT_S7_PKT0_SA_PS5_SB_,"axG",@progbits,_ZN2at6native12_GLOBAL__N_135GammaBetaBackwardCUDAKernelTemplateIN3c108BFloat16EfLj32ELj1ELj8ELb1ELb0ELb0EEEvllPKT_S7_PKT0_SA_PS5_SB_,comdat
	.globl	_ZN2at6native12_GLOBAL__N_135GammaBetaBackwardCUDAKernelTemplateIN3c108BFloat16EfLj32ELj1ELj8ELb1ELb0ELb0EEEvllPKT_S7_PKT0_SA_PS5_SB_ ; -- Begin function _ZN2at6native12_GLOBAL__N_135GammaBetaBackwardCUDAKernelTemplateIN3c108BFloat16EfLj32ELj1ELj8ELb1ELb0ELb0EEEvllPKT_S7_PKT0_SA_PS5_SB_
	.p2align	8
	.type	_ZN2at6native12_GLOBAL__N_135GammaBetaBackwardCUDAKernelTemplateIN3c108BFloat16EfLj32ELj1ELj8ELb1ELb0ELb0EEEvllPKT_S7_PKT0_SA_PS5_SB_,@function
_ZN2at6native12_GLOBAL__N_135GammaBetaBackwardCUDAKernelTemplateIN3c108BFloat16EfLj32ELj1ELj8ELb1ELb0ELb0EEEvllPKT_S7_PKT0_SA_PS5_SB_: ; @_ZN2at6native12_GLOBAL__N_135GammaBetaBackwardCUDAKernelTemplateIN3c108BFloat16EfLj32ELj1ELj8ELb1ELb0ELb0EEEvllPKT_S7_PKT0_SA_PS5_SB_
; %bb.0:
	s_load_dwordx8 s[12:19], s[0:1], 0x0
	s_load_dwordx4 s[20:23], s[0:1], 0x20
	s_mov_b32 s8, s3
	s_lshl_b32 s3, s2, 5
	s_mov_b32 s11, 0
	s_lshl_b32 s10, s8, 3
	s_or_b32 s4, s3, 31
	v_mov_b64_e32 v[2:3], s[10:11]
	v_mov_b32_e32 v20, s4
	v_mov_b32_e32 v21, 0
	s_waitcnt lgkmcnt(0)
	v_cmp_gt_i64_e64 s[4:5], s[12:13], v[2:3]
	v_cmp_le_i64_e32 vcc, s[14:15], v[20:21]
	s_nop 0
	v_cndmask_b32_e64 v1, 0, 1, s[4:5]
	v_cmp_ne_u32_e64 s[4:5], 1, v1
	s_cbranch_vccz .LBB109_48
; %bb.1:
	s_and_b64 vcc, exec, s[4:5]
	v_mov_b32_e32 v20, 0
	s_cbranch_vccnz .LBB109_49
; %bb.2:
	v_and_b32_e32 v1, 0x3ff, v0
	v_mov_b32_e32 v2, 0
	v_bfe_u32 v62, v0, 10, 10
	v_add_u32_e32 v4, s3, v1
	v_mov_b32_e32 v5, v2
	v_lshlrev_b32_e32 v22, 3, v62
	v_mov_b32_e32 v23, v2
	v_cmp_gt_i64_e64 s[6:7], s[14:15], v[4:5]
	v_lshlrev_b64 v[24:25], 1, v[4:5]
	v_lshl_add_u64 v[4:5], v[22:23], 0, s[10:11]
	v_mul_lo_u32 v3, s15, v4
	v_mul_lo_u32 v8, s14, v5
	v_mad_u64_u32 v[6:7], s[28:29], s14, v4, 0
	v_add3_u32 v7, v7, v8, v3
	v_lshlrev_b64 v[6:7], 1, v[6:7]
	v_lshl_add_u64 v[26:27], s[16:17], 0, v[6:7]
	v_lshl_add_u64 v[28:29], s[18:19], 0, v[6:7]
	v_lshl_add_u64 v[6:7], v[4:5], 0, 7
	v_mul_lo_u32 v9, s15, v6
	v_mul_lo_u32 v10, s14, v7
	v_mad_u64_u32 v[6:7], s[34:35], s14, v6, 0
	v_add3_u32 v7, v7, v10, v9
	v_lshlrev_b64 v[6:7], 1, v[6:7]
	v_lshl_add_u64 v[30:31], s[16:17], 0, v[6:7]
	v_lshl_add_u64 v[32:33], s[18:19], 0, v[6:7]
	;; [unrolled: 8-line block ×6, first 2 shown]
	v_lshl_add_u64 v[6:7], v[4:5], 0, 2
	s_load_dword s9, s[0:1], 0x44
	v_mul_lo_u32 v5, s15, v6
	v_mul_lo_u32 v9, s14, v7
	v_mad_u64_u32 v[6:7], s[34:35], s14, v6, 0
	v_add3_u32 v7, v7, v9, v5
	v_lshlrev_b64 v[6:7], 1, v[6:7]
	v_lshl_add_u64 v[50:51], s[16:17], 0, v[6:7]
	v_lshl_add_u64 v[52:53], s[18:19], 0, v[6:7]
	v_mov_b64_e32 v[6:7], s[14:15]
	s_add_u32 s26, s0, 64
	v_mad_u64_u32 v[4:5], s[34:35], s14, v4, v[6:7]
	s_addc_u32 s27, s1, 0
	s_waitcnt lgkmcnt(0)
	s_lshl_b32 s24, s9, 3
	v_add3_u32 v5, v3, v5, v8
	v_mbcnt_lo_u32_b32 v3, -1, 0
	s_mul_i32 s9, s15, s24
	s_mul_hi_u32 s28, s14, s24
	v_mbcnt_hi_u32_b32 v3, -1, v3
	s_add_i32 s29, s28, s9
	s_mul_i32 s28, s14, s24
	v_lshlrev_b64 v[4:5], 1, v[4:5]
	v_lshlrev_b32_e32 v3, 2, v3
	s_mov_b32 s25, 0
	s_lshl_b64 s[28:29], s[28:29], 1
	s_mov_b64 s[30:31], 7
	v_lshl_add_u64 v[54:55], s[16:17], 0, v[4:5]
	v_lshl_add_u64 v[56:57], s[18:19], 0, v[4:5]
	v_and_b32_e32 v63, 0x100, v3
	s_mov_b64 s[34:35], s[10:11]
	v_mov_b32_e32 v20, 0
	v_mov_b32_e32 v21, v2
	s_branch .LBB109_5
.LBB109_3:                              ;   in Loop: Header=BB109_5 Depth=1
	s_or_b64 exec, exec, s[36:37]
	s_waitcnt vmcnt(1)
	ds_bpermute_b32 v3, v63, v61
	ds_bpermute_b32 v58, v63, v61 offset:4
	s_waitcnt vmcnt(0)
	ds_bpermute_b32 v59, v63, v60
	ds_bpermute_b32 v64, v63, v60 offset:4
	v_mov_b32_e32 v66, v8
	s_waitcnt lgkmcnt(3)
	v_sub_f32_e32 v3, v12, v3
	v_mul_f32_e32 v3, v4, v3
	s_waitcnt lgkmcnt(2)
	v_sub_f32_e32 v12, v13, v58
	s_waitcnt lgkmcnt(1)
	v_mul_f32_e32 v13, v3, v59
	ds_bpermute_b32 v3, v63, v61 offset:8
	v_mul_f32_e32 v12, v5, v12
	s_waitcnt lgkmcnt(1)
	v_mul_f32_e32 v59, v12, v64
	ds_bpermute_b32 v12, v63, v60 offset:8
	ds_bpermute_b32 v58, v63, v61 offset:12
	s_waitcnt lgkmcnt(2)
	v_sub_f32_e32 v3, v14, v3
	ds_bpermute_b32 v14, v63, v60 offset:12
	v_mul_f32_e32 v3, v6, v3
	s_waitcnt lgkmcnt(2)
	v_mul_f32_e32 v65, v3, v12
	s_waitcnt lgkmcnt(1)
	v_sub_f32_e32 v3, v15, v58
	ds_bpermute_b32 v12, v63, v61 offset:16
	v_mul_f32_e32 v3, v7, v3
	s_waitcnt lgkmcnt(1)
	v_mul_f32_e32 v15, v3, v14
	ds_bpermute_b32 v3, v63, v60 offset:16
	ds_bpermute_b32 v14, v63, v61 offset:20
	s_waitcnt lgkmcnt(2)
	v_sub_f32_e32 v12, v16, v12
	ds_bpermute_b32 v16, v63, v60 offset:20
	v_mul_f32_e32 v12, v8, v12
	s_waitcnt lgkmcnt(2)
	v_mul_f32_e32 v67, v12, v3
	v_mov_b32_e32 v12, v4
	s_waitcnt lgkmcnt(1)
	v_sub_f32_e32 v3, v17, v14
	v_pk_add_f32 v[12:13], v[20:21], v[12:13]
	v_mov_b32_e32 v58, v5
	v_mul_f32_e32 v3, v9, v3
	v_pk_add_f32 v[4:5], v[58:59], v[12:13]
	v_mov_b32_e32 v64, v6
	s_waitcnt lgkmcnt(0)
	v_mul_f32_e32 v17, v3, v16
	v_pk_add_f32 v[4:5], v[64:65], v[4:5]
	v_mov_b32_e32 v14, v7
	ds_bpermute_b32 v3, v63, v61 offset:24
	v_pk_add_f32 v[4:5], v[14:15], v[4:5]
	v_mov_b32_e32 v16, v9
	v_pk_add_f32 v[4:5], v[66:67], v[4:5]
	s_waitcnt lgkmcnt(0)
	v_sub_f32_e32 v8, v18, v3
	v_pk_add_f32 v[6:7], v[16:17], v[4:5]
	ds_bpermute_b32 v5, v63, v60 offset:24
	ds_bpermute_b32 v3, v63, v60 offset:28
	;; [unrolled: 1-line block ×3, first 2 shown]
	v_mul_f32_e32 v8, v10, v8
	s_waitcnt lgkmcnt(2)
	v_mul_f32_e32 v9, v8, v5
	v_mov_b32_e32 v8, v10
	v_pk_add_f32 v[60:61], v[8:9], v[6:7]
.LBB109_4:                              ;   in Loop: Header=BB109_5 Depth=1
	s_waitcnt lgkmcnt(0)
	v_sub_f32_e32 v4, v19, v4
	v_mul_f32_e32 v4, v11, v4
	v_mul_f32_e32 v5, v4, v3
	v_mov_b32_e32 v4, v11
	s_add_u32 s34, s34, s24
	v_pk_add_f32 v[20:21], v[60:61], v[4:5]
	s_addc_u32 s35, s35, 0
	v_mov_b64_e32 v[4:5], s[12:13]
	s_add_u32 s30, s30, s24
	v_cmp_lt_i64_e32 vcc, s[34:35], v[4:5]
	v_lshl_add_u64 v[26:27], v[26:27], 0, s[28:29]
	v_lshl_add_u64 v[28:29], v[28:29], 0, s[28:29]
	;; [unrolled: 1-line block ×17, first 2 shown]
	s_addc_u32 s31, 0, s31
	s_cbranch_vccz .LBB109_49
.LBB109_5:                              ; =>This Inner Loop Header: Depth=1
	s_add_u32 s36, s10, s30
	s_addc_u32 s37, 0, s31
	v_mov_b64_e32 v[4:5], s[12:13]
	v_cmp_ge_i64_e32 vcc, s[36:37], v[4:5]
	v_lshl_add_u64 v[58:59], s[10:11], 0, v[22:23]
	s_mov_b64 s[36:37], -1
	s_and_b64 vcc, exec, vcc
                                        ; implicit-def: $vgpr4_vgpr5_vgpr6_vgpr7_vgpr8_vgpr9_vgpr10_vgpr11
                                        ; implicit-def: $vgpr60_vgpr61
                                        ; implicit-def: $vgpr3
                                        ; implicit-def: $vgpr12_vgpr13_vgpr14_vgpr15_vgpr16_vgpr17_vgpr18_vgpr19
                                        ; implicit-def: $vgpr4
	s_cbranch_vccz .LBB109_27
; %bb.6:                                ;   in Loop: Header=BB109_5 Depth=1
	s_load_dword s9, s[26:27], 0xc
	v_mov_b32_e32 v60, 0
	v_mov_b32_e32 v61, 0
	s_waitcnt lgkmcnt(0)
	s_and_b32 s9, s9, 0xffff
	v_mad_u32_u24 v3, v62, s9, v1
	v_and_b32_e32 v4, 63, v3
	v_cmp_gt_u32_e32 vcc, 8, v4
	s_and_saveexec_b64 s[36:37], vcc
	s_cbranch_execz .LBB109_10
; %bb.7:                                ;   in Loop: Header=BB109_5 Depth=1
	v_mov_b32_e32 v5, v2
	v_lshl_add_u64 v[4:5], v[58:59], 0, v[4:5]
	v_cmp_gt_i64_e32 vcc, s[12:13], v[4:5]
	v_mov_b32_e32 v61, 0
	v_mov_b32_e32 v60, 0
	s_and_saveexec_b64 s[38:39], vcc
	s_cbranch_execz .LBB109_9
; %bb.8:                                ;   in Loop: Header=BB109_5 Depth=1
	v_lshlrev_b64 v[4:5], 2, v[4:5]
	v_lshl_add_u64 v[6:7], s[22:23], 0, v[4:5]
	v_lshl_add_u64 v[4:5], s[20:21], 0, v[4:5]
	global_load_dword v61, v[4:5], off
	global_load_dword v60, v[6:7], off
.LBB109_9:                              ;   in Loop: Header=BB109_5 Depth=1
	s_or_b64 exec, exec, s[38:39]
.LBB109_10:                             ;   in Loop: Header=BB109_5 Depth=1
	s_or_b64 exec, exec, s[36:37]
	v_mov_b32_e32 v8, v2
	v_mov_b32_e32 v9, v2
	;; [unrolled: 1-line block ×7, first 2 shown]
	v_mov_b64_e32 v[18:19], v[8:9]
	v_cmp_gt_i64_e32 vcc, s[12:13], v[58:59]
	v_mov_b64_e32 v[16:17], v[6:7]
	v_mov_b64_e32 v[14:15], v[4:5]
	v_mov_b64_e32 v[12:13], v[2:3]
	v_mov_b64_e32 v[10:11], v[8:9]
	s_and_b64 s[38:39], s[6:7], vcc
	v_mov_b64_e32 v[8:9], v[6:7]
	v_mov_b64_e32 v[6:7], v[4:5]
	;; [unrolled: 1-line block ×3, first 2 shown]
	s_and_saveexec_b64 s[36:37], s[38:39]
	s_cbranch_execz .LBB109_12
; %bb.11:                               ;   in Loop: Header=BB109_5 Depth=1
	v_lshl_add_u64 v[4:5], v[26:27], 0, v[24:25]
	global_load_ushort v3, v[4:5], off
	v_lshl_add_u64 v[4:5], v[28:29], 0, v[24:25]
	global_load_ushort v12, v[4:5], off
	v_mov_b32_e32 v5, v2
	v_mov_b32_e32 v6, v2
	;; [unrolled: 1-line block ×14, first 2 shown]
	s_waitcnt vmcnt(1)
	v_lshlrev_b32_e32 v4, 16, v3
	s_waitcnt vmcnt(0)
	v_lshlrev_b32_e32 v12, 16, v12
.LBB109_12:                             ;   in Loop: Header=BB109_5 Depth=1
	s_or_b64 exec, exec, s[36:37]
	v_lshl_add_u64 v[64:65], v[58:59], 0, 1
	v_cmp_gt_i64_e32 vcc, s[12:13], v[64:65]
	s_and_b64 s[38:39], s[6:7], vcc
	s_and_saveexec_b64 s[36:37], s[38:39]
	s_cbranch_execz .LBB109_14
; %bb.13:                               ;   in Loop: Header=BB109_5 Depth=1
	v_lshl_add_u64 v[64:65], v[54:55], 0, v[24:25]
	global_load_ushort v3, v[64:65], off
	v_lshl_add_u64 v[64:65], v[56:57], 0, v[24:25]
	global_load_ushort v13, v[64:65], off
	s_waitcnt vmcnt(1)
	v_lshlrev_b32_e32 v5, 16, v3
	s_waitcnt vmcnt(0)
	v_lshlrev_b32_e32 v13, 16, v13
.LBB109_14:                             ;   in Loop: Header=BB109_5 Depth=1
	s_or_b64 exec, exec, s[36:37]
	v_lshl_add_u64 v[64:65], v[58:59], 0, 2
	v_cmp_gt_i64_e32 vcc, s[12:13], v[64:65]
	s_and_b64 s[38:39], s[6:7], vcc
	s_and_saveexec_b64 s[36:37], s[38:39]
	s_cbranch_execz .LBB109_16
; %bb.15:                               ;   in Loop: Header=BB109_5 Depth=1
	v_lshl_add_u64 v[64:65], v[50:51], 0, v[24:25]
	global_load_ushort v3, v[64:65], off
	v_lshl_add_u64 v[64:65], v[52:53], 0, v[24:25]
	global_load_ushort v14, v[64:65], off
	s_waitcnt vmcnt(1)
	v_lshlrev_b32_e32 v6, 16, v3
	s_waitcnt vmcnt(0)
	v_lshlrev_b32_e32 v14, 16, v14
.LBB109_16:                             ;   in Loop: Header=BB109_5 Depth=1
	;; [unrolled: 16-line block ×7, first 2 shown]
	s_or_b64 exec, exec, s[36:37]
	s_waitcnt vmcnt(1)
	ds_bpermute_b32 v3, v63, v61
	ds_bpermute_b32 v64, v63, v61 offset:4
	s_waitcnt vmcnt(0)
	ds_bpermute_b32 v65, v63, v60
	ds_bpermute_b32 v66, v63, v60 offset:4
	v_mov_b32_e32 v68, v8
	s_waitcnt lgkmcnt(3)
	v_sub_f32_e32 v3, v12, v3
	v_mul_f32_e32 v3, v4, v3
	s_waitcnt lgkmcnt(2)
	v_sub_f32_e32 v12, v13, v64
	s_waitcnt lgkmcnt(1)
	v_mul_f32_e32 v13, v3, v65
	ds_bpermute_b32 v3, v63, v61 offset:8
	v_mul_f32_e32 v12, v5, v12
	s_waitcnt lgkmcnt(1)
	v_mul_f32_e32 v65, v12, v66
	ds_bpermute_b32 v12, v63, v60 offset:8
	ds_bpermute_b32 v64, v63, v61 offset:12
	s_waitcnt lgkmcnt(2)
	v_sub_f32_e32 v3, v14, v3
	ds_bpermute_b32 v14, v63, v60 offset:12
	v_mul_f32_e32 v3, v6, v3
	s_waitcnt lgkmcnt(2)
	v_mul_f32_e32 v67, v3, v12
	ds_bpermute_b32 v12, v63, v61 offset:16
	s_waitcnt lgkmcnt(2)
	v_sub_f32_e32 v3, v15, v64
	v_mul_f32_e32 v3, v7, v3
	s_waitcnt lgkmcnt(1)
	v_mul_f32_e32 v15, v3, v14
	ds_bpermute_b32 v3, v63, v60 offset:16
	ds_bpermute_b32 v14, v63, v61 offset:20
	s_waitcnt lgkmcnt(2)
	v_sub_f32_e32 v12, v16, v12
	ds_bpermute_b32 v16, v63, v60 offset:20
	v_mul_f32_e32 v12, v8, v12
	s_waitcnt lgkmcnt(2)
	v_mul_f32_e32 v69, v12, v3
	s_waitcnt lgkmcnt(1)
	v_sub_f32_e32 v3, v17, v14
	v_mov_b32_e32 v12, v4
	v_mul_f32_e32 v3, v9, v3
	v_pk_add_f32 v[12:13], v[20:21], v[12:13]
	v_mov_b32_e32 v64, v5
	s_waitcnt lgkmcnt(0)
	v_mul_f32_e32 v17, v3, v16
	v_pk_add_f32 v[4:5], v[64:65], v[12:13]
	v_mov_b32_e32 v66, v6
	ds_bpermute_b32 v3, v63, v61 offset:24
	v_pk_add_f32 v[4:5], v[66:67], v[4:5]
	v_mov_b32_e32 v14, v7
	v_pk_add_f32 v[4:5], v[14:15], v[4:5]
	v_mov_b32_e32 v16, v9
	v_pk_add_f32 v[4:5], v[68:69], v[4:5]
	s_waitcnt lgkmcnt(0)
	v_sub_f32_e32 v3, v18, v3
	v_pk_add_f32 v[6:7], v[16:17], v[4:5]
	ds_bpermute_b32 v5, v63, v60 offset:24
	v_mul_f32_e32 v8, v10, v3
	ds_bpermute_b32 v3, v63, v60 offset:28
	ds_bpermute_b32 v4, v63, v61 offset:28
	s_mov_b64 s[36:37], 0
	s_waitcnt lgkmcnt(2)
	v_mul_f32_e32 v9, v8, v5
	v_mov_b32_e32 v8, v10
	v_pk_add_f32 v[60:61], v[8:9], v[6:7]
.LBB109_27:                             ;   in Loop: Header=BB109_5 Depth=1
	s_and_b64 vcc, exec, s[36:37]
	s_cbranch_vccz .LBB109_4
; %bb.28:                               ;   in Loop: Header=BB109_5 Depth=1
	s_load_dword s9, s[26:27], 0x0
	v_mov_b32_e32 v60, 0
	v_mov_b32_e32 v61, 0
	s_waitcnt lgkmcnt(0)
	s_cmp_lt_u32 s2, s9
	s_cselect_b32 s9, 12, 18
	s_add_u32 s36, s26, s9
	s_addc_u32 s37, s27, 0
	global_load_ushort v3, v2, s[36:37]
	s_waitcnt vmcnt(0)
	v_mad_u32_u24 v3, v62, v3, v1
	v_and_b32_e32 v4, 63, v3
	v_cmp_gt_u32_e32 vcc, 8, v4
	s_and_saveexec_b64 s[36:37], vcc
	s_cbranch_execz .LBB109_32
; %bb.29:                               ;   in Loop: Header=BB109_5 Depth=1
	v_mov_b32_e32 v5, v2
	v_lshl_add_u64 v[4:5], v[58:59], 0, v[4:5]
	v_cmp_gt_i64_e32 vcc, s[12:13], v[4:5]
	v_mov_b32_e32 v61, 0
	v_mov_b32_e32 v60, 0
	s_and_saveexec_b64 s[38:39], vcc
	s_cbranch_execz .LBB109_31
; %bb.30:                               ;   in Loop: Header=BB109_5 Depth=1
	v_lshlrev_b64 v[4:5], 2, v[4:5]
	v_lshl_add_u64 v[6:7], s[22:23], 0, v[4:5]
	v_lshl_add_u64 v[4:5], s[20:21], 0, v[4:5]
	global_load_dword v61, v[4:5], off
	global_load_dword v60, v[6:7], off
.LBB109_31:                             ;   in Loop: Header=BB109_5 Depth=1
	s_or_b64 exec, exec, s[38:39]
.LBB109_32:                             ;   in Loop: Header=BB109_5 Depth=1
	s_or_b64 exec, exec, s[36:37]
	v_mov_b32_e32 v8, v2
	v_mov_b32_e32 v9, v2
	;; [unrolled: 1-line block ×7, first 2 shown]
	v_mov_b64_e32 v[18:19], v[8:9]
	v_mov_b64_e32 v[16:17], v[6:7]
	;; [unrolled: 1-line block ×8, first 2 shown]
	s_and_saveexec_b64 s[36:37], s[6:7]
	s_cbranch_execnz .LBB109_40
; %bb.33:                               ;   in Loop: Header=BB109_5 Depth=1
	s_or_b64 exec, exec, s[36:37]
	s_and_saveexec_b64 s[36:37], s[6:7]
	s_cbranch_execnz .LBB109_41
.LBB109_34:                             ;   in Loop: Header=BB109_5 Depth=1
	s_or_b64 exec, exec, s[36:37]
	s_and_saveexec_b64 s[36:37], s[6:7]
	s_cbranch_execnz .LBB109_42
.LBB109_35:                             ;   in Loop: Header=BB109_5 Depth=1
	s_or_b64 exec, exec, s[36:37]
	s_and_saveexec_b64 s[36:37], s[6:7]
	s_cbranch_execnz .LBB109_43
.LBB109_36:                             ;   in Loop: Header=BB109_5 Depth=1
	s_or_b64 exec, exec, s[36:37]
	s_and_saveexec_b64 s[36:37], s[6:7]
	s_cbranch_execnz .LBB109_44
.LBB109_37:                             ;   in Loop: Header=BB109_5 Depth=1
	s_or_b64 exec, exec, s[36:37]
	s_and_saveexec_b64 s[36:37], s[6:7]
	s_cbranch_execnz .LBB109_45
.LBB109_38:                             ;   in Loop: Header=BB109_5 Depth=1
	s_or_b64 exec, exec, s[36:37]
	s_and_saveexec_b64 s[36:37], s[6:7]
	s_cbranch_execnz .LBB109_46
.LBB109_39:                             ;   in Loop: Header=BB109_5 Depth=1
	s_or_b64 exec, exec, s[36:37]
	s_and_saveexec_b64 s[36:37], s[6:7]
	s_cbranch_execz .LBB109_3
	s_branch .LBB109_47
.LBB109_40:                             ;   in Loop: Header=BB109_5 Depth=1
	v_lshl_add_u64 v[4:5], v[26:27], 0, v[24:25]
	global_load_ushort v3, v[4:5], off
	v_lshl_add_u64 v[4:5], v[28:29], 0, v[24:25]
	global_load_ushort v12, v[4:5], off
	v_mov_b32_e32 v5, v2
	v_mov_b32_e32 v6, v2
	;; [unrolled: 1-line block ×14, first 2 shown]
	s_waitcnt vmcnt(1)
	v_lshlrev_b32_e32 v4, 16, v3
	s_waitcnt vmcnt(0)
	v_lshlrev_b32_e32 v12, 16, v12
	s_or_b64 exec, exec, s[36:37]
	s_and_saveexec_b64 s[36:37], s[6:7]
	s_cbranch_execz .LBB109_34
.LBB109_41:                             ;   in Loop: Header=BB109_5 Depth=1
	v_lshl_add_u64 v[58:59], v[54:55], 0, v[24:25]
	global_load_ushort v3, v[58:59], off
	v_lshl_add_u64 v[58:59], v[56:57], 0, v[24:25]
	global_load_ushort v13, v[58:59], off
	s_waitcnt vmcnt(1)
	v_lshlrev_b32_e32 v5, 16, v3
	s_waitcnt vmcnt(0)
	v_lshlrev_b32_e32 v13, 16, v13
	s_or_b64 exec, exec, s[36:37]
	s_and_saveexec_b64 s[36:37], s[6:7]
	s_cbranch_execz .LBB109_35
.LBB109_42:                             ;   in Loop: Header=BB109_5 Depth=1
	v_lshl_add_u64 v[58:59], v[50:51], 0, v[24:25]
	global_load_ushort v3, v[58:59], off
	v_lshl_add_u64 v[58:59], v[52:53], 0, v[24:25]
	global_load_ushort v14, v[58:59], off
	s_waitcnt vmcnt(1)
	v_lshlrev_b32_e32 v6, 16, v3
	s_waitcnt vmcnt(0)
	v_lshlrev_b32_e32 v14, 16, v14
	s_or_b64 exec, exec, s[36:37]
	s_and_saveexec_b64 s[36:37], s[6:7]
	s_cbranch_execz .LBB109_36
.LBB109_43:                             ;   in Loop: Header=BB109_5 Depth=1
	v_lshl_add_u64 v[58:59], v[46:47], 0, v[24:25]
	global_load_ushort v3, v[58:59], off
	v_lshl_add_u64 v[58:59], v[48:49], 0, v[24:25]
	global_load_ushort v15, v[58:59], off
	s_waitcnt vmcnt(1)
	v_lshlrev_b32_e32 v7, 16, v3
	s_waitcnt vmcnt(0)
	v_lshlrev_b32_e32 v15, 16, v15
	s_or_b64 exec, exec, s[36:37]
	s_and_saveexec_b64 s[36:37], s[6:7]
	s_cbranch_execz .LBB109_37
.LBB109_44:                             ;   in Loop: Header=BB109_5 Depth=1
	v_lshl_add_u64 v[58:59], v[42:43], 0, v[24:25]
	global_load_ushort v3, v[58:59], off
	v_lshl_add_u64 v[58:59], v[44:45], 0, v[24:25]
	global_load_ushort v16, v[58:59], off
	s_waitcnt vmcnt(1)
	v_lshlrev_b32_e32 v8, 16, v3
	s_waitcnt vmcnt(0)
	v_lshlrev_b32_e32 v16, 16, v16
	s_or_b64 exec, exec, s[36:37]
	s_and_saveexec_b64 s[36:37], s[6:7]
	s_cbranch_execz .LBB109_38
.LBB109_45:                             ;   in Loop: Header=BB109_5 Depth=1
	v_lshl_add_u64 v[58:59], v[38:39], 0, v[24:25]
	global_load_ushort v3, v[58:59], off
	v_lshl_add_u64 v[58:59], v[40:41], 0, v[24:25]
	global_load_ushort v17, v[58:59], off
	s_waitcnt vmcnt(1)
	v_lshlrev_b32_e32 v9, 16, v3
	s_waitcnt vmcnt(0)
	v_lshlrev_b32_e32 v17, 16, v17
	s_or_b64 exec, exec, s[36:37]
	s_and_saveexec_b64 s[36:37], s[6:7]
	s_cbranch_execz .LBB109_39
.LBB109_46:                             ;   in Loop: Header=BB109_5 Depth=1
	v_lshl_add_u64 v[58:59], v[34:35], 0, v[24:25]
	global_load_ushort v3, v[58:59], off
	v_lshl_add_u64 v[58:59], v[36:37], 0, v[24:25]
	global_load_ushort v18, v[58:59], off
	s_waitcnt vmcnt(1)
	v_lshlrev_b32_e32 v10, 16, v3
	s_waitcnt vmcnt(0)
	v_lshlrev_b32_e32 v18, 16, v18
	s_or_b64 exec, exec, s[36:37]
	s_and_saveexec_b64 s[36:37], s[6:7]
	s_cbranch_execz .LBB109_3
.LBB109_47:                             ;   in Loop: Header=BB109_5 Depth=1
	v_lshl_add_u64 v[58:59], v[30:31], 0, v[24:25]
	global_load_ushort v3, v[58:59], off
	v_lshl_add_u64 v[58:59], v[32:33], 0, v[24:25]
	global_load_ushort v19, v[58:59], off
	s_waitcnt vmcnt(1)
	v_lshlrev_b32_e32 v11, 16, v3
	s_waitcnt vmcnt(0)
	v_lshlrev_b32_e32 v19, 16, v19
	s_branch .LBB109_3
.LBB109_48:
                                        ; implicit-def: $vgpr21
	s_branch .LBB109_50
.LBB109_49:
	s_cbranch_execnz .LBB109_81
.LBB109_50:
	v_mov_b32_e32 v21, 0
	s_and_b64 vcc, exec, s[4:5]
	v_mov_b32_e32 v20, v21
	s_cbranch_vccnz .LBB109_81
; %bb.51:
	v_mov_b32_e32 v2, 0
	v_bfe_u32 v90, v0, 10, 10
	v_lshlrev_b32_e32 v6, 4, v90
	v_mov_b32_e32 v7, v2
	v_lshl_add_u64 v[6:7], s[10:11], 1, v[6:7]
	v_lshl_add_u64 v[8:9], v[6:7], 0, 2
	v_mov_b64_e32 v[10:11], s[16:17]
	v_lshl_add_u64 v[12:13], v[6:7], 0, 4
	v_lshl_add_u64 v[14:15], v[6:7], 0, 6
	;; [unrolled: 1-line block ×6, first 2 shown]
	v_mad_u64_u32 v[24:25], s[4:5], s14, v8, v[10:11]
	v_mad_u64_u32 v[26:27], s[4:5], s14, v12, v[10:11]
	;; [unrolled: 1-line block ×7, first 2 shown]
	v_mov_b64_e32 v[10:11], s[18:19]
	v_mul_lo_u32 v9, s14, v9
	v_mul_lo_u32 v40, s15, v8
	v_mad_u64_u32 v[38:39], s[4:5], s14, v8, v[10:11]
	v_add3_u32 v25, v40, v25, v9
	v_mul_lo_u32 v13, s14, v13
	v_mul_lo_u32 v42, s15, v12
	v_add3_u32 v39, v40, v39, v9
	v_mad_u64_u32 v[40:41], s[4:5], s14, v12, v[10:11]
	v_add3_u32 v27, v42, v27, v13
	v_mul_lo_u32 v15, s14, v15
	v_mul_lo_u32 v44, s15, v14
	v_add3_u32 v41, v42, v41, v13
	;; [unrolled: 5-line block ×4, first 2 shown]
	v_mad_u64_u32 v[46:47], s[4:5], s14, v18, v[10:11]
	v_lshlrev_b32_e32 v22, 3, v90
	v_mov_b32_e32 v23, v2
	v_add3_u32 v33, v48, v33, v19
	v_mul_lo_u32 v21, s14, v21
	v_mul_lo_u32 v50, s15, v20
	v_add3_u32 v47, v48, v47, v19
	v_mad_u64_u32 v[48:49], s[4:5], s14, v20, v[10:11]
	v_lshl_add_u64 v[4:5], v[22:23], 0, s[10:11]
	v_add3_u32 v35, v50, v35, v21
	v_mul_lo_u32 v7, s14, v7
	v_mul_lo_u32 v8, s15, v6
	v_add3_u32 v49, v50, v49, v21
	v_mad_u64_u32 v[50:51], s[4:5], s14, v6, v[10:11]
	v_add3_u32 v37, v8, v37, v7
	v_add3_u32 v51, v8, v51, v7
	v_lshl_add_u64 v[6:7], v[4:5], 0, 7
	v_mul_lo_u32 v8, s15, v6
	v_mul_lo_u32 v9, s14, v7
	v_mad_u64_u32 v[6:7], s[4:5], s14, v6, 0
	v_add3_u32 v7, v7, v9, v8
	v_lshl_add_u64 v[8:9], v[4:5], 0, 6
	v_mul_lo_u32 v10, s15, v8
	v_mul_lo_u32 v11, s14, v9
	v_mad_u64_u32 v[8:9], s[4:5], s14, v8, 0
	;; [unrolled: 5-line block ×5, first 2 shown]
	v_add3_u32 v15, v15, v17, v16
	v_lshl_add_u64 v[16:17], v[4:5], 0, 2
	v_mul_lo_u32 v52, s14, v5
	v_mul_lo_u32 v5, s15, v16
	;; [unrolled: 1-line block ×3, first 2 shown]
	v_mad_u64_u32 v[16:17], s[4:5], s14, v16, 0
	v_add3_u32 v17, v17, v18, v5
	v_mov_b64_e32 v[18:19], s[14:15]
	v_mul_lo_u32 v3, s15, v4
	v_mad_u64_u32 v[18:19], s[4:5], s14, v4, v[18:19]
	v_mad_u64_u32 v[4:5], s[4:5], s14, v4, 0
	v_and_b32_e32 v1, 0x3ff, v0
	v_add3_u32 v5, v5, v52, v3
	v_add_u32_e32 v20, s3, v1
	s_load_dword s3, s[0:1], 0x44
	v_lshlrev_b64 v[4:5], 1, v[4:5]
	v_lshl_add_u64 v[54:55], s[16:17], 0, v[4:5]
	v_lshl_add_u64 v[56:57], s[18:19], 0, v[4:5]
	v_lshlrev_b64 v[4:5], 1, v[6:7]
	v_lshl_add_u64 v[58:59], s[16:17], 0, v[4:5]
	v_lshl_add_u64 v[60:61], s[18:19], 0, v[4:5]
	;; [unrolled: 3-line block ×3, first 2 shown]
	v_lshlrev_b64 v[4:5], 1, v[10:11]
	s_add_u32 s6, s0, 64
	v_lshl_add_u64 v[66:67], s[16:17], 0, v[4:5]
	v_lshl_add_u64 v[68:69], s[18:19], 0, v[4:5]
	v_lshlrev_b64 v[4:5], 1, v[12:13]
	v_add3_u32 v19, v3, v19, v52
	s_addc_u32 s7, s1, 0
	s_waitcnt lgkmcnt(0)
	s_lshl_b32 s4, s3, 3
	v_lshl_add_u64 v[70:71], s[16:17], 0, v[4:5]
	v_lshl_add_u64 v[72:73], s[18:19], 0, v[4:5]
	v_lshlrev_b64 v[4:5], 1, v[14:15]
	v_mbcnt_lo_u32_b32 v3, -1, 0
	s_mul_i32 s3, s15, s4
	s_mul_hi_u32 s9, s14, s4
	v_lshl_add_u64 v[74:75], s[16:17], 0, v[4:5]
	v_lshl_add_u64 v[76:77], s[18:19], 0, v[4:5]
	v_lshlrev_b64 v[4:5], 1, v[16:17]
	v_mbcnt_hi_u32_b32 v3, -1, v3
	v_mov_b32_e32 v21, v2
	s_add_i32 s25, s9, s3
	s_mul_i32 s24, s14, s4
	v_lshl_add_u64 v[78:79], s[16:17], 0, v[4:5]
	v_lshl_add_u64 v[80:81], s[18:19], 0, v[4:5]
	v_lshlrev_b64 v[4:5], 1, v[18:19]
	v_lshlrev_b32_e32 v3, 2, v3
	s_mov_b32 s5, 0
	v_lshlrev_b64 v[52:53], 1, v[20:21]
	s_lshl_b64 s[24:25], s[24:25], 1
	s_mov_b64 s[26:27], 7
	v_lshl_add_u64 v[82:83], s[16:17], 0, v[4:5]
	v_lshl_add_u64 v[84:85], s[18:19], 0, v[4:5]
	v_and_b32_e32 v91, 0x100, v3
	s_mov_b64 s[16:17], s[10:11]
	v_mov_b32_e32 v20, 0
	s_branch .LBB109_55
.LBB109_52:                             ;   in Loop: Header=BB109_55 Depth=1
	s_or_b64 exec, exec, s[28:29]
.LBB109_53:                             ;   in Loop: Header=BB109_55 Depth=1
	s_or_b64 exec, exec, s[18:19]
	v_lshl_add_u64 v[4:5], v[54:55], 0, v[52:53]
	global_load_ushort v7, v[4:5], off
	v_lshl_add_u64 v[4:5], v[56:57], 0, v[52:53]
	global_load_ushort v8, v[4:5], off
	;; [unrolled: 2-line block ×16, first 2 shown]
	s_waitcnt vmcnt(17)
	ds_bpermute_b32 v89, v91, v6
	ds_bpermute_b32 v93, v91, v6 offset:4
	s_waitcnt vmcnt(16)
	ds_bpermute_b32 v88, v91, v3
	ds_bpermute_b32 v95, v91, v6 offset:8
	ds_bpermute_b32 v92, v91, v3 offset:4
	;; [unrolled: 1-line block ×13, first 2 shown]
	s_waitcnt vmcnt(15)
	v_lshlrev_b32_e32 v4, 16, v7
	s_waitcnt vmcnt(14)
	v_lshlrev_b32_e32 v7, 16, v8
	;; [unrolled: 2-line block ×16, first 2 shown]
	s_waitcnt lgkmcnt(14)
	v_sub_f32_e32 v5, v7, v89
	v_sub_f32_e32 v7, v9, v93
	v_mul_f32_e32 v5, v5, v4
	s_waitcnt lgkmcnt(12)
	v_sub_f32_e32 v9, v11, v95
	v_mul_f32_e32 v7, v7, v6
	v_mul_f32_e32 v5, v5, v88
	s_waitcnt lgkmcnt(10)
	v_sub_f32_e32 v11, v13, v97
	v_mul_f32_e32 v9, v9, v8
	v_mul_f32_e32 v7, v7, v92
	v_pk_add_f32 v[4:5], v[86:87], v[4:5]
	s_waitcnt lgkmcnt(8)
	v_sub_f32_e32 v13, v15, v99
	v_mul_f32_e32 v11, v11, v10
	v_mul_f32_e32 v9, v9, v94
	v_pk_add_f32 v[4:5], v[4:5], v[6:7]
	;; [unrolled: 5-line block ×3, first 2 shown]
	s_waitcnt lgkmcnt(5)
	v_sub_f32_e32 v17, v19, v103
	v_mul_f32_e32 v15, v15, v14
	s_waitcnt lgkmcnt(3)
	v_mul_f32_e32 v13, v13, v98
	v_pk_add_f32 v[4:5], v[4:5], v[10:11]
	v_mul_f32_e32 v17, v17, v16
	s_waitcnt lgkmcnt(2)
	v_mul_f32_e32 v15, v15, v100
	v_pk_add_f32 v[4:5], v[4:5], v[12:13]
	v_sub_f32_e32 v6, v20, v104
	s_waitcnt lgkmcnt(1)
	v_mul_f32_e32 v17, v17, v102
	v_pk_add_f32 v[4:5], v[4:5], v[14:15]
	v_mul_f32_e32 v6, v6, v18
	v_pk_add_f32 v[4:5], v[4:5], v[16:17]
	s_waitcnt lgkmcnt(0)
	v_mul_f32_e32 v19, v6, v3
	v_pk_add_f32 v[20:21], v[4:5], v[18:19]
.LBB109_54:                             ;   in Loop: Header=BB109_55 Depth=1
	s_add_u32 s16, s16, s4
	s_addc_u32 s17, s17, 0
	v_mov_b64_e32 v[4:5], s[12:13]
	s_add_u32 s26, s26, s4
	v_cmp_ge_i64_e32 vcc, s[16:17], v[4:5]
	v_lshl_add_u64 v[54:55], v[54:55], 0, s[24:25]
	v_lshl_add_u64 v[56:57], v[56:57], 0, s[24:25]
	v_lshl_add_u64 v[22:23], v[22:23], 0, s[4:5]
	v_lshl_add_u64 v[24:25], v[24:25], 0, s[24:25]
	v_lshl_add_u64 v[26:27], v[26:27], 0, s[24:25]
	v_lshl_add_u64 v[28:29], v[28:29], 0, s[24:25]
	v_lshl_add_u64 v[30:31], v[30:31], 0, s[24:25]
	v_lshl_add_u64 v[32:33], v[32:33], 0, s[24:25]
	v_lshl_add_u64 v[34:35], v[34:35], 0, s[24:25]
	v_lshl_add_u64 v[36:37], v[36:37], 0, s[24:25]
	v_lshl_add_u64 v[38:39], v[38:39], 0, s[24:25]
	v_lshl_add_u64 v[40:41], v[40:41], 0, s[24:25]
	v_lshl_add_u64 v[42:43], v[42:43], 0, s[24:25]
	v_lshl_add_u64 v[44:45], v[44:45], 0, s[24:25]
	v_lshl_add_u64 v[46:47], v[46:47], 0, s[24:25]
	v_lshl_add_u64 v[48:49], v[48:49], 0, s[24:25]
	v_lshl_add_u64 v[50:51], v[50:51], 0, s[24:25]
	v_lshl_add_u64 v[58:59], v[58:59], 0, s[24:25]
	v_lshl_add_u64 v[60:61], v[60:61], 0, s[24:25]
	v_lshl_add_u64 v[62:63], v[62:63], 0, s[24:25]
	v_lshl_add_u64 v[64:65], v[64:65], 0, s[24:25]
	v_lshl_add_u64 v[66:67], v[66:67], 0, s[24:25]
	v_lshl_add_u64 v[68:69], v[68:69], 0, s[24:25]
	v_lshl_add_u64 v[70:71], v[70:71], 0, s[24:25]
	v_lshl_add_u64 v[72:73], v[72:73], 0, s[24:25]
	v_lshl_add_u64 v[74:75], v[74:75], 0, s[24:25]
	v_lshl_add_u64 v[76:77], v[76:77], 0, s[24:25]
	v_lshl_add_u64 v[78:79], v[78:79], 0, s[24:25]
	v_lshl_add_u64 v[80:81], v[80:81], 0, s[24:25]
	v_lshl_add_u64 v[82:83], v[82:83], 0, s[24:25]
	v_lshl_add_u64 v[84:85], v[84:85], 0, s[24:25]
	s_addc_u32 s27, 0, s27
	s_cbranch_vccnz .LBB109_81
.LBB109_55:                             ; =>This Inner Loop Header: Depth=1
	s_add_u32 s18, s10, s26
	s_addc_u32 s19, 0, s27
	v_mov_b64_e32 v[4:5], s[12:13]
	v_cmp_ge_i64_e32 vcc, s[18:19], v[4:5]
	v_mov_b32_e32 v86, v20
	v_mov_b32_e32 v87, v21
	v_lshl_add_u64 v[88:89], s[10:11], 0, v[22:23]
	s_mov_b64 s[18:19], -1
                                        ; implicit-def: $vgpr21
	s_cbranch_vccz .LBB109_77
; %bb.56:                               ;   in Loop: Header=BB109_55 Depth=1
	s_load_dword s3, s[6:7], 0xc
	v_mov_b32_e32 v20, 0
	v_mov_b32_e32 v21, 0
	s_waitcnt lgkmcnt(0)
	s_and_b32 s3, s3, 0xffff
	v_mad_u32_u24 v3, v90, s3, v1
	v_and_b32_e32 v4, 63, v3
	v_cmp_gt_u32_e32 vcc, 8, v4
	s_and_saveexec_b64 s[18:19], vcc
	s_cbranch_execz .LBB109_60
; %bb.57:                               ;   in Loop: Header=BB109_55 Depth=1
	v_mov_b32_e32 v5, v2
	v_lshl_add_u64 v[4:5], v[88:89], 0, v[4:5]
	v_cmp_gt_i64_e32 vcc, s[12:13], v[4:5]
	v_mov_b32_e32 v21, 0
	v_mov_b32_e32 v20, 0
	s_and_saveexec_b64 s[28:29], vcc
	s_cbranch_execz .LBB109_59
; %bb.58:                               ;   in Loop: Header=BB109_55 Depth=1
	v_lshlrev_b64 v[4:5], 2, v[4:5]
	v_lshl_add_u64 v[6:7], s[22:23], 0, v[4:5]
	v_lshl_add_u64 v[4:5], s[20:21], 0, v[4:5]
	global_load_dword v21, v[4:5], off
	global_load_dword v20, v[6:7], off
.LBB109_59:                             ;   in Loop: Header=BB109_55 Depth=1
	s_or_b64 exec, exec, s[28:29]
.LBB109_60:                             ;   in Loop: Header=BB109_55 Depth=1
	s_or_b64 exec, exec, s[18:19]
	v_mov_b32_e32 v8, v2
	v_mov_b32_e32 v9, v2
	;; [unrolled: 1-line block ×7, first 2 shown]
	v_mov_b64_e32 v[18:19], v[8:9]
	v_mov_b64_e32 v[16:17], v[6:7]
	;; [unrolled: 1-line block ×5, first 2 shown]
	v_cmp_gt_i64_e32 vcc, s[12:13], v[88:89]
	v_mov_b64_e32 v[8:9], v[6:7]
	v_mov_b64_e32 v[6:7], v[4:5]
	v_mov_b64_e32 v[4:5], v[2:3]
	s_and_saveexec_b64 s[18:19], vcc
	s_cbranch_execz .LBB109_62
; %bb.61:                               ;   in Loop: Header=BB109_55 Depth=1
	v_lshl_add_u64 v[4:5], v[54:55], 0, v[52:53]
	global_load_ushort v3, v[4:5], off
	v_lshl_add_u64 v[4:5], v[56:57], 0, v[52:53]
	global_load_ushort v12, v[4:5], off
	v_mov_b32_e32 v5, v2
	v_mov_b32_e32 v6, v2
	;; [unrolled: 1-line block ×14, first 2 shown]
	s_waitcnt vmcnt(1)
	v_lshlrev_b32_e32 v4, 16, v3
	s_waitcnt vmcnt(0)
	v_lshlrev_b32_e32 v12, 16, v12
.LBB109_62:                             ;   in Loop: Header=BB109_55 Depth=1
	s_or_b64 exec, exec, s[18:19]
	v_lshl_add_u64 v[92:93], v[88:89], 0, 1
	v_cmp_gt_i64_e32 vcc, s[12:13], v[92:93]
	s_and_saveexec_b64 s[18:19], vcc
	s_cbranch_execz .LBB109_64
; %bb.63:                               ;   in Loop: Header=BB109_55 Depth=1
	v_lshl_add_u64 v[92:93], v[82:83], 0, v[52:53]
	global_load_ushort v3, v[92:93], off
	v_lshl_add_u64 v[92:93], v[84:85], 0, v[52:53]
	global_load_ushort v13, v[92:93], off
	s_waitcnt vmcnt(1)
	v_lshlrev_b32_e32 v5, 16, v3
	s_waitcnt vmcnt(0)
	v_lshlrev_b32_e32 v13, 16, v13
.LBB109_64:                             ;   in Loop: Header=BB109_55 Depth=1
	s_or_b64 exec, exec, s[18:19]
	v_lshl_add_u64 v[92:93], v[88:89], 0, 2
	v_cmp_gt_i64_e32 vcc, s[12:13], v[92:93]
	s_and_saveexec_b64 s[18:19], vcc
	s_cbranch_execz .LBB109_66
; %bb.65:                               ;   in Loop: Header=BB109_55 Depth=1
	v_lshl_add_u64 v[92:93], v[78:79], 0, v[52:53]
	global_load_ushort v3, v[92:93], off
	v_lshl_add_u64 v[92:93], v[80:81], 0, v[52:53]
	global_load_ushort v14, v[92:93], off
	s_waitcnt vmcnt(1)
	v_lshlrev_b32_e32 v6, 16, v3
	s_waitcnt vmcnt(0)
	v_lshlrev_b32_e32 v14, 16, v14
.LBB109_66:                             ;   in Loop: Header=BB109_55 Depth=1
	;; [unrolled: 15-line block ×7, first 2 shown]
	s_or_b64 exec, exec, s[18:19]
	s_waitcnt vmcnt(1)
	ds_bpermute_b32 v3, v91, v21
	s_waitcnt vmcnt(0)
	ds_bpermute_b32 v92, v91, v20
	ds_bpermute_b32 v95, v91, v21 offset:4
	ds_bpermute_b32 v94, v91, v20 offset:4
	;; [unrolled: 1-line block ×3, first 2 shown]
	s_waitcnt lgkmcnt(4)
	v_sub_f32_e32 v3, v12, v3
	v_mul_f32_e32 v3, v4, v3
	ds_bpermute_b32 v12, v91, v20 offset:8
	s_waitcnt lgkmcnt(4)
	v_mul_f32_e32 v93, v3, v92
	s_waitcnt lgkmcnt(3)
	v_sub_f32_e32 v3, v13, v95
	v_mul_f32_e32 v3, v5, v3
	s_waitcnt lgkmcnt(2)
	v_mul_f32_e32 v13, v3, v94
	s_waitcnt lgkmcnt(1)
	v_sub_f32_e32 v3, v14, v96
	ds_bpermute_b32 v14, v91, v21 offset:12
	v_mul_f32_e32 v3, v6, v3
	s_waitcnt lgkmcnt(1)
	v_mul_f32_e32 v95, v3, v12
	ds_bpermute_b32 v3, v91, v20 offset:12
	ds_bpermute_b32 v12, v91, v21 offset:16
	;; [unrolled: 1-line block ×3, first 2 shown]
	s_waitcnt lgkmcnt(3)
	v_sub_f32_e32 v14, v15, v14
	v_mul_f32_e32 v14, v7, v14
	s_waitcnt lgkmcnt(2)
	v_mul_f32_e32 v15, v14, v3
	s_waitcnt lgkmcnt(1)
	v_sub_f32_e32 v3, v16, v12
	ds_bpermute_b32 v12, v91, v21 offset:20
	v_mul_f32_e32 v3, v8, v3
	s_waitcnt lgkmcnt(1)
	v_mul_f32_e32 v97, v3, v92
	ds_bpermute_b32 v3, v91, v20 offset:20
	ds_bpermute_b32 v14, v91, v21 offset:24
	;; [unrolled: 1-line block ×3, first 2 shown]
	s_waitcnt lgkmcnt(3)
	v_sub_f32_e32 v12, v17, v12
	v_mul_f32_e32 v12, v9, v12
	s_waitcnt lgkmcnt(2)
	v_mul_f32_e32 v17, v12, v3
	s_waitcnt lgkmcnt(1)
	v_sub_f32_e32 v3, v18, v14
	v_mul_f32_e32 v3, v10, v3
	s_waitcnt lgkmcnt(0)
	v_mul_f32_e32 v99, v3, v16
	v_mov_b32_e32 v92, v4
	ds_bpermute_b32 v3, v91, v21 offset:28
	v_pk_add_f32 v[92:93], v[86:87], v[92:93]
	v_mov_b32_e32 v12, v5
	v_pk_add_f32 v[4:5], v[12:13], v[92:93]
	v_mov_b32_e32 v94, v6
	ds_bpermute_b32 v6, v91, v20 offset:28
	v_pk_add_f32 v[4:5], v[94:95], v[4:5]
	v_mov_b32_e32 v14, v7
	v_pk_add_f32 v[4:5], v[14:15], v[4:5]
	v_mov_b32_e32 v96, v8
	;; [unrolled: 2-line block ×3, first 2 shown]
	s_waitcnt lgkmcnt(1)
	v_sub_f32_e32 v3, v19, v3
	v_pk_add_f32 v[4:5], v[16:17], v[4:5]
	v_mov_b32_e32 v98, v10
	v_mul_f32_e32 v3, v11, v3
	v_pk_add_f32 v[4:5], v[98:99], v[4:5]
	s_waitcnt lgkmcnt(0)
	v_mul_f32_e32 v7, v3, v6
	v_mov_b32_e32 v6, v11
	v_pk_add_f32 v[20:21], v[6:7], v[4:5]
	s_mov_b64 s[18:19], 0
.LBB109_77:                             ;   in Loop: Header=BB109_55 Depth=1
	s_and_b64 vcc, exec, s[18:19]
	s_cbranch_vccz .LBB109_54
; %bb.78:                               ;   in Loop: Header=BB109_55 Depth=1
	s_load_dword s3, s[6:7], 0x0
	v_mov_b32_e32 v3, 0
	v_mov_b32_e32 v6, 0
	s_waitcnt lgkmcnt(0)
	s_cmp_lt_u32 s2, s3
	s_cselect_b32 s3, 12, 18
	s_add_u32 s18, s6, s3
	s_addc_u32 s19, s7, 0
	global_load_ushort v4, v2, s[18:19]
	s_waitcnt vmcnt(0)
	v_mad_u32_u24 v4, v90, v4, v1
	v_and_b32_e32 v4, 63, v4
	v_cmp_gt_u32_e32 vcc, 8, v4
	s_and_saveexec_b64 s[18:19], vcc
	s_cbranch_execz .LBB109_53
; %bb.79:                               ;   in Loop: Header=BB109_55 Depth=1
	v_mov_b32_e32 v5, v2
	v_lshl_add_u64 v[4:5], v[88:89], 0, v[4:5]
	v_cmp_gt_i64_e32 vcc, s[12:13], v[4:5]
	v_mov_b32_e32 v6, 0
	v_mov_b32_e32 v3, 0
	s_and_saveexec_b64 s[28:29], vcc
	s_cbranch_execz .LBB109_52
; %bb.80:                               ;   in Loop: Header=BB109_55 Depth=1
	v_lshlrev_b64 v[4:5], 2, v[4:5]
	v_lshl_add_u64 v[8:9], s[22:23], 0, v[4:5]
	v_lshl_add_u64 v[4:5], s[20:21], 0, v[4:5]
	global_load_dword v6, v[4:5], off
	global_load_dword v3, v[8:9], off
	s_branch .LBB109_52
.LBB109_81:
	s_mov_b32 s3, 0
	s_lshl_b64 s[2:3], s[2:3], 5
	v_and_b32_e32 v1, 0x3ff, v0
	v_or_b32_e32 v2, s2, v1
	v_mov_b32_e32 v3, s3
	v_cmp_gt_i64_e32 vcc, s[14:15], v[2:3]
	s_and_saveexec_b64 s[2:3], vcc
	s_cbranch_execz .LBB109_86
; %bb.82:
	s_load_dword s2, s[0:1], 0x4c
	s_load_dwordx4 s[4:7], s[0:1], 0x30
	v_bfe_u32 v0, v0, 10, 10
	v_mov_b32_e32 v1, 0
	v_mov_b32_e32 v4, s8
	s_waitcnt lgkmcnt(0)
	s_lshr_b32 s0, s2, 16
	v_mad_u64_u32 v[0:1], s[0:1], s0, v4, v[0:1]
	s_cmp_eq_u64 s[4:5], 0
	v_mul_lo_u32 v1, v1, s14
	v_mul_lo_u32 v4, v0, s15
	s_cbranch_scc1 .LBB109_84
; %bb.83:
	v_bfe_u32 v5, v21, 16, 1
	s_movk_i32 s0, 0x7fff
	v_add3_u32 v5, v21, v5, s0
	v_cmp_o_f32_e32 vcc, v21, v21
	v_mov_b32_e32 v6, 0x7fc0
	s_nop 0
	v_cndmask_b32_sdwa v5, v6, v5, vcc dst_sel:DWORD dst_unused:UNUSED_PAD src0_sel:DWORD src1_sel:WORD_1
	v_mad_u64_u32 v[6:7], s[0:1], v0, s14, 0
	v_add3_u32 v7, v7, v4, v1
	v_lshl_add_u64 v[6:7], v[6:7], 1, s[4:5]
	v_lshl_add_u64 v[6:7], v[2:3], 1, v[6:7]
	global_store_short v[6:7], v5, off
.LBB109_84:
	s_cmp_eq_u64 s[6:7], 0
	s_cbranch_scc1 .LBB109_86
; %bb.85:
	v_bfe_u32 v5, v20, 16, 1
	s_movk_i32 s0, 0x7fff
	v_add3_u32 v5, v20, v5, s0
	v_cmp_o_f32_e32 vcc, v20, v20
	v_mov_b32_e32 v6, 0x7fc0
	s_nop 0
	v_cndmask_b32_sdwa v5, v6, v5, vcc dst_sel:DWORD dst_unused:UNUSED_PAD src0_sel:DWORD src1_sel:WORD_1
	v_mad_u64_u32 v[6:7], s[0:1], v0, s14, 0
	v_add3_u32 v7, v7, v4, v1
	v_lshl_add_u64 v[0:1], v[6:7], 1, s[6:7]
	v_lshl_add_u64 v[0:1], v[2:3], 1, v[0:1]
	global_store_short v[0:1], v5, off
.LBB109_86:
	s_endpgm
	.section	.rodata,"a",@progbits
	.p2align	6, 0x0
	.amdhsa_kernel _ZN2at6native12_GLOBAL__N_135GammaBetaBackwardCUDAKernelTemplateIN3c108BFloat16EfLj32ELj1ELj8ELb1ELb0ELb0EEEvllPKT_S7_PKT0_SA_PS5_SB_
		.amdhsa_group_segment_fixed_size 0
		.amdhsa_private_segment_fixed_size 0
		.amdhsa_kernarg_size 320
		.amdhsa_user_sgpr_count 2
		.amdhsa_user_sgpr_dispatch_ptr 0
		.amdhsa_user_sgpr_queue_ptr 0
		.amdhsa_user_sgpr_kernarg_segment_ptr 1
		.amdhsa_user_sgpr_dispatch_id 0
		.amdhsa_user_sgpr_kernarg_preload_length 0
		.amdhsa_user_sgpr_kernarg_preload_offset 0
		.amdhsa_user_sgpr_private_segment_size 0
		.amdhsa_uses_dynamic_stack 0
		.amdhsa_enable_private_segment 0
		.amdhsa_system_sgpr_workgroup_id_x 1
		.amdhsa_system_sgpr_workgroup_id_y 1
		.amdhsa_system_sgpr_workgroup_id_z 0
		.amdhsa_system_sgpr_workgroup_info 0
		.amdhsa_system_vgpr_workitem_id 1
		.amdhsa_next_free_vgpr 105
		.amdhsa_next_free_sgpr 40
		.amdhsa_accum_offset 108
		.amdhsa_reserve_vcc 1
		.amdhsa_float_round_mode_32 0
		.amdhsa_float_round_mode_16_64 0
		.amdhsa_float_denorm_mode_32 3
		.amdhsa_float_denorm_mode_16_64 3
		.amdhsa_dx10_clamp 1
		.amdhsa_ieee_mode 1
		.amdhsa_fp16_overflow 0
		.amdhsa_tg_split 0
		.amdhsa_exception_fp_ieee_invalid_op 0
		.amdhsa_exception_fp_denorm_src 0
		.amdhsa_exception_fp_ieee_div_zero 0
		.amdhsa_exception_fp_ieee_overflow 0
		.amdhsa_exception_fp_ieee_underflow 0
		.amdhsa_exception_fp_ieee_inexact 0
		.amdhsa_exception_int_div_zero 0
	.end_amdhsa_kernel
	.section	.text._ZN2at6native12_GLOBAL__N_135GammaBetaBackwardCUDAKernelTemplateIN3c108BFloat16EfLj32ELj1ELj8ELb1ELb0ELb0EEEvllPKT_S7_PKT0_SA_PS5_SB_,"axG",@progbits,_ZN2at6native12_GLOBAL__N_135GammaBetaBackwardCUDAKernelTemplateIN3c108BFloat16EfLj32ELj1ELj8ELb1ELb0ELb0EEEvllPKT_S7_PKT0_SA_PS5_SB_,comdat
.Lfunc_end109:
	.size	_ZN2at6native12_GLOBAL__N_135GammaBetaBackwardCUDAKernelTemplateIN3c108BFloat16EfLj32ELj1ELj8ELb1ELb0ELb0EEEvllPKT_S7_PKT0_SA_PS5_SB_, .Lfunc_end109-_ZN2at6native12_GLOBAL__N_135GammaBetaBackwardCUDAKernelTemplateIN3c108BFloat16EfLj32ELj1ELj8ELb1ELb0ELb0EEEvllPKT_S7_PKT0_SA_PS5_SB_
                                        ; -- End function
	.set _ZN2at6native12_GLOBAL__N_135GammaBetaBackwardCUDAKernelTemplateIN3c108BFloat16EfLj32ELj1ELj8ELb1ELb0ELb0EEEvllPKT_S7_PKT0_SA_PS5_SB_.num_vgpr, 105
	.set _ZN2at6native12_GLOBAL__N_135GammaBetaBackwardCUDAKernelTemplateIN3c108BFloat16EfLj32ELj1ELj8ELb1ELb0ELb0EEEvllPKT_S7_PKT0_SA_PS5_SB_.num_agpr, 0
	.set _ZN2at6native12_GLOBAL__N_135GammaBetaBackwardCUDAKernelTemplateIN3c108BFloat16EfLj32ELj1ELj8ELb1ELb0ELb0EEEvllPKT_S7_PKT0_SA_PS5_SB_.numbered_sgpr, 40
	.set _ZN2at6native12_GLOBAL__N_135GammaBetaBackwardCUDAKernelTemplateIN3c108BFloat16EfLj32ELj1ELj8ELb1ELb0ELb0EEEvllPKT_S7_PKT0_SA_PS5_SB_.num_named_barrier, 0
	.set _ZN2at6native12_GLOBAL__N_135GammaBetaBackwardCUDAKernelTemplateIN3c108BFloat16EfLj32ELj1ELj8ELb1ELb0ELb0EEEvllPKT_S7_PKT0_SA_PS5_SB_.private_seg_size, 0
	.set _ZN2at6native12_GLOBAL__N_135GammaBetaBackwardCUDAKernelTemplateIN3c108BFloat16EfLj32ELj1ELj8ELb1ELb0ELb0EEEvllPKT_S7_PKT0_SA_PS5_SB_.uses_vcc, 1
	.set _ZN2at6native12_GLOBAL__N_135GammaBetaBackwardCUDAKernelTemplateIN3c108BFloat16EfLj32ELj1ELj8ELb1ELb0ELb0EEEvllPKT_S7_PKT0_SA_PS5_SB_.uses_flat_scratch, 0
	.set _ZN2at6native12_GLOBAL__N_135GammaBetaBackwardCUDAKernelTemplateIN3c108BFloat16EfLj32ELj1ELj8ELb1ELb0ELb0EEEvllPKT_S7_PKT0_SA_PS5_SB_.has_dyn_sized_stack, 0
	.set _ZN2at6native12_GLOBAL__N_135GammaBetaBackwardCUDAKernelTemplateIN3c108BFloat16EfLj32ELj1ELj8ELb1ELb0ELb0EEEvllPKT_S7_PKT0_SA_PS5_SB_.has_recursion, 0
	.set _ZN2at6native12_GLOBAL__N_135GammaBetaBackwardCUDAKernelTemplateIN3c108BFloat16EfLj32ELj1ELj8ELb1ELb0ELb0EEEvllPKT_S7_PKT0_SA_PS5_SB_.has_indirect_call, 0
	.section	.AMDGPU.csdata,"",@progbits
; Kernel info:
; codeLenInByte = 7156
; TotalNumSgprs: 46
; NumVgprs: 105
; NumAgprs: 0
; TotalNumVgprs: 105
; ScratchSize: 0
; MemoryBound: 0
; FloatMode: 240
; IeeeMode: 1
; LDSByteSize: 0 bytes/workgroup (compile time only)
; SGPRBlocks: 5
; VGPRBlocks: 13
; NumSGPRsForWavesPerEU: 46
; NumVGPRsForWavesPerEU: 105
; AccumOffset: 108
; Occupancy: 4
; WaveLimiterHint : 0
; COMPUTE_PGM_RSRC2:SCRATCH_EN: 0
; COMPUTE_PGM_RSRC2:USER_SGPR: 2
; COMPUTE_PGM_RSRC2:TRAP_HANDLER: 0
; COMPUTE_PGM_RSRC2:TGID_X_EN: 1
; COMPUTE_PGM_RSRC2:TGID_Y_EN: 1
; COMPUTE_PGM_RSRC2:TGID_Z_EN: 0
; COMPUTE_PGM_RSRC2:TIDIG_COMP_CNT: 1
; COMPUTE_PGM_RSRC3_GFX90A:ACCUM_OFFSET: 26
; COMPUTE_PGM_RSRC3_GFX90A:TG_SPLIT: 0
	.section	.text._ZN2at6native12_GLOBAL__N_135GammaBetaBackwardCUDAKernelTemplateIN3c108BFloat16EfLj32ELj8ELj64ELb0ELb1ELb0EEEvllPKT_S7_PKT0_SA_PS5_SB_,"axG",@progbits,_ZN2at6native12_GLOBAL__N_135GammaBetaBackwardCUDAKernelTemplateIN3c108BFloat16EfLj32ELj8ELj64ELb0ELb1ELb0EEEvllPKT_S7_PKT0_SA_PS5_SB_,comdat
	.globl	_ZN2at6native12_GLOBAL__N_135GammaBetaBackwardCUDAKernelTemplateIN3c108BFloat16EfLj32ELj8ELj64ELb0ELb1ELb0EEEvllPKT_S7_PKT0_SA_PS5_SB_ ; -- Begin function _ZN2at6native12_GLOBAL__N_135GammaBetaBackwardCUDAKernelTemplateIN3c108BFloat16EfLj32ELj8ELj64ELb0ELb1ELb0EEEvllPKT_S7_PKT0_SA_PS5_SB_
	.p2align	8
	.type	_ZN2at6native12_GLOBAL__N_135GammaBetaBackwardCUDAKernelTemplateIN3c108BFloat16EfLj32ELj8ELj64ELb0ELb1ELb0EEEvllPKT_S7_PKT0_SA_PS5_SB_,@function
_ZN2at6native12_GLOBAL__N_135GammaBetaBackwardCUDAKernelTemplateIN3c108BFloat16EfLj32ELj8ELj64ELb0ELb1ELb0EEEvllPKT_S7_PKT0_SA_PS5_SB_: ; @_ZN2at6native12_GLOBAL__N_135GammaBetaBackwardCUDAKernelTemplateIN3c108BFloat16EfLj32ELj8ELj64ELb0ELb1ELb0EEEvllPKT_S7_PKT0_SA_PS5_SB_
; %bb.0:
	s_load_dwordx4 s[16:19], s[0:1], 0x0
	s_lshl_b32 s20, s3, 6
	s_mov_b32 s21, 0
	v_mov_b64_e32 v[2:3], s[20:21]
	v_bfe_u32 v12, v0, 10, 10
	s_waitcnt lgkmcnt(0)
	v_cmp_gt_i64_e32 vcc, s[16:17], v[2:3]
	s_cbranch_vccnz .LBB110_2
; %bb.1:
	s_mov_b64 s[4:5], 0
	v_bfe_u32 v2, v0, 10, 10
	s_branch .LBB110_3
.LBB110_2:
	s_mov_b64 s[4:5], -1
                                        ; implicit-def: $vgpr2
.LBB110_3:
	s_load_dwordx4 s[12:15], s[0:1], 0x30
	v_mov_b32_e32 v1, 0
	v_and_b32_e32 v10, 0x3ff, v0
	s_andn2_b64 vcc, exec, s[4:5]
	v_mbcnt_lo_u32_b32 v11, -1, 0
	v_mov_b32_e32 v0, v1
	s_cbranch_vccnz .LBB110_11
; %bb.4:
	s_load_dword s3, s[0:1], 0x4c
	s_load_dword s22, s[0:1], 0x44
	s_load_dwordx8 s[4:11], s[0:1], 0x10
	v_lshlrev_b32_e32 v0, 3, v12
	v_mbcnt_hi_u32_b32 v4, -1, v11
	s_waitcnt lgkmcnt(0)
	s_and_b32 s0, s3, 0xffff
	v_mad_u32_u24 v1, v12, s0, v10
	v_and_b32_e32 v2, 63, v1
	v_mov_b32_e32 v1, 0
	v_mov_b32_e32 v3, v1
	v_lshl_add_u64 v[8:9], v[0:1], 0, s[20:21]
	v_cmp_gt_u32_e64 s[0:1], 8, v2
	s_lshl_b32 s22, s22, 6
	v_lshl_add_u64 v[2:3], v[8:9], 0, v[2:3]
	v_mul_lo_u32 v0, s19, v8
	v_mul_lo_u32 v21, s18, v9
	v_mad_u64_u32 v[8:9], s[26:27], s18, v8, 0
	v_lshl_add_u32 v6, s2, 5, v10
	v_mov_b32_e32 v7, v1
	v_lshlrev_b32_e32 v4, 2, v4
	s_mul_i32 s3, s19, s22
	s_mul_hi_u32 s26, s18, s22
	s_mov_b32 s23, 0
	v_and_b32_e32 v13, 0x100, v4
	v_add3_u32 v9, v9, v21, v0
	v_lshlrev_b64 v[6:7], 1, v[6:7]
	s_add_i32 s27, s26, s3
	s_mul_i32 s26, s18, s22
	v_or_b32_e32 v14, 4, v13
	v_or_b32_e32 v15, 8, v13
	;; [unrolled: 1-line block ×7, first 2 shown]
	v_lshlrev_b64 v[4:5], 2, v[2:3]
	s_lshl_b64 s[24:25], s[22:23], 2
	v_lshl_add_u64 v[6:7], v[8:9], 1, v[6:7]
	s_lshl_b64 s[26:27], s[26:27], 1
	s_lshl_b64 s[18:19], s[18:19], 1
	v_mov_b64_e32 v[8:9], s[16:17]
	v_mov_b32_e32 v0, v1
	s_branch .LBB110_7
.LBB110_5:                              ;   in Loop: Header=BB110_7 Depth=1
	s_or_b64 exec, exec, s[30:31]
.LBB110_6:                              ;   in Loop: Header=BB110_7 Depth=1
	s_or_b64 exec, exec, s[28:29]
	v_lshl_add_u64 v[24:25], s[4:5], 0, v[6:7]
	v_lshl_add_u64 v[26:27], s[6:7], 0, v[6:7]
	global_load_ushort v23, v[24:25], off
	global_load_ushort v28, v[26:27], off
	v_lshl_add_u64 v[24:25], v[24:25], 0, s[18:19]
	v_lshl_add_u64 v[26:27], v[26:27], 0, s[18:19]
	global_load_ushort v29, v[24:25], off
	global_load_ushort v30, v[26:27], off
	;; [unrolled: 4-line block ×8, first 2 shown]
	s_waitcnt vmcnt(17)
	ds_bpermute_b32 v26, v13, v21
	ds_bpermute_b32 v43, v14, v21
	s_waitcnt vmcnt(16)
	ds_bpermute_b32 v25, v13, v22
	ds_bpermute_b32 v45, v15, v21
	ds_bpermute_b32 v27, v14, v22
	ds_bpermute_b32 v47, v16, v21
	ds_bpermute_b32 v44, v15, v22
	ds_bpermute_b32 v46, v16, v22
	ds_bpermute_b32 v48, v17, v22
	ds_bpermute_b32 v49, v17, v21
	ds_bpermute_b32 v50, v18, v22
	ds_bpermute_b32 v52, v19, v22
	ds_bpermute_b32 v54, v20, v22
	ds_bpermute_b32 v51, v18, v21
	ds_bpermute_b32 v53, v19, v21
	ds_bpermute_b32 v21, v20, v21
	s_add_u32 s20, s20, s22
	s_addc_u32 s21, s21, 0
	v_cmp_lt_i64_e32 vcc, s[20:21], v[8:9]
	v_lshl_add_u64 v[4:5], v[4:5], 0, s[24:25]
	v_lshl_add_u64 v[2:3], v[2:3], 0, s[22:23]
	;; [unrolled: 1-line block ×3, first 2 shown]
	s_and_b64 vcc, exec, vcc
	s_waitcnt vmcnt(15)
	v_lshlrev_b32_e32 v22, 16, v23
	s_waitcnt vmcnt(14)
	v_lshlrev_b32_e32 v23, 16, v28
	s_waitcnt lgkmcnt(14)
	v_sub_f32_e32 v23, v23, v26
	v_mul_f32_e32 v23, v23, v22
	s_waitcnt vmcnt(13)
	v_lshlrev_b32_e32 v24, 16, v29
	s_waitcnt vmcnt(12)
	v_lshlrev_b32_e32 v28, 16, v30
	v_sub_f32_e32 v30, v28, v43
	s_waitcnt lgkmcnt(13)
	v_mul_f32_e32 v23, v23, v25
	s_waitcnt vmcnt(11)
	v_lshlrev_b32_e32 v26, 16, v31
	s_waitcnt vmcnt(10)
	v_lshlrev_b32_e32 v29, 16, v32
	v_mul_f32_e32 v25, v30, v24
	s_waitcnt lgkmcnt(12)
	v_sub_f32_e32 v29, v29, v45
	s_waitcnt vmcnt(9)
	v_lshlrev_b32_e32 v28, 16, v33
	s_waitcnt vmcnt(8)
	v_lshlrev_b32_e32 v31, 16, v34
	s_waitcnt lgkmcnt(11)
	v_mul_f32_e32 v25, v25, v27
	v_mul_f32_e32 v27, v29, v26
	s_waitcnt lgkmcnt(10)
	v_sub_f32_e32 v29, v31, v47
	s_waitcnt vmcnt(6)
	v_lshlrev_b32_e32 v32, 16, v36
	v_pk_add_f32 v[0:1], v[0:1], v[22:23]
	v_lshlrev_b32_e32 v30, 16, v35
	s_waitcnt lgkmcnt(9)
	v_mul_f32_e32 v27, v27, v44
	s_waitcnt vmcnt(4)
	v_lshlrev_b32_e32 v23, 16, v38
	v_mul_f32_e32 v29, v29, v28
	s_waitcnt lgkmcnt(6)
	v_sub_f32_e32 v31, v32, v49
	v_pk_add_f32 v[0:1], v[0:1], v[24:25]
	v_lshlrev_b32_e32 v22, 16, v37
	s_waitcnt vmcnt(2)
	v_lshlrev_b32_e32 v25, 16, v40
	v_mul_f32_e32 v29, v29, v46
	v_mul_f32_e32 v31, v31, v30
	s_waitcnt lgkmcnt(2)
	v_sub_f32_e32 v23, v23, v51
	v_pk_add_f32 v[0:1], v[0:1], v[26:27]
	v_lshlrev_b32_e32 v24, 16, v39
	s_waitcnt vmcnt(0)
	v_lshlrev_b32_e32 v27, 16, v42
	v_mul_f32_e32 v31, v31, v48
	v_mul_f32_e32 v23, v23, v22
	s_waitcnt lgkmcnt(1)
	v_sub_f32_e32 v25, v25, v53
	v_pk_add_f32 v[0:1], v[0:1], v[28:29]
	v_lshlrev_b32_e32 v26, 16, v41
	v_mul_f32_e32 v23, v23, v50
	v_mul_f32_e32 v25, v25, v24
	v_pk_add_f32 v[0:1], v[0:1], v[30:31]
	s_waitcnt lgkmcnt(0)
	v_sub_f32_e32 v21, v27, v21
	v_mul_f32_e32 v25, v25, v52
	v_pk_add_f32 v[0:1], v[0:1], v[22:23]
	v_mul_f32_e32 v21, v21, v26
	v_pk_add_f32 v[0:1], v[0:1], v[24:25]
	v_mul_f32_e32 v27, v21, v54
	v_pk_add_f32 v[0:1], v[0:1], v[26:27]
	s_cbranch_vccz .LBB110_10
.LBB110_7:                              ; =>This Inner Loop Header: Depth=1
	v_mov_b32_e32 v22, 0
	v_mov_b32_e32 v21, 0
	s_and_saveexec_b64 s[28:29], s[0:1]
	s_cbranch_execz .LBB110_6
; %bb.8:                                ;   in Loop: Header=BB110_7 Depth=1
	v_cmp_gt_i64_e32 vcc, s[16:17], v[2:3]
	v_mov_b32_e32 v21, 0
	v_mov_b32_e32 v22, 0
	s_and_saveexec_b64 s[30:31], vcc
	s_cbranch_execz .LBB110_5
; %bb.9:                                ;   in Loop: Header=BB110_7 Depth=1
	v_lshl_add_u64 v[26:27], s[8:9], 0, v[4:5]
	v_lshl_add_u64 v[24:25], s[10:11], 0, v[4:5]
	global_load_dword v21, v[26:27], off
	global_load_dword v22, v[24:25], off
	s_branch .LBB110_5
.LBB110_10:
	v_mov_b32_e32 v2, v12
.LBB110_11:
	v_mad_u32_u24 v3, v2, 33, v10
	v_sub_u32_e32 v7, v3, v2
	s_movk_i32 s0, 0x800
	v_lshl_add_u32 v4, v3, 2, 0
	v_cmp_gt_u32_e32 vcc, s0, v7
	ds_write_b32 v4, v1
	ds_write_b32 v4, v0 offset:1056
	s_waitcnt lgkmcnt(0)
	s_barrier
	s_and_saveexec_b64 s[0:1], vcc
	s_cbranch_execz .LBB110_75
; %bb.12:
	v_and_b32_e32 v1, 63, v7
	v_lshrrev_b32_e32 v0, 6, v7
	v_cmp_lt_u32_e64 s[4:5], 7, v1
	v_cmp_gt_u32_e64 s[6:7], 8, v1
	v_mul_u32_u24_e32 v6, 33, v1
                                        ; implicit-def: $vgpr2
	s_and_saveexec_b64 s[0:1], s[6:7]
	s_cbranch_execz .LBB110_14
; %bb.13:
	v_add_u32_e32 v1, v0, v6
	v_lshl_add_u32 v1, v1, 2, 0
	ds_read_b32 v3, v1
	ds_read_b32 v2, v1 offset:1056
.LBB110_14:
	s_or_b64 exec, exec, s[0:1]
	v_mbcnt_hi_u32_b32 v1, -1, v11
	v_and_b32_e32 v4, 64, v1
	v_add_u32_e32 v11, 64, v4
	v_xor_b32_e32 v4, 4, v1
	v_cmp_lt_i32_e32 vcc, v4, v11
	v_xor_b32_e32 v9, 2, v1
	v_cmp_eq_u32_e64 s[0:1], 0, v10
	v_cndmask_b32_e32 v4, v1, v4, vcc
	v_lshlrev_b32_e32 v8, 2, v4
	s_waitcnt lgkmcnt(1)
	ds_bpermute_b32 v5, v8, v3
	s_waitcnt lgkmcnt(1)
	ds_bpermute_b32 v4, v8, v2
	v_cmp_lt_i32_e32 vcc, v9, v11
	v_xor_b32_e32 v10, 1, v1
	s_mov_b32 s3, 0
	v_cndmask_b32_e32 v9, v1, v9, vcc
	v_lshlrev_b32_e32 v9, 2, v9
	s_waitcnt lgkmcnt(0)
	v_pk_add_f32 v[2:3], v[2:3], v[4:5]
	ds_bpermute_b32 v5, v9, v3
	ds_bpermute_b32 v4, v9, v2
	v_cmp_lt_i32_e32 vcc, v10, v11
	s_lshl_b64 s[2:3], s[2:3], 5
	s_cmp_lg_u64 s[12:13], 0
	v_cndmask_b32_e32 v1, v1, v10, vcc
	v_lshlrev_b32_e32 v10, 2, v1
	s_waitcnt lgkmcnt(0)
	v_pk_add_f32 v[2:3], v[2:3], v[4:5]
	ds_bpermute_b32 v5, v10, v3
	ds_bpermute_b32 v4, v10, v2
	s_cselect_b64 s[10:11], -1, 0
	s_cmp_lg_u64 s[14:15], 0
	s_cselect_b64 s[8:9], -1, 0
	v_mov_b32_e32 v1, 0
	s_waitcnt lgkmcnt(0)
	v_pk_add_f32 v[2:3], v[2:3], v[4:5]
	s_and_saveexec_b64 s[16:17], s[0:1]
	s_cbranch_execz .LBB110_19
; %bb.15:
	v_mov_b32_e32 v5, s3
	s_andn2_b64 vcc, exec, s[10:11]
	v_or_b32_e32 v4, s2, v0
	s_cbranch_vccnz .LBB110_17
; %bb.16:
	v_bfe_u32 v11, v3, 16, 1
	s_movk_i32 s18, 0x7fff
	v_add3_u32 v11, v3, v11, s18
	v_cmp_o_f32_e32 vcc, v3, v3
	v_mov_b32_e32 v12, 0x7fc0
	s_nop 0
	v_cndmask_b32_sdwa v11, v12, v11, vcc dst_sel:DWORD dst_unused:UNUSED_PAD src0_sel:DWORD src1_sel:WORD_1
	v_lshl_add_u64 v[12:13], v[4:5], 1, s[12:13]
	global_store_short v[12:13], v11, off
.LBB110_17:
	s_andn2_b64 vcc, exec, s[8:9]
	s_cbranch_vccnz .LBB110_19
; %bb.18:
	v_bfe_u32 v11, v2, 16, 1
	s_movk_i32 s18, 0x7fff
	v_add3_u32 v11, v2, v11, s18
	v_cmp_o_f32_e32 vcc, v2, v2
	v_mov_b32_e32 v12, 0x7fc0
	v_lshl_add_u64 v[4:5], v[4:5], 1, s[14:15]
	v_cndmask_b32_sdwa v11, v12, v11, vcc dst_sel:DWORD dst_unused:UNUSED_PAD src0_sel:DWORD src1_sel:WORD_1
	global_store_short v[4:5], v11, off
.LBB110_19:
	s_or_b64 exec, exec, s[16:17]
	s_movk_i32 s16, 0x700
	v_cmp_gt_u32_e32 vcc, s16, v7
	s_and_b64 exec, exec, vcc
	s_cbranch_execz .LBB110_75
; %bb.20:
	s_and_saveexec_b64 s[16:17], s[4:5]
	s_xor_b64 s[16:17], exec, s[16:17]
	s_andn2_saveexec_b64 s[16:17], s[16:17]
	s_cbranch_execz .LBB110_22
; %bb.21:
	v_add_u32_e32 v2, v0, v6
	v_lshl_add_u32 v2, v2, 2, 0
	ds_read_b32 v3, v2 offset:16
	ds_read_b32 v2, v2 offset:1072
.LBB110_22:
	s_or_b64 exec, exec, s[16:17]
	s_waitcnt lgkmcnt(1)
	ds_bpermute_b32 v5, v8, v3
	s_waitcnt lgkmcnt(1)
	ds_bpermute_b32 v4, v8, v2
	s_waitcnt lgkmcnt(0)
	v_pk_add_f32 v[2:3], v[2:3], v[4:5]
	ds_bpermute_b32 v5, v9, v3
	ds_bpermute_b32 v4, v9, v2
	s_waitcnt lgkmcnt(0)
	v_pk_add_f32 v[2:3], v[2:3], v[4:5]
	ds_bpermute_b32 v5, v10, v3
	ds_bpermute_b32 v4, v10, v2
	s_waitcnt lgkmcnt(0)
	v_pk_add_f32 v[2:3], v[2:3], v[4:5]
	s_and_saveexec_b64 s[16:17], s[0:1]
	s_cbranch_execz .LBB110_27
; %bb.23:
	s_andn2_b64 vcc, exec, s[10:11]
	s_cbranch_vccnz .LBB110_25
; %bb.24:
	v_bfe_u32 v4, v3, 16, 1
	s_movk_i32 s18, 0x7fff
	v_add3_u32 v4, v3, v4, s18
	v_cmp_o_f32_e32 vcc, v3, v3
	v_mov_b32_e32 v5, 0x7fc0
	s_nop 0
	v_cndmask_b32_sdwa v11, v5, v4, vcc dst_sel:DWORD dst_unused:UNUSED_PAD src0_sel:DWORD src1_sel:WORD_1
	v_lshl_add_u64 v[4:5], s[2:3], 0, v[0:1]
	v_lshl_add_u64 v[4:5], v[4:5], 1, s[12:13]
	global_store_short v[4:5], v11, off offset:8
.LBB110_25:
	s_andn2_b64 vcc, exec, s[8:9]
	s_cbranch_vccnz .LBB110_27
; %bb.26:
	v_bfe_u32 v4, v2, 16, 1
	s_movk_i32 s18, 0x7fff
	v_add3_u32 v4, v2, v4, s18
	v_cmp_o_f32_e32 vcc, v2, v2
	v_mov_b32_e32 v5, 0x7fc0
	s_nop 0
	v_cndmask_b32_sdwa v11, v5, v4, vcc dst_sel:DWORD dst_unused:UNUSED_PAD src0_sel:DWORD src1_sel:WORD_1
	v_lshl_add_u64 v[4:5], s[2:3], 0, v[0:1]
	v_lshl_add_u64 v[4:5], v[4:5], 1, s[14:15]
	global_store_short v[4:5], v11, off offset:8
.LBB110_27:
	s_or_b64 exec, exec, s[16:17]
	s_movk_i32 s16, 0x600
	v_cmp_gt_u32_e32 vcc, s16, v7
	s_and_b64 exec, exec, vcc
	s_cbranch_execz .LBB110_75
; %bb.28:
	s_and_saveexec_b64 s[16:17], s[4:5]
	s_xor_b64 s[16:17], exec, s[16:17]
	s_andn2_saveexec_b64 s[16:17], s[16:17]
	s_cbranch_execz .LBB110_30
; %bb.29:
	v_add_u32_e32 v2, v0, v6
	v_lshl_add_u32 v2, v2, 2, 0
	ds_read_b32 v3, v2 offset:32
	ds_read_b32 v2, v2 offset:1088
.LBB110_30:
	s_or_b64 exec, exec, s[16:17]
	s_waitcnt lgkmcnt(1)
	ds_bpermute_b32 v5, v8, v3
	s_waitcnt lgkmcnt(1)
	ds_bpermute_b32 v4, v8, v2
	s_waitcnt lgkmcnt(0)
	v_pk_add_f32 v[2:3], v[2:3], v[4:5]
	ds_bpermute_b32 v5, v9, v3
	ds_bpermute_b32 v4, v9, v2
	s_waitcnt lgkmcnt(0)
	v_pk_add_f32 v[2:3], v[2:3], v[4:5]
	ds_bpermute_b32 v5, v10, v3
	ds_bpermute_b32 v4, v10, v2
	s_waitcnt lgkmcnt(0)
	v_pk_add_f32 v[2:3], v[2:3], v[4:5]
	s_and_saveexec_b64 s[16:17], s[0:1]
	s_cbranch_execz .LBB110_35
; %bb.31:
	s_andn2_b64 vcc, exec, s[10:11]
	s_cbranch_vccnz .LBB110_33
; %bb.32:
	v_bfe_u32 v4, v3, 16, 1
	s_movk_i32 s18, 0x7fff
	v_add3_u32 v4, v3, v4, s18
	v_cmp_o_f32_e32 vcc, v3, v3
	v_mov_b32_e32 v5, 0x7fc0
	s_nop 0
	v_cndmask_b32_sdwa v11, v5, v4, vcc dst_sel:DWORD dst_unused:UNUSED_PAD src0_sel:DWORD src1_sel:WORD_1
	v_lshl_add_u64 v[4:5], s[2:3], 0, v[0:1]
	v_lshl_add_u64 v[4:5], v[4:5], 1, s[12:13]
	global_store_short v[4:5], v11, off offset:16
.LBB110_33:
	s_andn2_b64 vcc, exec, s[8:9]
	s_cbranch_vccnz .LBB110_35
; %bb.34:
	v_bfe_u32 v4, v2, 16, 1
	s_movk_i32 s18, 0x7fff
	v_add3_u32 v4, v2, v4, s18
	v_cmp_o_f32_e32 vcc, v2, v2
	v_mov_b32_e32 v5, 0x7fc0
	s_nop 0
	v_cndmask_b32_sdwa v11, v5, v4, vcc dst_sel:DWORD dst_unused:UNUSED_PAD src0_sel:DWORD src1_sel:WORD_1
	v_lshl_add_u64 v[4:5], s[2:3], 0, v[0:1]
	v_lshl_add_u64 v[4:5], v[4:5], 1, s[14:15]
	global_store_short v[4:5], v11, off offset:16
.LBB110_35:
	;; [unrolled: 62-line block ×6, first 2 shown]
	s_or_b64 exec, exec, s[4:5]
	s_movk_i32 s4, 0x100
	v_cmp_gt_u32_e32 vcc, s4, v7
	s_and_b64 exec, exec, vcc
	s_cbranch_execz .LBB110_75
; %bb.68:
	s_and_saveexec_b64 s[4:5], s[6:7]
	s_cbranch_execz .LBB110_70
; %bb.69:
	v_add_u32_e32 v2, v0, v6
	v_lshl_add_u32 v2, v2, 2, 0
	ds_read_b32 v3, v2 offset:112
	ds_read_b32 v2, v2 offset:1168
.LBB110_70:
	s_or_b64 exec, exec, s[4:5]
	s_waitcnt lgkmcnt(1)
	ds_bpermute_b32 v4, v8, v3
	s_waitcnt lgkmcnt(1)
	ds_bpermute_b32 v5, v8, v2
	s_waitcnt lgkmcnt(1)
	v_add_f32_e32 v3, v3, v4
	s_waitcnt lgkmcnt(0)
	v_add_f32_e32 v2, v2, v5
	ds_bpermute_b32 v4, v9, v3
	ds_bpermute_b32 v5, v9, v2
	s_waitcnt lgkmcnt(1)
	v_add_f32_e32 v4, v3, v4
	s_waitcnt lgkmcnt(0)
	v_add_f32_e32 v2, v2, v5
	ds_bpermute_b32 v5, v10, v4
	ds_bpermute_b32 v3, v10, v2
	s_and_b64 exec, exec, s[0:1]
	s_cbranch_execz .LBB110_75
; %bb.71:
	s_andn2_b64 vcc, exec, s[10:11]
	v_lshl_add_u64 v[0:1], s[2:3], 0, v[0:1]
	s_cbranch_vccnz .LBB110_73
; %bb.72:
	s_waitcnt lgkmcnt(1)
	v_add_f32_e32 v4, v4, v5
	v_bfe_u32 v5, v4, 16, 1
	s_movk_i32 s0, 0x7fff
	v_add3_u32 v5, v4, v5, s0
	v_cmp_o_f32_e32 vcc, v4, v4
	v_mov_b32_e32 v4, 0x7fc0
	s_nop 0
	v_cndmask_b32_sdwa v6, v4, v5, vcc dst_sel:DWORD dst_unused:UNUSED_PAD src0_sel:DWORD src1_sel:WORD_1
	v_lshl_add_u64 v[4:5], v[0:1], 1, s[12:13]
	global_store_short v[4:5], v6, off offset:56
.LBB110_73:
	s_andn2_b64 vcc, exec, s[8:9]
	s_cbranch_vccnz .LBB110_75
; %bb.74:
	s_waitcnt lgkmcnt(0)
	v_add_f32_e32 v2, v2, v3
	v_bfe_u32 v3, v2, 16, 1
	s_movk_i32 s0, 0x7fff
	v_add3_u32 v3, v2, v3, s0
	v_cmp_o_f32_e32 vcc, v2, v2
	v_mov_b32_e32 v2, 0x7fc0
	v_lshl_add_u64 v[0:1], v[0:1], 1, s[14:15]
	v_cndmask_b32_sdwa v2, v2, v3, vcc dst_sel:DWORD dst_unused:UNUSED_PAD src0_sel:DWORD src1_sel:WORD_1
	global_store_short v[0:1], v2, off offset:56
.LBB110_75:
	s_endpgm
	.section	.rodata,"a",@progbits
	.p2align	6, 0x0
	.amdhsa_kernel _ZN2at6native12_GLOBAL__N_135GammaBetaBackwardCUDAKernelTemplateIN3c108BFloat16EfLj32ELj8ELj64ELb0ELb1ELb0EEEvllPKT_S7_PKT0_SA_PS5_SB_
		.amdhsa_group_segment_fixed_size 0
		.amdhsa_private_segment_fixed_size 0
		.amdhsa_kernarg_size 320
		.amdhsa_user_sgpr_count 2
		.amdhsa_user_sgpr_dispatch_ptr 0
		.amdhsa_user_sgpr_queue_ptr 0
		.amdhsa_user_sgpr_kernarg_segment_ptr 1
		.amdhsa_user_sgpr_dispatch_id 0
		.amdhsa_user_sgpr_kernarg_preload_length 0
		.amdhsa_user_sgpr_kernarg_preload_offset 0
		.amdhsa_user_sgpr_private_segment_size 0
		.amdhsa_uses_dynamic_stack 0
		.amdhsa_enable_private_segment 0
		.amdhsa_system_sgpr_workgroup_id_x 1
		.amdhsa_system_sgpr_workgroup_id_y 1
		.amdhsa_system_sgpr_workgroup_id_z 0
		.amdhsa_system_sgpr_workgroup_info 0
		.amdhsa_system_vgpr_workitem_id 1
		.amdhsa_next_free_vgpr 55
		.amdhsa_next_free_sgpr 32
		.amdhsa_accum_offset 56
		.amdhsa_reserve_vcc 1
		.amdhsa_float_round_mode_32 0
		.amdhsa_float_round_mode_16_64 0
		.amdhsa_float_denorm_mode_32 3
		.amdhsa_float_denorm_mode_16_64 3
		.amdhsa_dx10_clamp 1
		.amdhsa_ieee_mode 1
		.amdhsa_fp16_overflow 0
		.amdhsa_tg_split 0
		.amdhsa_exception_fp_ieee_invalid_op 0
		.amdhsa_exception_fp_denorm_src 0
		.amdhsa_exception_fp_ieee_div_zero 0
		.amdhsa_exception_fp_ieee_overflow 0
		.amdhsa_exception_fp_ieee_underflow 0
		.amdhsa_exception_fp_ieee_inexact 0
		.amdhsa_exception_int_div_zero 0
	.end_amdhsa_kernel
	.section	.text._ZN2at6native12_GLOBAL__N_135GammaBetaBackwardCUDAKernelTemplateIN3c108BFloat16EfLj32ELj8ELj64ELb0ELb1ELb0EEEvllPKT_S7_PKT0_SA_PS5_SB_,"axG",@progbits,_ZN2at6native12_GLOBAL__N_135GammaBetaBackwardCUDAKernelTemplateIN3c108BFloat16EfLj32ELj8ELj64ELb0ELb1ELb0EEEvllPKT_S7_PKT0_SA_PS5_SB_,comdat
.Lfunc_end110:
	.size	_ZN2at6native12_GLOBAL__N_135GammaBetaBackwardCUDAKernelTemplateIN3c108BFloat16EfLj32ELj8ELj64ELb0ELb1ELb0EEEvllPKT_S7_PKT0_SA_PS5_SB_, .Lfunc_end110-_ZN2at6native12_GLOBAL__N_135GammaBetaBackwardCUDAKernelTemplateIN3c108BFloat16EfLj32ELj8ELj64ELb0ELb1ELb0EEEvllPKT_S7_PKT0_SA_PS5_SB_
                                        ; -- End function
	.set _ZN2at6native12_GLOBAL__N_135GammaBetaBackwardCUDAKernelTemplateIN3c108BFloat16EfLj32ELj8ELj64ELb0ELb1ELb0EEEvllPKT_S7_PKT0_SA_PS5_SB_.num_vgpr, 55
	.set _ZN2at6native12_GLOBAL__N_135GammaBetaBackwardCUDAKernelTemplateIN3c108BFloat16EfLj32ELj8ELj64ELb0ELb1ELb0EEEvllPKT_S7_PKT0_SA_PS5_SB_.num_agpr, 0
	.set _ZN2at6native12_GLOBAL__N_135GammaBetaBackwardCUDAKernelTemplateIN3c108BFloat16EfLj32ELj8ELj64ELb0ELb1ELb0EEEvllPKT_S7_PKT0_SA_PS5_SB_.numbered_sgpr, 32
	.set _ZN2at6native12_GLOBAL__N_135GammaBetaBackwardCUDAKernelTemplateIN3c108BFloat16EfLj32ELj8ELj64ELb0ELb1ELb0EEEvllPKT_S7_PKT0_SA_PS5_SB_.num_named_barrier, 0
	.set _ZN2at6native12_GLOBAL__N_135GammaBetaBackwardCUDAKernelTemplateIN3c108BFloat16EfLj32ELj8ELj64ELb0ELb1ELb0EEEvllPKT_S7_PKT0_SA_PS5_SB_.private_seg_size, 0
	.set _ZN2at6native12_GLOBAL__N_135GammaBetaBackwardCUDAKernelTemplateIN3c108BFloat16EfLj32ELj8ELj64ELb0ELb1ELb0EEEvllPKT_S7_PKT0_SA_PS5_SB_.uses_vcc, 1
	.set _ZN2at6native12_GLOBAL__N_135GammaBetaBackwardCUDAKernelTemplateIN3c108BFloat16EfLj32ELj8ELj64ELb0ELb1ELb0EEEvllPKT_S7_PKT0_SA_PS5_SB_.uses_flat_scratch, 0
	.set _ZN2at6native12_GLOBAL__N_135GammaBetaBackwardCUDAKernelTemplateIN3c108BFloat16EfLj32ELj8ELj64ELb0ELb1ELb0EEEvllPKT_S7_PKT0_SA_PS5_SB_.has_dyn_sized_stack, 0
	.set _ZN2at6native12_GLOBAL__N_135GammaBetaBackwardCUDAKernelTemplateIN3c108BFloat16EfLj32ELj8ELj64ELb0ELb1ELb0EEEvllPKT_S7_PKT0_SA_PS5_SB_.has_recursion, 0
	.set _ZN2at6native12_GLOBAL__N_135GammaBetaBackwardCUDAKernelTemplateIN3c108BFloat16EfLj32ELj8ELj64ELb0ELb1ELb0EEEvllPKT_S7_PKT0_SA_PS5_SB_.has_indirect_call, 0
	.section	.AMDGPU.csdata,"",@progbits
; Kernel info:
; codeLenInByte = 3884
; TotalNumSgprs: 38
; NumVgprs: 55
; NumAgprs: 0
; TotalNumVgprs: 55
; ScratchSize: 0
; MemoryBound: 0
; FloatMode: 240
; IeeeMode: 1
; LDSByteSize: 0 bytes/workgroup (compile time only)
; SGPRBlocks: 4
; VGPRBlocks: 6
; NumSGPRsForWavesPerEU: 38
; NumVGPRsForWavesPerEU: 55
; AccumOffset: 56
; Occupancy: 8
; WaveLimiterHint : 0
; COMPUTE_PGM_RSRC2:SCRATCH_EN: 0
; COMPUTE_PGM_RSRC2:USER_SGPR: 2
; COMPUTE_PGM_RSRC2:TRAP_HANDLER: 0
; COMPUTE_PGM_RSRC2:TGID_X_EN: 1
; COMPUTE_PGM_RSRC2:TGID_Y_EN: 1
; COMPUTE_PGM_RSRC2:TGID_Z_EN: 0
; COMPUTE_PGM_RSRC2:TIDIG_COMP_CNT: 1
; COMPUTE_PGM_RSRC3_GFX90A:ACCUM_OFFSET: 13
; COMPUTE_PGM_RSRC3_GFX90A:TG_SPLIT: 0
	.section	.text._ZN2at6native12_GLOBAL__N_135GammaBetaBackwardCUDAKernelTemplateIN3c108BFloat16EfLj32ELj8ELj64ELb0ELb0ELb0EEEvllPKT_S7_PKT0_SA_PS5_SB_,"axG",@progbits,_ZN2at6native12_GLOBAL__N_135GammaBetaBackwardCUDAKernelTemplateIN3c108BFloat16EfLj32ELj8ELj64ELb0ELb0ELb0EEEvllPKT_S7_PKT0_SA_PS5_SB_,comdat
	.globl	_ZN2at6native12_GLOBAL__N_135GammaBetaBackwardCUDAKernelTemplateIN3c108BFloat16EfLj32ELj8ELj64ELb0ELb0ELb0EEEvllPKT_S7_PKT0_SA_PS5_SB_ ; -- Begin function _ZN2at6native12_GLOBAL__N_135GammaBetaBackwardCUDAKernelTemplateIN3c108BFloat16EfLj32ELj8ELj64ELb0ELb0ELb0EEEvllPKT_S7_PKT0_SA_PS5_SB_
	.p2align	8
	.type	_ZN2at6native12_GLOBAL__N_135GammaBetaBackwardCUDAKernelTemplateIN3c108BFloat16EfLj32ELj8ELj64ELb0ELb0ELb0EEEvllPKT_S7_PKT0_SA_PS5_SB_,@function
_ZN2at6native12_GLOBAL__N_135GammaBetaBackwardCUDAKernelTemplateIN3c108BFloat16EfLj32ELj8ELj64ELb0ELb0ELb0EEEvllPKT_S7_PKT0_SA_PS5_SB_: ; @_ZN2at6native12_GLOBAL__N_135GammaBetaBackwardCUDAKernelTemplateIN3c108BFloat16EfLj32ELj8ELj64ELb0ELb0ELb0EEEvllPKT_S7_PKT0_SA_PS5_SB_
; %bb.0:
	s_load_dwordx8 s[8:15], s[0:1], 0x0
	s_load_dwordx4 s[16:19], s[0:1], 0x20
	s_lshl_b32 s33, s2, 5
	s_mov_b32 s21, 0
	s_lshl_b32 s20, s3, 6
	s_or_b32 s4, s33, 31
	v_mov_b64_e32 v[2:3], s[20:21]
	v_mov_b32_e32 v28, s4
	v_mov_b32_e32 v29, 0
	s_waitcnt lgkmcnt(0)
	v_cmp_gt_i64_e64 s[4:5], s[8:9], v[2:3]
	v_cmp_le_i64_e32 vcc, s[10:11], v[28:29]
	s_nop 0
	v_cndmask_b32_e64 v1, 0, 1, s[4:5]
	v_cmp_ne_u32_e64 s[4:5], 1, v1
	s_cbranch_vccz .LBB111_48
; %bb.1:
	s_and_b64 vcc, exec, s[4:5]
	v_mov_b32_e32 v28, 0
	s_cbranch_vccnz .LBB111_49
; %bb.2:
	v_and_b32_e32 v1, 0x3ff, v0
	v_mov_b32_e32 v2, 0
	v_bfe_u32 v62, v0, 10, 10
	v_add_u32_e32 v4, s33, v1
	v_mov_b32_e32 v5, v2
	v_lshlrev_b32_e32 v20, 3, v62
	v_mov_b32_e32 v21, v2
	v_cmp_gt_i64_e64 s[6:7], s[10:11], v[4:5]
	v_lshlrev_b64 v[22:23], 1, v[4:5]
	v_lshl_add_u64 v[4:5], v[20:21], 0, s[20:21]
	v_mul_lo_u32 v3, s11, v4
	v_mul_lo_u32 v8, s10, v5
	v_mad_u64_u32 v[6:7], s[24:25], s10, v4, 0
	v_add3_u32 v7, v7, v8, v3
	v_lshlrev_b64 v[6:7], 1, v[6:7]
	v_lshl_add_u64 v[24:25], s[12:13], 0, v[6:7]
	v_lshl_add_u64 v[26:27], s[14:15], 0, v[6:7]
	v_lshl_add_u64 v[6:7], v[4:5], 0, 7
	v_mul_lo_u32 v9, s11, v6
	v_mul_lo_u32 v10, s10, v7
	v_mad_u64_u32 v[6:7], s[26:27], s10, v6, 0
	v_add3_u32 v7, v7, v10, v9
	v_lshlrev_b64 v[6:7], 1, v[6:7]
	v_lshl_add_u64 v[30:31], s[12:13], 0, v[6:7]
	v_lshl_add_u64 v[32:33], s[14:15], 0, v[6:7]
	;; [unrolled: 8-line block ×5, first 2 shown]
	v_lshl_add_u64 v[6:7], v[4:5], 0, 3
	v_mul_lo_u32 v9, s11, v6
	v_mul_lo_u32 v10, s10, v7
	v_mad_u64_u32 v[6:7], s[26:27], s10, v6, 0
	v_add3_u32 v7, v7, v10, v9
	s_load_dword s3, s[0:1], 0x44
	v_lshlrev_b64 v[6:7], 1, v[6:7]
	v_lshl_add_u64 v[46:47], s[12:13], 0, v[6:7]
	v_lshl_add_u64 v[48:49], s[14:15], 0, v[6:7]
	;; [unrolled: 1-line block ×3, first 2 shown]
	v_mul_lo_u32 v5, s11, v6
	v_mul_lo_u32 v9, s10, v7
	v_mad_u64_u32 v[6:7], s[26:27], s10, v6, 0
	v_add3_u32 v7, v7, v9, v5
	s_add_u32 s22, s0, 64
	v_lshlrev_b64 v[6:7], 1, v[6:7]
	s_addc_u32 s23, s1, 0
	s_waitcnt lgkmcnt(0)
	s_lshl_b32 s3, s3, 6
	v_lshl_add_u64 v[50:51], s[12:13], 0, v[6:7]
	v_lshl_add_u64 v[52:53], s[14:15], 0, v[6:7]
	v_mov_b64_e32 v[6:7], s[10:11]
	s_mul_i32 s24, s11, s3
	s_mul_hi_u32 s25, s10, s3
	v_mad_u64_u32 v[4:5], s[26:27], s10, v4, v[6:7]
	s_add_i32 s25, s25, s24
	s_mul_i32 s24, s10, s3
	v_add3_u32 v5, v3, v5, v8
	v_mbcnt_lo_u32_b32 v3, -1, 0
	s_lshl_b64 s[24:25], s[24:25], 1
	v_mbcnt_hi_u32_b32 v3, -1, v3
	v_lshlrev_b64 v[4:5], 1, v[4:5]
	s_add_u32 s26, s20, 63
	s_movk_i32 s28, 0xffc1
	s_movk_i32 s30, 0xffc2
	;; [unrolled: 1-line block ×8, first 2 shown]
	v_lshlrev_b32_e32 v3, 2, v3
	v_lshl_add_u64 v[54:55], s[12:13], 0, v[4:5]
	v_lshl_add_u64 v[56:57], s[14:15], 0, v[4:5]
	s_addc_u32 s27, 0, 0
	s_mov_b32 s29, -1
	s_mov_b32 s31, -1
	;; [unrolled: 1-line block ×8, first 2 shown]
	v_and_b32_e32 v63, 0x100, v3
	s_mov_b64 s[46:47], s[20:21]
	v_mov_b32_e32 v28, 0
	v_mov_b32_e32 v29, v2
	s_branch .LBB111_5
.LBB111_3:                              ;   in Loop: Header=BB111_5 Depth=1
	s_or_b64 exec, exec, s[48:49]
	s_waitcnt vmcnt(1)
	ds_bpermute_b32 v3, v63, v61
	ds_bpermute_b32 v58, v63, v61 offset:4
	s_waitcnt vmcnt(0)
	ds_bpermute_b32 v59, v63, v60
	ds_bpermute_b32 v64, v63, v60 offset:4
	v_mov_b32_e32 v66, v8
	s_waitcnt lgkmcnt(3)
	v_sub_f32_e32 v3, v12, v3
	v_mul_f32_e32 v3, v4, v3
	s_waitcnt lgkmcnt(2)
	v_sub_f32_e32 v12, v13, v58
	s_waitcnt lgkmcnt(1)
	v_mul_f32_e32 v13, v3, v59
	ds_bpermute_b32 v3, v63, v61 offset:8
	v_mul_f32_e32 v12, v5, v12
	s_waitcnt lgkmcnt(1)
	v_mul_f32_e32 v59, v12, v64
	ds_bpermute_b32 v12, v63, v60 offset:8
	ds_bpermute_b32 v58, v63, v61 offset:12
	s_waitcnt lgkmcnt(2)
	v_sub_f32_e32 v3, v14, v3
	ds_bpermute_b32 v14, v63, v60 offset:12
	v_mul_f32_e32 v3, v6, v3
	s_waitcnt lgkmcnt(2)
	v_mul_f32_e32 v65, v3, v12
	s_waitcnt lgkmcnt(1)
	v_sub_f32_e32 v3, v15, v58
	ds_bpermute_b32 v12, v63, v61 offset:16
	v_mul_f32_e32 v3, v7, v3
	s_waitcnt lgkmcnt(1)
	v_mul_f32_e32 v15, v3, v14
	ds_bpermute_b32 v3, v63, v60 offset:16
	ds_bpermute_b32 v14, v63, v61 offset:20
	s_waitcnt lgkmcnt(2)
	v_sub_f32_e32 v12, v16, v12
	ds_bpermute_b32 v16, v63, v60 offset:20
	v_mul_f32_e32 v12, v8, v12
	s_waitcnt lgkmcnt(2)
	v_mul_f32_e32 v67, v12, v3
	v_mov_b32_e32 v12, v4
	s_waitcnt lgkmcnt(1)
	v_sub_f32_e32 v3, v17, v14
	v_pk_add_f32 v[12:13], v[28:29], v[12:13]
	v_mov_b32_e32 v58, v5
	v_mul_f32_e32 v3, v9, v3
	v_pk_add_f32 v[4:5], v[58:59], v[12:13]
	v_mov_b32_e32 v64, v6
	s_waitcnt lgkmcnt(0)
	v_mul_f32_e32 v17, v3, v16
	v_pk_add_f32 v[4:5], v[64:65], v[4:5]
	v_mov_b32_e32 v14, v7
	ds_bpermute_b32 v3, v63, v61 offset:24
	v_pk_add_f32 v[4:5], v[14:15], v[4:5]
	v_mov_b32_e32 v16, v9
	v_pk_add_f32 v[4:5], v[66:67], v[4:5]
	s_waitcnt lgkmcnt(0)
	v_sub_f32_e32 v8, v18, v3
	v_pk_add_f32 v[6:7], v[16:17], v[4:5]
	ds_bpermute_b32 v5, v63, v60 offset:24
	ds_bpermute_b32 v3, v63, v60 offset:28
	;; [unrolled: 1-line block ×3, first 2 shown]
	v_mul_f32_e32 v8, v10, v8
	s_waitcnt lgkmcnt(2)
	v_mul_f32_e32 v9, v8, v5
	v_mov_b32_e32 v8, v10
	v_pk_add_f32 v[60:61], v[8:9], v[6:7]
.LBB111_4:                              ;   in Loop: Header=BB111_5 Depth=1
	s_waitcnt lgkmcnt(0)
	v_sub_f32_e32 v4, v19, v4
	v_mul_f32_e32 v4, v11, v4
	v_mul_f32_e32 v5, v4, v3
	v_mov_b32_e32 v4, v11
	s_add_u32 s46, s46, s3
	v_pk_add_f32 v[28:29], v[60:61], v[4:5]
	s_addc_u32 s47, s47, 0
	v_mov_b64_e32 v[4:5], s[8:9]
	s_add_u32 s26, s26, s3
	v_cmp_lt_i64_e32 vcc, s[46:47], v[4:5]
	v_lshl_add_u64 v[24:25], v[24:25], 0, s[24:25]
	v_lshl_add_u64 v[26:27], v[26:27], 0, s[24:25]
	;; [unrolled: 1-line block ×16, first 2 shown]
	s_addc_u32 s27, s27, 0
	s_cbranch_vccz .LBB111_49
.LBB111_5:                              ; =>This Inner Loop Header: Depth=1
	v_mov_b64_e32 v[4:5], s[8:9]
	v_cmp_ge_i64_e32 vcc, s[26:27], v[4:5]
	v_lshl_add_u64 v[58:59], v[20:21], 0, s[26:27]
	s_mov_b64 s[48:49], -1
	s_and_b64 vcc, exec, vcc
                                        ; implicit-def: $vgpr4_vgpr5_vgpr6_vgpr7_vgpr8_vgpr9_vgpr10_vgpr11
                                        ; implicit-def: $vgpr60_vgpr61
                                        ; implicit-def: $vgpr3
                                        ; implicit-def: $vgpr12_vgpr13_vgpr14_vgpr15_vgpr16_vgpr17_vgpr18_vgpr19
                                        ; implicit-def: $vgpr4
	s_cbranch_vccz .LBB111_27
; %bb.6:                                ;   in Loop: Header=BB111_5 Depth=1
	s_load_dword s48, s[22:23], 0xc
	v_mov_b32_e32 v60, 0
	v_mov_b32_e32 v61, 0
	s_waitcnt lgkmcnt(0)
	s_and_b32 s48, s48, 0xffff
	v_mad_u32_u24 v3, v62, s48, v1
	v_and_b32_e32 v4, 63, v3
	v_cmp_gt_u32_e32 vcc, 8, v4
	s_and_saveexec_b64 s[48:49], vcc
	s_cbranch_execz .LBB111_10
; %bb.7:                                ;   in Loop: Header=BB111_5 Depth=1
	v_mov_b32_e32 v5, v2
	v_lshl_add_u64 v[4:5], v[58:59], 0, v[4:5]
	v_lshl_add_u64 v[4:5], v[4:5], 0, s[28:29]
	v_cmp_gt_i64_e32 vcc, s[8:9], v[4:5]
	v_mov_b32_e32 v61, 0
	v_mov_b32_e32 v60, 0
	s_and_saveexec_b64 s[50:51], vcc
	s_cbranch_execz .LBB111_9
; %bb.8:                                ;   in Loop: Header=BB111_5 Depth=1
	v_lshlrev_b64 v[4:5], 2, v[4:5]
	v_lshl_add_u64 v[6:7], s[18:19], 0, v[4:5]
	v_lshl_add_u64 v[4:5], s[16:17], 0, v[4:5]
	global_load_dword v61, v[4:5], off
	global_load_dword v60, v[6:7], off
.LBB111_9:                              ;   in Loop: Header=BB111_5 Depth=1
	s_or_b64 exec, exec, s[50:51]
.LBB111_10:                             ;   in Loop: Header=BB111_5 Depth=1
	s_or_b64 exec, exec, s[48:49]
	v_lshl_add_u64 v[4:5], v[58:59], 0, s[28:29]
	v_mov_b32_e32 v8, v2
	v_mov_b32_e32 v9, v2
	v_cmp_gt_i64_e32 vcc, s[8:9], v[4:5]
	v_mov_b32_e32 v3, v2
	v_mov_b32_e32 v4, v2
	;; [unrolled: 1-line block ×5, first 2 shown]
	v_mov_b64_e32 v[18:19], v[8:9]
	v_mov_b64_e32 v[16:17], v[6:7]
	;; [unrolled: 1-line block ×5, first 2 shown]
	s_and_b64 s[50:51], s[6:7], vcc
	v_mov_b64_e32 v[8:9], v[6:7]
	v_mov_b64_e32 v[6:7], v[4:5]
	;; [unrolled: 1-line block ×3, first 2 shown]
	s_and_saveexec_b64 s[48:49], s[50:51]
	s_cbranch_execz .LBB111_12
; %bb.11:                               ;   in Loop: Header=BB111_5 Depth=1
	v_lshl_add_u64 v[4:5], v[24:25], 0, v[22:23]
	global_load_ushort v3, v[4:5], off
	v_lshl_add_u64 v[4:5], v[26:27], 0, v[22:23]
	global_load_ushort v12, v[4:5], off
	v_mov_b32_e32 v5, v2
	v_mov_b32_e32 v6, v2
	;; [unrolled: 1-line block ×14, first 2 shown]
	s_waitcnt vmcnt(1)
	v_lshlrev_b32_e32 v4, 16, v3
	s_waitcnt vmcnt(0)
	v_lshlrev_b32_e32 v12, 16, v12
.LBB111_12:                             ;   in Loop: Header=BB111_5 Depth=1
	s_or_b64 exec, exec, s[48:49]
	v_lshl_add_u64 v[64:65], v[58:59], 0, s[30:31]
	v_cmp_gt_i64_e32 vcc, s[8:9], v[64:65]
	s_and_b64 s[50:51], s[6:7], vcc
	s_and_saveexec_b64 s[48:49], s[50:51]
	s_cbranch_execz .LBB111_14
; %bb.13:                               ;   in Loop: Header=BB111_5 Depth=1
	v_lshl_add_u64 v[64:65], v[54:55], 0, v[22:23]
	global_load_ushort v3, v[64:65], off
	v_lshl_add_u64 v[64:65], v[56:57], 0, v[22:23]
	global_load_ushort v13, v[64:65], off
	s_waitcnt vmcnt(1)
	v_lshlrev_b32_e32 v5, 16, v3
	s_waitcnt vmcnt(0)
	v_lshlrev_b32_e32 v13, 16, v13
.LBB111_14:                             ;   in Loop: Header=BB111_5 Depth=1
	s_or_b64 exec, exec, s[48:49]
	v_lshl_add_u64 v[64:65], v[58:59], 0, s[34:35]
	v_cmp_gt_i64_e32 vcc, s[8:9], v[64:65]
	s_and_b64 s[50:51], s[6:7], vcc
	s_and_saveexec_b64 s[48:49], s[50:51]
	s_cbranch_execz .LBB111_16
; %bb.15:                               ;   in Loop: Header=BB111_5 Depth=1
	v_lshl_add_u64 v[64:65], v[50:51], 0, v[22:23]
	global_load_ushort v3, v[64:65], off
	v_lshl_add_u64 v[64:65], v[52:53], 0, v[22:23]
	global_load_ushort v14, v[64:65], off
	s_waitcnt vmcnt(1)
	v_lshlrev_b32_e32 v6, 16, v3
	s_waitcnt vmcnt(0)
	v_lshlrev_b32_e32 v14, 16, v14
.LBB111_16:                             ;   in Loop: Header=BB111_5 Depth=1
	;; [unrolled: 16-line block ×7, first 2 shown]
	s_or_b64 exec, exec, s[48:49]
	s_waitcnt vmcnt(1)
	ds_bpermute_b32 v3, v63, v61
	ds_bpermute_b32 v64, v63, v61 offset:4
	s_waitcnt vmcnt(0)
	ds_bpermute_b32 v65, v63, v60
	ds_bpermute_b32 v66, v63, v60 offset:4
	v_mov_b32_e32 v68, v8
	s_waitcnt lgkmcnt(3)
	v_sub_f32_e32 v3, v12, v3
	v_mul_f32_e32 v3, v4, v3
	s_waitcnt lgkmcnt(2)
	v_sub_f32_e32 v12, v13, v64
	s_waitcnt lgkmcnt(1)
	v_mul_f32_e32 v13, v3, v65
	ds_bpermute_b32 v3, v63, v61 offset:8
	v_mul_f32_e32 v12, v5, v12
	s_waitcnt lgkmcnt(1)
	v_mul_f32_e32 v65, v12, v66
	ds_bpermute_b32 v12, v63, v60 offset:8
	ds_bpermute_b32 v64, v63, v61 offset:12
	s_waitcnt lgkmcnt(2)
	v_sub_f32_e32 v3, v14, v3
	ds_bpermute_b32 v14, v63, v60 offset:12
	v_mul_f32_e32 v3, v6, v3
	s_waitcnt lgkmcnt(2)
	v_mul_f32_e32 v67, v3, v12
	ds_bpermute_b32 v12, v63, v61 offset:16
	s_waitcnt lgkmcnt(2)
	v_sub_f32_e32 v3, v15, v64
	v_mul_f32_e32 v3, v7, v3
	s_waitcnt lgkmcnt(1)
	v_mul_f32_e32 v15, v3, v14
	ds_bpermute_b32 v3, v63, v60 offset:16
	ds_bpermute_b32 v14, v63, v61 offset:20
	s_waitcnt lgkmcnt(2)
	v_sub_f32_e32 v12, v16, v12
	ds_bpermute_b32 v16, v63, v60 offset:20
	v_mul_f32_e32 v12, v8, v12
	s_waitcnt lgkmcnt(2)
	v_mul_f32_e32 v69, v12, v3
	s_waitcnt lgkmcnt(1)
	v_sub_f32_e32 v3, v17, v14
	v_mov_b32_e32 v12, v4
	v_mul_f32_e32 v3, v9, v3
	v_pk_add_f32 v[12:13], v[28:29], v[12:13]
	v_mov_b32_e32 v64, v5
	s_waitcnt lgkmcnt(0)
	v_mul_f32_e32 v17, v3, v16
	v_pk_add_f32 v[4:5], v[64:65], v[12:13]
	v_mov_b32_e32 v66, v6
	ds_bpermute_b32 v3, v63, v61 offset:24
	v_pk_add_f32 v[4:5], v[66:67], v[4:5]
	v_mov_b32_e32 v14, v7
	v_pk_add_f32 v[4:5], v[14:15], v[4:5]
	v_mov_b32_e32 v16, v9
	v_pk_add_f32 v[4:5], v[68:69], v[4:5]
	s_waitcnt lgkmcnt(0)
	v_sub_f32_e32 v3, v18, v3
	v_pk_add_f32 v[6:7], v[16:17], v[4:5]
	ds_bpermute_b32 v5, v63, v60 offset:24
	v_mul_f32_e32 v8, v10, v3
	ds_bpermute_b32 v3, v63, v60 offset:28
	ds_bpermute_b32 v4, v63, v61 offset:28
	s_mov_b64 s[48:49], 0
	s_waitcnt lgkmcnt(2)
	v_mul_f32_e32 v9, v8, v5
	v_mov_b32_e32 v8, v10
	v_pk_add_f32 v[60:61], v[8:9], v[6:7]
.LBB111_27:                             ;   in Loop: Header=BB111_5 Depth=1
	s_and_b64 vcc, exec, s[48:49]
	s_cbranch_vccz .LBB111_4
; %bb.28:                               ;   in Loop: Header=BB111_5 Depth=1
	s_load_dword s48, s[22:23], 0x0
	v_mov_b32_e32 v60, 0
	v_mov_b32_e32 v61, 0
	s_waitcnt lgkmcnt(0)
	s_cmp_lt_u32 s2, s48
	s_cselect_b32 s48, 12, 18
	s_add_u32 s48, s22, s48
	s_addc_u32 s49, s23, 0
	global_load_ushort v3, v2, s[48:49]
	s_waitcnt vmcnt(0)
	v_mad_u32_u24 v3, v62, v3, v1
	v_and_b32_e32 v4, 63, v3
	v_cmp_gt_u32_e32 vcc, 8, v4
	s_and_saveexec_b64 s[48:49], vcc
	s_cbranch_execz .LBB111_32
; %bb.29:                               ;   in Loop: Header=BB111_5 Depth=1
	v_mov_b32_e32 v5, v2
	v_lshl_add_u64 v[4:5], v[58:59], 0, v[4:5]
	v_lshl_add_u64 v[4:5], v[4:5], 0, s[28:29]
	v_cmp_gt_i64_e32 vcc, s[8:9], v[4:5]
	v_mov_b32_e32 v61, 0
	v_mov_b32_e32 v60, 0
	s_and_saveexec_b64 s[50:51], vcc
	s_cbranch_execz .LBB111_31
; %bb.30:                               ;   in Loop: Header=BB111_5 Depth=1
	v_lshlrev_b64 v[4:5], 2, v[4:5]
	v_lshl_add_u64 v[6:7], s[18:19], 0, v[4:5]
	v_lshl_add_u64 v[4:5], s[16:17], 0, v[4:5]
	global_load_dword v61, v[4:5], off
	global_load_dword v60, v[6:7], off
.LBB111_31:                             ;   in Loop: Header=BB111_5 Depth=1
	s_or_b64 exec, exec, s[50:51]
.LBB111_32:                             ;   in Loop: Header=BB111_5 Depth=1
	s_or_b64 exec, exec, s[48:49]
	v_mov_b32_e32 v8, v2
	v_mov_b32_e32 v9, v2
	;; [unrolled: 1-line block ×7, first 2 shown]
	v_mov_b64_e32 v[18:19], v[8:9]
	v_mov_b64_e32 v[16:17], v[6:7]
	;; [unrolled: 1-line block ×8, first 2 shown]
	s_and_saveexec_b64 s[48:49], s[6:7]
	s_cbranch_execnz .LBB111_40
; %bb.33:                               ;   in Loop: Header=BB111_5 Depth=1
	s_or_b64 exec, exec, s[48:49]
	s_and_saveexec_b64 s[48:49], s[6:7]
	s_cbranch_execnz .LBB111_41
.LBB111_34:                             ;   in Loop: Header=BB111_5 Depth=1
	s_or_b64 exec, exec, s[48:49]
	s_and_saveexec_b64 s[48:49], s[6:7]
	s_cbranch_execnz .LBB111_42
.LBB111_35:                             ;   in Loop: Header=BB111_5 Depth=1
	s_or_b64 exec, exec, s[48:49]
	s_and_saveexec_b64 s[48:49], s[6:7]
	s_cbranch_execnz .LBB111_43
.LBB111_36:                             ;   in Loop: Header=BB111_5 Depth=1
	s_or_b64 exec, exec, s[48:49]
	s_and_saveexec_b64 s[48:49], s[6:7]
	s_cbranch_execnz .LBB111_44
.LBB111_37:                             ;   in Loop: Header=BB111_5 Depth=1
	s_or_b64 exec, exec, s[48:49]
	s_and_saveexec_b64 s[48:49], s[6:7]
	s_cbranch_execnz .LBB111_45
.LBB111_38:                             ;   in Loop: Header=BB111_5 Depth=1
	s_or_b64 exec, exec, s[48:49]
	s_and_saveexec_b64 s[48:49], s[6:7]
	s_cbranch_execnz .LBB111_46
.LBB111_39:                             ;   in Loop: Header=BB111_5 Depth=1
	s_or_b64 exec, exec, s[48:49]
	s_and_saveexec_b64 s[48:49], s[6:7]
	s_cbranch_execz .LBB111_3
	s_branch .LBB111_47
.LBB111_40:                             ;   in Loop: Header=BB111_5 Depth=1
	v_lshl_add_u64 v[4:5], v[24:25], 0, v[22:23]
	global_load_ushort v3, v[4:5], off
	v_lshl_add_u64 v[4:5], v[26:27], 0, v[22:23]
	global_load_ushort v12, v[4:5], off
	v_mov_b32_e32 v5, v2
	v_mov_b32_e32 v6, v2
	;; [unrolled: 1-line block ×14, first 2 shown]
	s_waitcnt vmcnt(1)
	v_lshlrev_b32_e32 v4, 16, v3
	s_waitcnt vmcnt(0)
	v_lshlrev_b32_e32 v12, 16, v12
	s_or_b64 exec, exec, s[48:49]
	s_and_saveexec_b64 s[48:49], s[6:7]
	s_cbranch_execz .LBB111_34
.LBB111_41:                             ;   in Loop: Header=BB111_5 Depth=1
	v_lshl_add_u64 v[58:59], v[54:55], 0, v[22:23]
	global_load_ushort v3, v[58:59], off
	v_lshl_add_u64 v[58:59], v[56:57], 0, v[22:23]
	global_load_ushort v13, v[58:59], off
	s_waitcnt vmcnt(1)
	v_lshlrev_b32_e32 v5, 16, v3
	s_waitcnt vmcnt(0)
	v_lshlrev_b32_e32 v13, 16, v13
	s_or_b64 exec, exec, s[48:49]
	s_and_saveexec_b64 s[48:49], s[6:7]
	s_cbranch_execz .LBB111_35
.LBB111_42:                             ;   in Loop: Header=BB111_5 Depth=1
	v_lshl_add_u64 v[58:59], v[50:51], 0, v[22:23]
	global_load_ushort v3, v[58:59], off
	v_lshl_add_u64 v[58:59], v[52:53], 0, v[22:23]
	global_load_ushort v14, v[58:59], off
	s_waitcnt vmcnt(1)
	v_lshlrev_b32_e32 v6, 16, v3
	s_waitcnt vmcnt(0)
	v_lshlrev_b32_e32 v14, 16, v14
	s_or_b64 exec, exec, s[48:49]
	s_and_saveexec_b64 s[48:49], s[6:7]
	s_cbranch_execz .LBB111_36
.LBB111_43:                             ;   in Loop: Header=BB111_5 Depth=1
	v_lshl_add_u64 v[58:59], v[46:47], 0, v[22:23]
	global_load_ushort v3, v[58:59], off
	v_lshl_add_u64 v[58:59], v[48:49], 0, v[22:23]
	global_load_ushort v15, v[58:59], off
	s_waitcnt vmcnt(1)
	v_lshlrev_b32_e32 v7, 16, v3
	s_waitcnt vmcnt(0)
	v_lshlrev_b32_e32 v15, 16, v15
	s_or_b64 exec, exec, s[48:49]
	s_and_saveexec_b64 s[48:49], s[6:7]
	s_cbranch_execz .LBB111_37
.LBB111_44:                             ;   in Loop: Header=BB111_5 Depth=1
	v_lshl_add_u64 v[58:59], v[42:43], 0, v[22:23]
	global_load_ushort v3, v[58:59], off
	v_lshl_add_u64 v[58:59], v[44:45], 0, v[22:23]
	global_load_ushort v16, v[58:59], off
	s_waitcnt vmcnt(1)
	v_lshlrev_b32_e32 v8, 16, v3
	s_waitcnt vmcnt(0)
	v_lshlrev_b32_e32 v16, 16, v16
	s_or_b64 exec, exec, s[48:49]
	s_and_saveexec_b64 s[48:49], s[6:7]
	s_cbranch_execz .LBB111_38
.LBB111_45:                             ;   in Loop: Header=BB111_5 Depth=1
	v_lshl_add_u64 v[58:59], v[38:39], 0, v[22:23]
	global_load_ushort v3, v[58:59], off
	v_lshl_add_u64 v[58:59], v[40:41], 0, v[22:23]
	global_load_ushort v17, v[58:59], off
	s_waitcnt vmcnt(1)
	v_lshlrev_b32_e32 v9, 16, v3
	s_waitcnt vmcnt(0)
	v_lshlrev_b32_e32 v17, 16, v17
	s_or_b64 exec, exec, s[48:49]
	s_and_saveexec_b64 s[48:49], s[6:7]
	s_cbranch_execz .LBB111_39
.LBB111_46:                             ;   in Loop: Header=BB111_5 Depth=1
	v_lshl_add_u64 v[58:59], v[34:35], 0, v[22:23]
	global_load_ushort v3, v[58:59], off
	v_lshl_add_u64 v[58:59], v[36:37], 0, v[22:23]
	global_load_ushort v18, v[58:59], off
	s_waitcnt vmcnt(1)
	v_lshlrev_b32_e32 v10, 16, v3
	s_waitcnt vmcnt(0)
	v_lshlrev_b32_e32 v18, 16, v18
	s_or_b64 exec, exec, s[48:49]
	s_and_saveexec_b64 s[48:49], s[6:7]
	s_cbranch_execz .LBB111_3
.LBB111_47:                             ;   in Loop: Header=BB111_5 Depth=1
	v_lshl_add_u64 v[58:59], v[30:31], 0, v[22:23]
	global_load_ushort v3, v[58:59], off
	v_lshl_add_u64 v[58:59], v[32:33], 0, v[22:23]
	global_load_ushort v19, v[58:59], off
	s_waitcnt vmcnt(1)
	v_lshlrev_b32_e32 v11, 16, v3
	s_waitcnt vmcnt(0)
	v_lshlrev_b32_e32 v19, 16, v19
	s_branch .LBB111_3
.LBB111_48:
                                        ; implicit-def: $vgpr29
	s_branch .LBB111_50
.LBB111_49:
	s_cbranch_execnz .LBB111_81
.LBB111_50:
	v_mov_b32_e32 v29, 0
	s_and_b64 vcc, exec, s[4:5]
	v_mov_b32_e32 v28, v29
	s_cbranch_vccnz .LBB111_81
; %bb.51:
	v_mov_b32_e32 v2, 0
	v_bfe_u32 v90, v0, 10, 10
	v_lshlrev_b32_e32 v6, 4, v90
	v_mov_b32_e32 v7, v2
	v_lshl_add_u64 v[6:7], s[20:21], 1, v[6:7]
	v_lshl_add_u64 v[8:9], v[6:7], 0, 2
	v_mov_b64_e32 v[10:11], s[12:13]
	v_lshl_add_u64 v[12:13], v[6:7], 0, 4
	v_lshl_add_u64 v[14:15], v[6:7], 0, 6
	;; [unrolled: 1-line block ×6, first 2 shown]
	v_mad_u64_u32 v[22:23], s[4:5], s10, v8, v[10:11]
	v_mad_u64_u32 v[24:25], s[4:5], s10, v12, v[10:11]
	;; [unrolled: 1-line block ×7, first 2 shown]
	v_mov_b64_e32 v[10:11], s[14:15]
	v_mul_lo_u32 v9, s10, v9
	v_mul_lo_u32 v40, s11, v8
	v_mad_u64_u32 v[38:39], s[4:5], s10, v8, v[10:11]
	v_add3_u32 v23, v40, v23, v9
	v_mul_lo_u32 v13, s10, v13
	v_mul_lo_u32 v42, s11, v12
	v_add3_u32 v39, v40, v39, v9
	v_mad_u64_u32 v[40:41], s[4:5], s10, v12, v[10:11]
	v_add3_u32 v25, v42, v25, v13
	v_mul_lo_u32 v15, s10, v15
	v_mul_lo_u32 v44, s11, v14
	v_add3_u32 v41, v42, v41, v13
	v_mad_u64_u32 v[42:43], s[4:5], s10, v14, v[10:11]
	v_add3_u32 v27, v44, v27, v15
	v_mul_lo_u32 v17, s10, v17
	v_mul_lo_u32 v46, s11, v16
	v_add3_u32 v43, v44, v43, v15
	v_mad_u64_u32 v[44:45], s[4:5], s10, v16, v[10:11]
	v_add3_u32 v31, v46, v31, v17
	v_mul_lo_u32 v19, s10, v19
	v_mul_lo_u32 v48, s11, v18
	v_add3_u32 v45, v46, v45, v17
	v_mad_u64_u32 v[46:47], s[4:5], s10, v18, v[10:11]
	v_lshlrev_b32_e32 v20, 3, v90
	v_mov_b32_e32 v21, v2
	v_add3_u32 v33, v48, v33, v19
	v_mul_lo_u32 v29, s10, v29
	v_mul_lo_u32 v50, s11, v28
	v_add3_u32 v47, v48, v47, v19
	v_mad_u64_u32 v[48:49], s[4:5], s10, v28, v[10:11]
	v_lshl_add_u64 v[4:5], v[20:21], 0, s[20:21]
	v_add3_u32 v35, v50, v35, v29
	v_mul_lo_u32 v7, s10, v7
	v_mul_lo_u32 v8, s11, v6
	v_add3_u32 v49, v50, v49, v29
	v_mad_u64_u32 v[50:51], s[4:5], s10, v6, v[10:11]
	v_add3_u32 v37, v8, v37, v7
	v_add3_u32 v51, v8, v51, v7
	v_lshl_add_u64 v[6:7], v[4:5], 0, 7
	v_mul_lo_u32 v8, s11, v6
	v_mul_lo_u32 v9, s10, v7
	v_mad_u64_u32 v[6:7], s[4:5], s10, v6, 0
	v_add3_u32 v7, v7, v9, v8
	v_lshl_add_u64 v[8:9], v[4:5], 0, 6
	v_mul_lo_u32 v10, s11, v8
	v_mul_lo_u32 v11, s10, v9
	v_mad_u64_u32 v[8:9], s[4:5], s10, v8, 0
	;; [unrolled: 5-line block ×5, first 2 shown]
	v_add3_u32 v15, v15, v17, v16
	v_lshl_add_u64 v[16:17], v[4:5], 0, 2
	v_mul_lo_u32 v52, s10, v5
	v_mul_lo_u32 v5, s11, v16
	;; [unrolled: 1-line block ×3, first 2 shown]
	v_mad_u64_u32 v[16:17], s[4:5], s10, v16, 0
	v_add3_u32 v17, v17, v18, v5
	v_mov_b64_e32 v[18:19], s[10:11]
	v_mul_lo_u32 v3, s11, v4
	v_mad_u64_u32 v[18:19], s[4:5], s10, v4, v[18:19]
	v_mad_u64_u32 v[4:5], s[4:5], s10, v4, 0
	s_load_dword s3, s[0:1], 0x44
	v_add3_u32 v5, v5, v52, v3
	v_lshlrev_b64 v[4:5], 1, v[4:5]
	v_lshl_add_u64 v[54:55], s[12:13], 0, v[4:5]
	v_lshl_add_u64 v[56:57], s[14:15], 0, v[4:5]
	v_lshlrev_b64 v[4:5], 1, v[6:7]
	v_lshl_add_u64 v[58:59], s[12:13], 0, v[4:5]
	v_lshl_add_u64 v[60:61], s[14:15], 0, v[4:5]
	v_lshlrev_b64 v[4:5], 1, v[8:9]
	s_add_u32 s4, s0, 64
	v_lshl_add_u64 v[62:63], s[12:13], 0, v[4:5]
	v_lshl_add_u64 v[64:65], s[14:15], 0, v[4:5]
	v_lshlrev_b64 v[4:5], 1, v[10:11]
	s_addc_u32 s5, s1, 0
	s_waitcnt lgkmcnt(0)
	s_lshl_b32 s3, s3, 6
	v_lshl_add_u64 v[66:67], s[12:13], 0, v[4:5]
	v_lshl_add_u64 v[68:69], s[14:15], 0, v[4:5]
	v_lshlrev_b64 v[4:5], 1, v[12:13]
	s_mul_i32 s6, s11, s3
	s_mul_hi_u32 s7, s10, s3
	v_lshl_add_u64 v[70:71], s[12:13], 0, v[4:5]
	v_lshl_add_u64 v[72:73], s[14:15], 0, v[4:5]
	v_lshlrev_b64 v[4:5], 1, v[14:15]
	v_add3_u32 v19, v3, v19, v52
	s_add_i32 s7, s7, s6
	s_mul_i32 s6, s10, s3
	v_lshl_add_u64 v[74:75], s[12:13], 0, v[4:5]
	v_lshl_add_u64 v[76:77], s[14:15], 0, v[4:5]
	v_lshlrev_b64 v[4:5], 1, v[16:17]
	v_mbcnt_lo_u32_b32 v3, -1, 0
	v_and_b32_e32 v1, 0x3ff, v0
	s_lshl_b64 s[6:7], s[6:7], 1
	v_lshl_add_u64 v[78:79], s[12:13], 0, v[4:5]
	v_lshl_add_u64 v[80:81], s[14:15], 0, v[4:5]
	v_lshlrev_b64 v[4:5], 1, v[18:19]
	v_mbcnt_hi_u32_b32 v3, -1, v3
	v_add_u32_e32 v28, s33, v1
	v_mov_b32_e32 v29, v2
	s_add_u32 s22, s20, 63
	v_lshl_add_u64 v[82:83], s[12:13], 0, v[4:5]
	v_lshl_add_u64 v[84:85], s[14:15], 0, v[4:5]
	s_movk_i32 s12, 0xffc1
	s_movk_i32 s14, 0xffc2
	;; [unrolled: 1-line block ×8, first 2 shown]
	v_lshlrev_b32_e32 v3, 2, v3
	v_lshlrev_b64 v[52:53], 1, v[28:29]
	s_addc_u32 s23, 0, 0
	s_mov_b32 s13, -1
	s_mov_b32 s15, -1
	;; [unrolled: 1-line block ×8, first 2 shown]
	v_and_b32_e32 v91, 0x100, v3
	v_mov_b32_e32 v28, 0
	s_branch .LBB111_55
.LBB111_52:                             ;   in Loop: Header=BB111_55 Depth=1
	s_or_b64 exec, exec, s[40:41]
.LBB111_53:                             ;   in Loop: Header=BB111_55 Depth=1
	s_or_b64 exec, exec, s[38:39]
	v_lshl_add_u64 v[4:5], v[54:55], 0, v[52:53]
	global_load_ushort v7, v[4:5], off
	v_lshl_add_u64 v[4:5], v[56:57], 0, v[52:53]
	global_load_ushort v8, v[4:5], off
	;; [unrolled: 2-line block ×16, first 2 shown]
	s_waitcnt vmcnt(17)
	ds_bpermute_b32 v89, v91, v6
	ds_bpermute_b32 v93, v91, v6 offset:4
	s_waitcnt vmcnt(16)
	ds_bpermute_b32 v88, v91, v3
	ds_bpermute_b32 v95, v91, v6 offset:8
	ds_bpermute_b32 v92, v91, v3 offset:4
	;; [unrolled: 1-line block ×13, first 2 shown]
	s_waitcnt vmcnt(15)
	v_lshlrev_b32_e32 v4, 16, v7
	s_waitcnt vmcnt(14)
	v_lshlrev_b32_e32 v7, 16, v8
	;; [unrolled: 2-line block ×16, first 2 shown]
	s_waitcnt lgkmcnt(14)
	v_sub_f32_e32 v5, v7, v89
	v_sub_f32_e32 v7, v9, v93
	v_mul_f32_e32 v5, v5, v4
	s_waitcnt lgkmcnt(12)
	v_sub_f32_e32 v9, v11, v95
	v_mul_f32_e32 v7, v7, v6
	v_mul_f32_e32 v5, v5, v88
	s_waitcnt lgkmcnt(10)
	v_sub_f32_e32 v11, v13, v97
	v_mul_f32_e32 v9, v9, v8
	v_mul_f32_e32 v7, v7, v92
	v_pk_add_f32 v[4:5], v[86:87], v[4:5]
	s_waitcnt lgkmcnt(8)
	v_sub_f32_e32 v13, v15, v99
	v_mul_f32_e32 v11, v11, v10
	v_mul_f32_e32 v9, v9, v94
	v_pk_add_f32 v[4:5], v[4:5], v[6:7]
	;; [unrolled: 5-line block ×3, first 2 shown]
	s_waitcnt lgkmcnt(5)
	v_sub_f32_e32 v17, v19, v103
	v_mul_f32_e32 v15, v15, v14
	s_waitcnt lgkmcnt(3)
	v_mul_f32_e32 v13, v13, v98
	v_pk_add_f32 v[4:5], v[4:5], v[10:11]
	v_mul_f32_e32 v17, v17, v16
	s_waitcnt lgkmcnt(2)
	v_mul_f32_e32 v15, v15, v100
	v_pk_add_f32 v[4:5], v[4:5], v[12:13]
	v_sub_f32_e32 v6, v28, v104
	s_waitcnt lgkmcnt(1)
	v_mul_f32_e32 v17, v17, v102
	v_pk_add_f32 v[4:5], v[4:5], v[14:15]
	v_mul_f32_e32 v6, v6, v18
	v_pk_add_f32 v[4:5], v[4:5], v[16:17]
	s_waitcnt lgkmcnt(0)
	v_mul_f32_e32 v19, v6, v3
	v_pk_add_f32 v[28:29], v[4:5], v[18:19]
.LBB111_54:                             ;   in Loop: Header=BB111_55 Depth=1
	s_add_u32 s20, s20, s3
	s_addc_u32 s21, s21, 0
	v_mov_b64_e32 v[4:5], s[8:9]
	s_add_u32 s22, s22, s3
	v_cmp_ge_i64_e32 vcc, s[20:21], v[4:5]
	v_lshl_add_u64 v[54:55], v[54:55], 0, s[6:7]
	v_lshl_add_u64 v[56:57], v[56:57], 0, s[6:7]
	s_addc_u32 s23, s23, 0
	v_lshl_add_u64 v[22:23], v[22:23], 0, s[6:7]
	v_lshl_add_u64 v[24:25], v[24:25], 0, s[6:7]
	;; [unrolled: 1-line block ×28, first 2 shown]
	s_cbranch_vccnz .LBB111_81
.LBB111_55:                             ; =>This Inner Loop Header: Depth=1
	v_mov_b64_e32 v[4:5], s[8:9]
	v_cmp_ge_i64_e32 vcc, s[22:23], v[4:5]
	v_mov_b32_e32 v86, v28
	v_mov_b32_e32 v87, v29
	v_lshl_add_u64 v[88:89], v[20:21], 0, s[22:23]
	s_mov_b64 s[38:39], -1
                                        ; implicit-def: $vgpr29
	s_cbranch_vccz .LBB111_77
; %bb.56:                               ;   in Loop: Header=BB111_55 Depth=1
	s_load_dword s33, s[4:5], 0xc
	v_mov_b32_e32 v28, 0
	v_mov_b32_e32 v29, 0
	s_waitcnt lgkmcnt(0)
	s_and_b32 s33, s33, 0xffff
	v_mad_u32_u24 v3, v90, s33, v1
	v_and_b32_e32 v4, 63, v3
	v_cmp_gt_u32_e32 vcc, 8, v4
	s_and_saveexec_b64 s[38:39], vcc
	s_cbranch_execz .LBB111_60
; %bb.57:                               ;   in Loop: Header=BB111_55 Depth=1
	v_mov_b32_e32 v5, v2
	v_lshl_add_u64 v[4:5], v[88:89], 0, v[4:5]
	v_lshl_add_u64 v[4:5], v[4:5], 0, s[12:13]
	v_cmp_gt_i64_e32 vcc, s[8:9], v[4:5]
	v_mov_b32_e32 v29, 0
	v_mov_b32_e32 v28, 0
	s_and_saveexec_b64 s[40:41], vcc
	s_cbranch_execz .LBB111_59
; %bb.58:                               ;   in Loop: Header=BB111_55 Depth=1
	v_lshlrev_b64 v[4:5], 2, v[4:5]
	v_lshl_add_u64 v[6:7], s[18:19], 0, v[4:5]
	v_lshl_add_u64 v[4:5], s[16:17], 0, v[4:5]
	global_load_dword v29, v[4:5], off
	global_load_dword v28, v[6:7], off
.LBB111_59:                             ;   in Loop: Header=BB111_55 Depth=1
	s_or_b64 exec, exec, s[40:41]
.LBB111_60:                             ;   in Loop: Header=BB111_55 Depth=1
	s_or_b64 exec, exec, s[38:39]
	v_lshl_add_u64 v[4:5], v[88:89], 0, s[12:13]
	v_mov_b32_e32 v8, v2
	v_mov_b32_e32 v9, v2
	v_cmp_gt_i64_e32 vcc, s[8:9], v[4:5]
	v_mov_b32_e32 v3, v2
	v_mov_b32_e32 v4, v2
	;; [unrolled: 1-line block ×5, first 2 shown]
	v_mov_b64_e32 v[18:19], v[8:9]
	v_mov_b64_e32 v[16:17], v[6:7]
	;; [unrolled: 1-line block ×8, first 2 shown]
	s_and_saveexec_b64 s[38:39], vcc
	s_cbranch_execz .LBB111_62
; %bb.61:                               ;   in Loop: Header=BB111_55 Depth=1
	v_lshl_add_u64 v[4:5], v[54:55], 0, v[52:53]
	global_load_ushort v3, v[4:5], off
	v_lshl_add_u64 v[4:5], v[56:57], 0, v[52:53]
	global_load_ushort v12, v[4:5], off
	v_mov_b32_e32 v5, v2
	v_mov_b32_e32 v6, v2
	;; [unrolled: 1-line block ×14, first 2 shown]
	s_waitcnt vmcnt(1)
	v_lshlrev_b32_e32 v4, 16, v3
	s_waitcnt vmcnt(0)
	v_lshlrev_b32_e32 v12, 16, v12
.LBB111_62:                             ;   in Loop: Header=BB111_55 Depth=1
	s_or_b64 exec, exec, s[38:39]
	v_lshl_add_u64 v[92:93], v[88:89], 0, s[14:15]
	v_cmp_gt_i64_e32 vcc, s[8:9], v[92:93]
	s_and_saveexec_b64 s[38:39], vcc
	s_cbranch_execz .LBB111_64
; %bb.63:                               ;   in Loop: Header=BB111_55 Depth=1
	v_lshl_add_u64 v[92:93], v[82:83], 0, v[52:53]
	global_load_ushort v3, v[92:93], off
	v_lshl_add_u64 v[92:93], v[84:85], 0, v[52:53]
	global_load_ushort v13, v[92:93], off
	s_waitcnt vmcnt(1)
	v_lshlrev_b32_e32 v5, 16, v3
	s_waitcnt vmcnt(0)
	v_lshlrev_b32_e32 v13, 16, v13
.LBB111_64:                             ;   in Loop: Header=BB111_55 Depth=1
	s_or_b64 exec, exec, s[38:39]
	v_lshl_add_u64 v[92:93], v[88:89], 0, s[24:25]
	v_cmp_gt_i64_e32 vcc, s[8:9], v[92:93]
	s_and_saveexec_b64 s[38:39], vcc
	s_cbranch_execz .LBB111_66
; %bb.65:                               ;   in Loop: Header=BB111_55 Depth=1
	v_lshl_add_u64 v[92:93], v[78:79], 0, v[52:53]
	global_load_ushort v3, v[92:93], off
	v_lshl_add_u64 v[92:93], v[80:81], 0, v[52:53]
	global_load_ushort v14, v[92:93], off
	s_waitcnt vmcnt(1)
	v_lshlrev_b32_e32 v6, 16, v3
	s_waitcnt vmcnt(0)
	v_lshlrev_b32_e32 v14, 16, v14
.LBB111_66:                             ;   in Loop: Header=BB111_55 Depth=1
	;; [unrolled: 15-line block ×7, first 2 shown]
	s_or_b64 exec, exec, s[38:39]
	s_waitcnt vmcnt(1)
	ds_bpermute_b32 v3, v91, v29
	s_waitcnt vmcnt(0)
	ds_bpermute_b32 v92, v91, v28
	ds_bpermute_b32 v95, v91, v29 offset:4
	ds_bpermute_b32 v94, v91, v28 offset:4
	;; [unrolled: 1-line block ×3, first 2 shown]
	s_waitcnt lgkmcnt(4)
	v_sub_f32_e32 v3, v12, v3
	v_mul_f32_e32 v3, v4, v3
	ds_bpermute_b32 v12, v91, v28 offset:8
	s_waitcnt lgkmcnt(4)
	v_mul_f32_e32 v93, v3, v92
	s_waitcnt lgkmcnt(3)
	v_sub_f32_e32 v3, v13, v95
	v_mul_f32_e32 v3, v5, v3
	s_waitcnt lgkmcnt(2)
	v_mul_f32_e32 v13, v3, v94
	s_waitcnt lgkmcnt(1)
	v_sub_f32_e32 v3, v14, v96
	ds_bpermute_b32 v14, v91, v29 offset:12
	v_mul_f32_e32 v3, v6, v3
	s_waitcnt lgkmcnt(1)
	v_mul_f32_e32 v95, v3, v12
	ds_bpermute_b32 v3, v91, v28 offset:12
	ds_bpermute_b32 v12, v91, v29 offset:16
	;; [unrolled: 1-line block ×3, first 2 shown]
	s_waitcnt lgkmcnt(3)
	v_sub_f32_e32 v14, v15, v14
	v_mul_f32_e32 v14, v7, v14
	s_waitcnt lgkmcnt(2)
	v_mul_f32_e32 v15, v14, v3
	s_waitcnt lgkmcnt(1)
	v_sub_f32_e32 v3, v16, v12
	ds_bpermute_b32 v12, v91, v29 offset:20
	v_mul_f32_e32 v3, v8, v3
	s_waitcnt lgkmcnt(1)
	v_mul_f32_e32 v97, v3, v92
	ds_bpermute_b32 v3, v91, v28 offset:20
	ds_bpermute_b32 v14, v91, v29 offset:24
	;; [unrolled: 1-line block ×3, first 2 shown]
	s_waitcnt lgkmcnt(3)
	v_sub_f32_e32 v12, v17, v12
	v_mul_f32_e32 v12, v9, v12
	s_waitcnt lgkmcnt(2)
	v_mul_f32_e32 v17, v12, v3
	s_waitcnt lgkmcnt(1)
	v_sub_f32_e32 v3, v18, v14
	v_mul_f32_e32 v3, v10, v3
	s_waitcnt lgkmcnt(0)
	v_mul_f32_e32 v99, v3, v16
	v_mov_b32_e32 v92, v4
	ds_bpermute_b32 v3, v91, v29 offset:28
	v_pk_add_f32 v[92:93], v[86:87], v[92:93]
	v_mov_b32_e32 v12, v5
	v_pk_add_f32 v[4:5], v[12:13], v[92:93]
	v_mov_b32_e32 v94, v6
	ds_bpermute_b32 v6, v91, v28 offset:28
	v_pk_add_f32 v[4:5], v[94:95], v[4:5]
	v_mov_b32_e32 v14, v7
	v_pk_add_f32 v[4:5], v[14:15], v[4:5]
	v_mov_b32_e32 v96, v8
	;; [unrolled: 2-line block ×3, first 2 shown]
	s_waitcnt lgkmcnt(1)
	v_sub_f32_e32 v3, v19, v3
	v_pk_add_f32 v[4:5], v[16:17], v[4:5]
	v_mov_b32_e32 v98, v10
	v_mul_f32_e32 v3, v11, v3
	v_pk_add_f32 v[4:5], v[98:99], v[4:5]
	s_waitcnt lgkmcnt(0)
	v_mul_f32_e32 v7, v3, v6
	v_mov_b32_e32 v6, v11
	v_pk_add_f32 v[28:29], v[6:7], v[4:5]
	s_mov_b64 s[38:39], 0
.LBB111_77:                             ;   in Loop: Header=BB111_55 Depth=1
	s_and_b64 vcc, exec, s[38:39]
	s_cbranch_vccz .LBB111_54
; %bb.78:                               ;   in Loop: Header=BB111_55 Depth=1
	s_load_dword s33, s[4:5], 0x0
	v_mov_b32_e32 v3, 0
	v_mov_b32_e32 v6, 0
	s_waitcnt lgkmcnt(0)
	s_cmp_lt_u32 s2, s33
	s_cselect_b32 s33, 12, 18
	s_add_u32 s38, s4, s33
	s_addc_u32 s39, s5, 0
	global_load_ushort v4, v2, s[38:39]
	s_waitcnt vmcnt(0)
	v_mad_u32_u24 v4, v90, v4, v1
	v_and_b32_e32 v4, 63, v4
	v_cmp_gt_u32_e32 vcc, 8, v4
	s_and_saveexec_b64 s[38:39], vcc
	s_cbranch_execz .LBB111_53
; %bb.79:                               ;   in Loop: Header=BB111_55 Depth=1
	v_mov_b32_e32 v5, v2
	v_lshl_add_u64 v[4:5], v[88:89], 0, v[4:5]
	v_lshl_add_u64 v[4:5], v[4:5], 0, s[12:13]
	v_cmp_gt_i64_e32 vcc, s[8:9], v[4:5]
	v_mov_b32_e32 v6, 0
	v_mov_b32_e32 v3, 0
	s_and_saveexec_b64 s[40:41], vcc
	s_cbranch_execz .LBB111_52
; %bb.80:                               ;   in Loop: Header=BB111_55 Depth=1
	v_lshlrev_b64 v[4:5], 2, v[4:5]
	v_lshl_add_u64 v[8:9], s[18:19], 0, v[4:5]
	v_lshl_add_u64 v[4:5], s[16:17], 0, v[4:5]
	global_load_dword v6, v[4:5], off
	global_load_dword v3, v[8:9], off
	s_branch .LBB111_52
.LBB111_81:
	v_and_b32_e32 v1, 0x3ff, v0
	v_bfe_u32 v0, v0, 10, 10
	v_mad_u32_u24 v2, v0, 33, v1
	v_sub_u32_e32 v7, v2, v0
	s_movk_i32 s3, 0x800
	v_lshl_add_u32 v3, v2, 2, 0
	v_cmp_gt_u32_e32 vcc, s3, v7
	ds_write_b32 v3, v29
	ds_write_b32 v3, v28 offset:1056
	s_waitcnt lgkmcnt(0)
	s_barrier
	s_and_saveexec_b64 s[4:5], vcc
	s_cbranch_execz .LBB111_145
; %bb.82:
	s_load_dwordx4 s[12:15], s[0:1], 0x30
	v_and_b32_e32 v2, 63, v7
	v_lshrrev_b32_e32 v0, 6, v7
	v_cmp_lt_u32_e64 s[6:7], 7, v2
	v_cmp_gt_u32_e64 s[4:5], 8, v2
	v_mul_u32_u24_e32 v6, 33, v2
                                        ; implicit-def: $vgpr2
	s_and_saveexec_b64 s[0:1], s[4:5]
	s_cbranch_execz .LBB111_84
; %bb.83:
	v_add_u32_e32 v2, v0, v6
	v_lshl_add_u32 v2, v2, 2, 0
	ds_read_b32 v3, v2
	ds_read_b32 v2, v2 offset:1056
.LBB111_84:
	s_or_b64 exec, exec, s[0:1]
	v_mbcnt_lo_u32_b32 v4, -1, 0
	v_mbcnt_hi_u32_b32 v10, -1, v4
	v_and_b32_e32 v4, 64, v10
	v_add_u32_e32 v11, 64, v4
	v_cmp_eq_u32_e64 s[0:1], 0, v1
	v_xor_b32_e32 v1, 4, v10
	v_cmp_lt_i32_e32 vcc, v1, v11
	s_mov_b32 s3, 0
	s_lshl_b64 s[2:3], s[2:3], 5
	v_cndmask_b32_e32 v1, v10, v1, vcc
	v_lshlrev_b32_e32 v8, 2, v1
	s_waitcnt lgkmcnt(0)
	ds_bpermute_b32 v5, v8, v3
	ds_bpermute_b32 v4, v8, v2
	v_xor_b32_e32 v1, 2, v10
	v_cmp_lt_i32_e32 vcc, v1, v11
	s_cmp_lg_u64 s[12:13], 0
	s_cselect_b64 s[16:17], -1, 0
	v_cndmask_b32_e32 v1, v10, v1, vcc
	v_lshlrev_b32_e32 v9, 2, v1
	s_waitcnt lgkmcnt(0)
	v_pk_add_f32 v[2:3], v[2:3], v[4:5]
	ds_bpermute_b32 v5, v9, v3
	ds_bpermute_b32 v4, v9, v2
	v_xor_b32_e32 v1, 1, v10
	v_cmp_lt_i32_e32 vcc, v1, v11
	s_cmp_lg_u64 s[14:15], 0
	s_cselect_b64 s[8:9], -1, 0
	v_cndmask_b32_e32 v1, v10, v1, vcc
	v_lshlrev_b32_e32 v10, 2, v1
	s_waitcnt lgkmcnt(0)
	v_pk_add_f32 v[2:3], v[2:3], v[4:5]
	ds_bpermute_b32 v5, v10, v3
	ds_bpermute_b32 v4, v10, v2
	v_mov_b32_e32 v1, 0
	s_waitcnt lgkmcnt(0)
	v_pk_add_f32 v[2:3], v[2:3], v[4:5]
	v_or_b32_e32 v4, s2, v0
	v_mov_b32_e32 v5, s3
	v_cmp_gt_i64_e32 vcc, s[10:11], v[4:5]
	s_and_b64 s[20:21], s[0:1], vcc
	s_and_saveexec_b64 s[18:19], s[20:21]
	s_cbranch_execz .LBB111_89
; %bb.85:
	s_andn2_b64 vcc, exec, s[16:17]
	s_cbranch_vccnz .LBB111_87
; %bb.86:
	v_bfe_u32 v11, v3, 16, 1
	s_movk_i32 s20, 0x7fff
	v_add3_u32 v11, v3, v11, s20
	v_cmp_o_f32_e32 vcc, v3, v3
	v_mov_b32_e32 v12, 0x7fc0
	s_nop 0
	v_cndmask_b32_sdwa v11, v12, v11, vcc dst_sel:DWORD dst_unused:UNUSED_PAD src0_sel:DWORD src1_sel:WORD_1
	v_lshl_add_u64 v[12:13], v[4:5], 1, s[12:13]
	global_store_short v[12:13], v11, off
.LBB111_87:
	s_andn2_b64 vcc, exec, s[8:9]
	s_cbranch_vccnz .LBB111_89
; %bb.88:
	v_bfe_u32 v11, v2, 16, 1
	s_movk_i32 s20, 0x7fff
	v_add3_u32 v11, v2, v11, s20
	v_cmp_o_f32_e32 vcc, v2, v2
	v_mov_b32_e32 v12, 0x7fc0
	v_lshl_add_u64 v[4:5], v[4:5], 1, s[14:15]
	v_cndmask_b32_sdwa v11, v12, v11, vcc dst_sel:DWORD dst_unused:UNUSED_PAD src0_sel:DWORD src1_sel:WORD_1
	global_store_short v[4:5], v11, off
.LBB111_89:
	s_or_b64 exec, exec, s[18:19]
	s_movk_i32 s18, 0x700
	v_cmp_gt_u32_e32 vcc, s18, v7
	s_and_b64 exec, exec, vcc
	s_cbranch_execz .LBB111_145
; %bb.90:
	s_and_saveexec_b64 s[18:19], s[6:7]
	s_xor_b64 s[18:19], exec, s[18:19]
	s_andn2_saveexec_b64 s[18:19], s[18:19]
	s_cbranch_execz .LBB111_92
; %bb.91:
	v_add_u32_e32 v2, v0, v6
	v_lshl_add_u32 v2, v2, 2, 0
	ds_read_b32 v3, v2 offset:16
	ds_read_b32 v2, v2 offset:1072
.LBB111_92:
	s_or_b64 exec, exec, s[18:19]
	s_waitcnt lgkmcnt(1)
	ds_bpermute_b32 v5, v8, v3
	s_waitcnt lgkmcnt(1)
	ds_bpermute_b32 v4, v8, v2
	v_add_u32_e32 v12, 4, v0
	v_mov_b32_e32 v13, 0
	v_lshl_add_u64 v[12:13], s[2:3], 0, v[12:13]
	v_cmp_gt_i64_e32 vcc, s[10:11], v[12:13]
	s_waitcnt lgkmcnt(0)
	v_pk_add_f32 v[2:3], v[2:3], v[4:5]
	ds_bpermute_b32 v5, v9, v3
	ds_bpermute_b32 v4, v9, v2
	s_and_b64 s[20:21], s[0:1], vcc
	s_waitcnt lgkmcnt(0)
	v_pk_add_f32 v[2:3], v[2:3], v[4:5]
	ds_bpermute_b32 v5, v10, v3
	ds_bpermute_b32 v4, v10, v2
	s_waitcnt lgkmcnt(0)
	v_pk_add_f32 v[2:3], v[2:3], v[4:5]
	s_and_saveexec_b64 s[18:19], s[20:21]
	s_cbranch_execz .LBB111_97
; %bb.93:
	s_andn2_b64 vcc, exec, s[16:17]
	s_cbranch_vccnz .LBB111_95
; %bb.94:
	v_bfe_u32 v4, v3, 16, 1
	s_movk_i32 s20, 0x7fff
	v_add3_u32 v4, v3, v4, s20
	v_cmp_o_f32_e32 vcc, v3, v3
	v_mov_b32_e32 v5, 0x7fc0
	s_nop 0
	v_cndmask_b32_sdwa v11, v5, v4, vcc dst_sel:DWORD dst_unused:UNUSED_PAD src0_sel:DWORD src1_sel:WORD_1
	v_lshl_add_u64 v[4:5], s[2:3], 0, v[0:1]
	v_lshl_add_u64 v[4:5], v[4:5], 1, s[12:13]
	global_store_short v[4:5], v11, off offset:8
.LBB111_95:
	s_andn2_b64 vcc, exec, s[8:9]
	s_cbranch_vccnz .LBB111_97
; %bb.96:
	v_bfe_u32 v4, v2, 16, 1
	s_movk_i32 s20, 0x7fff
	v_add3_u32 v4, v2, v4, s20
	v_cmp_o_f32_e32 vcc, v2, v2
	v_mov_b32_e32 v5, 0x7fc0
	s_nop 0
	v_cndmask_b32_sdwa v11, v5, v4, vcc dst_sel:DWORD dst_unused:UNUSED_PAD src0_sel:DWORD src1_sel:WORD_1
	v_lshl_add_u64 v[4:5], s[2:3], 0, v[0:1]
	v_lshl_add_u64 v[4:5], v[4:5], 1, s[14:15]
	global_store_short v[4:5], v11, off offset:8
.LBB111_97:
	s_or_b64 exec, exec, s[18:19]
	s_movk_i32 s18, 0x600
	v_cmp_gt_u32_e32 vcc, s18, v7
	s_and_b64 exec, exec, vcc
	s_cbranch_execz .LBB111_145
; %bb.98:
	s_and_saveexec_b64 s[18:19], s[6:7]
	s_xor_b64 s[18:19], exec, s[18:19]
	s_andn2_saveexec_b64 s[18:19], s[18:19]
	s_cbranch_execz .LBB111_100
; %bb.99:
	v_add_u32_e32 v2, v0, v6
	v_lshl_add_u32 v2, v2, 2, 0
	ds_read_b32 v3, v2 offset:32
	ds_read_b32 v2, v2 offset:1088
.LBB111_100:
	s_or_b64 exec, exec, s[18:19]
	s_waitcnt lgkmcnt(1)
	ds_bpermute_b32 v5, v8, v3
	s_waitcnt lgkmcnt(1)
	ds_bpermute_b32 v4, v8, v2
	v_add_u32_e32 v12, 8, v0
	v_mov_b32_e32 v13, 0
	v_lshl_add_u64 v[12:13], s[2:3], 0, v[12:13]
	v_cmp_gt_i64_e32 vcc, s[10:11], v[12:13]
	s_waitcnt lgkmcnt(0)
	v_pk_add_f32 v[2:3], v[2:3], v[4:5]
	ds_bpermute_b32 v5, v9, v3
	ds_bpermute_b32 v4, v9, v2
	s_and_b64 s[20:21], s[0:1], vcc
	s_waitcnt lgkmcnt(0)
	v_pk_add_f32 v[2:3], v[2:3], v[4:5]
	ds_bpermute_b32 v5, v10, v3
	ds_bpermute_b32 v4, v10, v2
	s_waitcnt lgkmcnt(0)
	v_pk_add_f32 v[2:3], v[2:3], v[4:5]
	s_and_saveexec_b64 s[18:19], s[20:21]
	s_cbranch_execz .LBB111_105
; %bb.101:
	s_andn2_b64 vcc, exec, s[16:17]
	s_cbranch_vccnz .LBB111_103
; %bb.102:
	v_bfe_u32 v4, v3, 16, 1
	s_movk_i32 s20, 0x7fff
	v_add3_u32 v4, v3, v4, s20
	v_cmp_o_f32_e32 vcc, v3, v3
	v_mov_b32_e32 v5, 0x7fc0
	s_nop 0
	v_cndmask_b32_sdwa v11, v5, v4, vcc dst_sel:DWORD dst_unused:UNUSED_PAD src0_sel:DWORD src1_sel:WORD_1
	v_lshl_add_u64 v[4:5], s[2:3], 0, v[0:1]
	v_lshl_add_u64 v[4:5], v[4:5], 1, s[12:13]
	global_store_short v[4:5], v11, off offset:16
.LBB111_103:
	s_andn2_b64 vcc, exec, s[8:9]
	s_cbranch_vccnz .LBB111_105
; %bb.104:
	v_bfe_u32 v4, v2, 16, 1
	s_movk_i32 s20, 0x7fff
	v_add3_u32 v4, v2, v4, s20
	v_cmp_o_f32_e32 vcc, v2, v2
	v_mov_b32_e32 v5, 0x7fc0
	s_nop 0
	v_cndmask_b32_sdwa v11, v5, v4, vcc dst_sel:DWORD dst_unused:UNUSED_PAD src0_sel:DWORD src1_sel:WORD_1
	v_lshl_add_u64 v[4:5], s[2:3], 0, v[0:1]
	v_lshl_add_u64 v[4:5], v[4:5], 1, s[14:15]
	global_store_short v[4:5], v11, off offset:16
.LBB111_105:
	s_or_b64 exec, exec, s[18:19]
	s_movk_i32 s18, 0x500
	v_cmp_gt_u32_e32 vcc, s18, v7
	s_and_b64 exec, exec, vcc
	s_cbranch_execz .LBB111_145
; %bb.106:
	s_and_saveexec_b64 s[18:19], s[6:7]
	s_xor_b64 s[18:19], exec, s[18:19]
	s_andn2_saveexec_b64 s[18:19], s[18:19]
	s_cbranch_execz .LBB111_108
; %bb.107:
	v_add_u32_e32 v2, v0, v6
	v_lshl_add_u32 v2, v2, 2, 0
	ds_read_b32 v3, v2 offset:48
	ds_read_b32 v2, v2 offset:1104
.LBB111_108:
	s_or_b64 exec, exec, s[18:19]
	s_waitcnt lgkmcnt(1)
	ds_bpermute_b32 v5, v8, v3
	s_waitcnt lgkmcnt(1)
	ds_bpermute_b32 v4, v8, v2
	v_add_u32_e32 v12, 12, v0
	v_mov_b32_e32 v13, 0
	v_lshl_add_u64 v[12:13], s[2:3], 0, v[12:13]
	v_cmp_gt_i64_e32 vcc, s[10:11], v[12:13]
	s_waitcnt lgkmcnt(0)
	v_pk_add_f32 v[2:3], v[2:3], v[4:5]
	ds_bpermute_b32 v5, v9, v3
	ds_bpermute_b32 v4, v9, v2
	s_and_b64 s[20:21], s[0:1], vcc
	s_waitcnt lgkmcnt(0)
	v_pk_add_f32 v[2:3], v[2:3], v[4:5]
	ds_bpermute_b32 v5, v10, v3
	ds_bpermute_b32 v4, v10, v2
	s_waitcnt lgkmcnt(0)
	v_pk_add_f32 v[2:3], v[2:3], v[4:5]
	s_and_saveexec_b64 s[18:19], s[20:21]
	s_cbranch_execz .LBB111_113
; %bb.109:
	s_andn2_b64 vcc, exec, s[16:17]
	s_cbranch_vccnz .LBB111_111
; %bb.110:
	v_bfe_u32 v4, v3, 16, 1
	s_movk_i32 s20, 0x7fff
	v_add3_u32 v4, v3, v4, s20
	v_cmp_o_f32_e32 vcc, v3, v3
	v_mov_b32_e32 v5, 0x7fc0
	s_nop 0
	v_cndmask_b32_sdwa v11, v5, v4, vcc dst_sel:DWORD dst_unused:UNUSED_PAD src0_sel:DWORD src1_sel:WORD_1
	v_lshl_add_u64 v[4:5], s[2:3], 0, v[0:1]
	v_lshl_add_u64 v[4:5], v[4:5], 1, s[12:13]
	global_store_short v[4:5], v11, off offset:24
.LBB111_111:
	s_andn2_b64 vcc, exec, s[8:9]
	s_cbranch_vccnz .LBB111_113
; %bb.112:
	v_bfe_u32 v4, v2, 16, 1
	s_movk_i32 s20, 0x7fff
	v_add3_u32 v4, v2, v4, s20
	v_cmp_o_f32_e32 vcc, v2, v2
	v_mov_b32_e32 v5, 0x7fc0
	s_nop 0
	v_cndmask_b32_sdwa v11, v5, v4, vcc dst_sel:DWORD dst_unused:UNUSED_PAD src0_sel:DWORD src1_sel:WORD_1
	v_lshl_add_u64 v[4:5], s[2:3], 0, v[0:1]
	v_lshl_add_u64 v[4:5], v[4:5], 1, s[14:15]
	global_store_short v[4:5], v11, off offset:24
.LBB111_113:
	s_or_b64 exec, exec, s[18:19]
	s_movk_i32 s18, 0x400
	v_cmp_gt_u32_e32 vcc, s18, v7
	s_and_b64 exec, exec, vcc
	s_cbranch_execz .LBB111_145
; %bb.114:
	s_and_saveexec_b64 s[18:19], s[6:7]
	s_xor_b64 s[18:19], exec, s[18:19]
	s_andn2_saveexec_b64 s[18:19], s[18:19]
	s_cbranch_execz .LBB111_116
; %bb.115:
	v_add_u32_e32 v2, v0, v6
	v_lshl_add_u32 v2, v2, 2, 0
	ds_read_b32 v3, v2 offset:64
	ds_read_b32 v2, v2 offset:1120
.LBB111_116:
	s_or_b64 exec, exec, s[18:19]
	s_waitcnt lgkmcnt(1)
	ds_bpermute_b32 v5, v8, v3
	s_waitcnt lgkmcnt(1)
	ds_bpermute_b32 v4, v8, v2
	v_add_u32_e32 v11, 16, v0
	v_mov_b32_e32 v13, s3
	v_or_b32_e32 v12, s2, v11
	v_cmp_gt_i64_e32 vcc, s[10:11], v[12:13]
	s_waitcnt lgkmcnt(0)
	v_pk_add_f32 v[2:3], v[2:3], v[4:5]
	ds_bpermute_b32 v5, v9, v3
	ds_bpermute_b32 v4, v9, v2
	s_and_b64 s[20:21], s[0:1], vcc
	s_waitcnt lgkmcnt(0)
	v_pk_add_f32 v[2:3], v[2:3], v[4:5]
	ds_bpermute_b32 v5, v10, v3
	ds_bpermute_b32 v4, v10, v2
	s_waitcnt lgkmcnt(0)
	v_pk_add_f32 v[2:3], v[2:3], v[4:5]
	s_and_saveexec_b64 s[18:19], s[20:21]
	s_cbranch_execz .LBB111_121
; %bb.117:
	s_andn2_b64 vcc, exec, s[16:17]
	s_cbranch_vccnz .LBB111_119
; %bb.118:
	v_bfe_u32 v4, v3, 16, 1
	s_movk_i32 s20, 0x7fff
	v_add3_u32 v4, v3, v4, s20
	v_cmp_o_f32_e32 vcc, v3, v3
	v_mov_b32_e32 v5, 0x7fc0
	s_nop 0
	v_cndmask_b32_sdwa v11, v5, v4, vcc dst_sel:DWORD dst_unused:UNUSED_PAD src0_sel:DWORD src1_sel:WORD_1
	v_lshl_add_u64 v[4:5], s[2:3], 0, v[0:1]
	v_lshl_add_u64 v[4:5], v[4:5], 1, s[12:13]
	global_store_short v[4:5], v11, off offset:32
.LBB111_119:
	s_andn2_b64 vcc, exec, s[8:9]
	s_cbranch_vccnz .LBB111_121
; %bb.120:
	v_bfe_u32 v4, v2, 16, 1
	s_movk_i32 s20, 0x7fff
	v_add3_u32 v4, v2, v4, s20
	v_cmp_o_f32_e32 vcc, v2, v2
	v_mov_b32_e32 v5, 0x7fc0
	s_nop 0
	v_cndmask_b32_sdwa v11, v5, v4, vcc dst_sel:DWORD dst_unused:UNUSED_PAD src0_sel:DWORD src1_sel:WORD_1
	v_lshl_add_u64 v[4:5], s[2:3], 0, v[0:1]
	v_lshl_add_u64 v[4:5], v[4:5], 1, s[14:15]
	global_store_short v[4:5], v11, off offset:32
.LBB111_121:
	s_or_b64 exec, exec, s[18:19]
	s_movk_i32 s18, 0x300
	v_cmp_gt_u32_e32 vcc, s18, v7
	s_and_b64 exec, exec, vcc
	s_cbranch_execz .LBB111_145
; %bb.122:
	s_and_saveexec_b64 s[18:19], s[6:7]
	s_xor_b64 s[18:19], exec, s[18:19]
	s_andn2_saveexec_b64 s[18:19], s[18:19]
	s_cbranch_execz .LBB111_124
; %bb.123:
	v_add_u32_e32 v2, v0, v6
	v_lshl_add_u32 v2, v2, 2, 0
	ds_read_b32 v3, v2 offset:80
	ds_read_b32 v2, v2 offset:1136
.LBB111_124:
	s_or_b64 exec, exec, s[18:19]
	s_waitcnt lgkmcnt(1)
	ds_bpermute_b32 v5, v8, v3
	s_waitcnt lgkmcnt(1)
	ds_bpermute_b32 v4, v8, v2
	v_add_u32_e32 v12, 20, v0
	v_mov_b32_e32 v13, 0
	v_lshl_add_u64 v[12:13], s[2:3], 0, v[12:13]
	v_cmp_gt_i64_e32 vcc, s[10:11], v[12:13]
	s_waitcnt lgkmcnt(0)
	v_pk_add_f32 v[2:3], v[2:3], v[4:5]
	ds_bpermute_b32 v5, v9, v3
	ds_bpermute_b32 v4, v9, v2
	s_and_b64 s[20:21], s[0:1], vcc
	s_waitcnt lgkmcnt(0)
	v_pk_add_f32 v[2:3], v[2:3], v[4:5]
	ds_bpermute_b32 v5, v10, v3
	ds_bpermute_b32 v4, v10, v2
	s_waitcnt lgkmcnt(0)
	v_pk_add_f32 v[2:3], v[2:3], v[4:5]
	s_and_saveexec_b64 s[18:19], s[20:21]
	s_cbranch_execz .LBB111_129
; %bb.125:
	s_andn2_b64 vcc, exec, s[16:17]
	s_cbranch_vccnz .LBB111_127
; %bb.126:
	v_bfe_u32 v4, v3, 16, 1
	s_movk_i32 s20, 0x7fff
	v_add3_u32 v4, v3, v4, s20
	v_cmp_o_f32_e32 vcc, v3, v3
	v_mov_b32_e32 v5, 0x7fc0
	s_nop 0
	v_cndmask_b32_sdwa v11, v5, v4, vcc dst_sel:DWORD dst_unused:UNUSED_PAD src0_sel:DWORD src1_sel:WORD_1
	v_lshl_add_u64 v[4:5], s[2:3], 0, v[0:1]
	v_lshl_add_u64 v[4:5], v[4:5], 1, s[12:13]
	global_store_short v[4:5], v11, off offset:40
.LBB111_127:
	s_andn2_b64 vcc, exec, s[8:9]
	s_cbranch_vccnz .LBB111_129
; %bb.128:
	v_bfe_u32 v4, v2, 16, 1
	s_movk_i32 s20, 0x7fff
	v_add3_u32 v4, v2, v4, s20
	v_cmp_o_f32_e32 vcc, v2, v2
	v_mov_b32_e32 v5, 0x7fc0
	s_nop 0
	v_cndmask_b32_sdwa v11, v5, v4, vcc dst_sel:DWORD dst_unused:UNUSED_PAD src0_sel:DWORD src1_sel:WORD_1
	v_lshl_add_u64 v[4:5], s[2:3], 0, v[0:1]
	v_lshl_add_u64 v[4:5], v[4:5], 1, s[14:15]
	global_store_short v[4:5], v11, off offset:40
.LBB111_129:
	s_or_b64 exec, exec, s[18:19]
	s_movk_i32 s18, 0x200
	v_cmp_gt_u32_e32 vcc, s18, v7
	s_and_b64 exec, exec, vcc
	s_cbranch_execz .LBB111_145
; %bb.130:
	s_and_saveexec_b64 s[18:19], s[6:7]
	s_xor_b64 s[6:7], exec, s[18:19]
	s_andn2_saveexec_b64 s[6:7], s[6:7]
	s_cbranch_execz .LBB111_132
; %bb.131:
	v_add_u32_e32 v2, v0, v6
	v_lshl_add_u32 v2, v2, 2, 0
	ds_read_b32 v3, v2 offset:96
	ds_read_b32 v2, v2 offset:1152
.LBB111_132:
	s_or_b64 exec, exec, s[6:7]
	s_waitcnt lgkmcnt(1)
	ds_bpermute_b32 v5, v8, v3
	s_waitcnt lgkmcnt(1)
	ds_bpermute_b32 v4, v8, v2
	v_add_u32_e32 v11, 24, v0
	v_mov_b32_e32 v13, s3
	v_or_b32_e32 v12, s2, v11
	v_cmp_gt_i64_e32 vcc, s[10:11], v[12:13]
	s_waitcnt lgkmcnt(0)
	v_pk_add_f32 v[2:3], v[2:3], v[4:5]
	ds_bpermute_b32 v5, v9, v3
	ds_bpermute_b32 v4, v9, v2
	s_and_b64 s[18:19], s[0:1], vcc
	s_waitcnt lgkmcnt(0)
	v_pk_add_f32 v[2:3], v[2:3], v[4:5]
	ds_bpermute_b32 v5, v10, v3
	ds_bpermute_b32 v4, v10, v2
	s_waitcnt lgkmcnt(0)
	v_pk_add_f32 v[2:3], v[2:3], v[4:5]
	s_and_saveexec_b64 s[6:7], s[18:19]
	s_cbranch_execz .LBB111_137
; %bb.133:
	s_andn2_b64 vcc, exec, s[16:17]
	s_cbranch_vccnz .LBB111_135
; %bb.134:
	v_bfe_u32 v4, v3, 16, 1
	s_movk_i32 s18, 0x7fff
	v_add3_u32 v4, v3, v4, s18
	v_cmp_o_f32_e32 vcc, v3, v3
	v_mov_b32_e32 v5, 0x7fc0
	s_nop 0
	v_cndmask_b32_sdwa v11, v5, v4, vcc dst_sel:DWORD dst_unused:UNUSED_PAD src0_sel:DWORD src1_sel:WORD_1
	v_lshl_add_u64 v[4:5], s[2:3], 0, v[0:1]
	v_lshl_add_u64 v[4:5], v[4:5], 1, s[12:13]
	global_store_short v[4:5], v11, off offset:48
.LBB111_135:
	s_andn2_b64 vcc, exec, s[8:9]
	s_cbranch_vccnz .LBB111_137
; %bb.136:
	v_bfe_u32 v4, v2, 16, 1
	s_movk_i32 s18, 0x7fff
	v_add3_u32 v4, v2, v4, s18
	v_cmp_o_f32_e32 vcc, v2, v2
	v_mov_b32_e32 v5, 0x7fc0
	s_nop 0
	v_cndmask_b32_sdwa v11, v5, v4, vcc dst_sel:DWORD dst_unused:UNUSED_PAD src0_sel:DWORD src1_sel:WORD_1
	v_lshl_add_u64 v[4:5], s[2:3], 0, v[0:1]
	v_lshl_add_u64 v[4:5], v[4:5], 1, s[14:15]
	global_store_short v[4:5], v11, off offset:48
.LBB111_137:
	s_or_b64 exec, exec, s[6:7]
	s_movk_i32 s6, 0x100
	v_cmp_gt_u32_e32 vcc, s6, v7
	s_and_b64 exec, exec, vcc
	s_cbranch_execz .LBB111_145
; %bb.138:
	s_and_saveexec_b64 s[6:7], s[4:5]
	s_cbranch_execz .LBB111_140
; %bb.139:
	v_add_u32_e32 v2, v0, v6
	v_lshl_add_u32 v2, v2, 2, 0
	ds_read_b32 v3, v2 offset:112
	ds_read_b32 v2, v2 offset:1168
.LBB111_140:
	s_or_b64 exec, exec, s[6:7]
	s_waitcnt lgkmcnt(1)
	ds_bpermute_b32 v4, v8, v3
	s_waitcnt lgkmcnt(1)
	ds_bpermute_b32 v5, v8, v2
	v_add_u32_e32 v6, 28, v0
	v_or_b32_e32 v6, s2, v6
	v_mov_b32_e32 v7, s3
	s_waitcnt lgkmcnt(1)
	v_add_f32_e32 v3, v3, v4
	s_waitcnt lgkmcnt(0)
	v_add_f32_e32 v2, v2, v5
	ds_bpermute_b32 v4, v9, v3
	ds_bpermute_b32 v5, v9, v2
	v_cmp_gt_i64_e32 vcc, s[10:11], v[6:7]
	s_and_b64 s[0:1], s[0:1], vcc
	s_waitcnt lgkmcnt(1)
	v_add_f32_e32 v4, v3, v4
	s_waitcnt lgkmcnt(0)
	v_add_f32_e32 v2, v2, v5
	ds_bpermute_b32 v5, v10, v4
	ds_bpermute_b32 v3, v10, v2
	s_and_b64 exec, exec, s[0:1]
	s_cbranch_execz .LBB111_145
; %bb.141:
	s_andn2_b64 vcc, exec, s[16:17]
	v_lshl_add_u64 v[0:1], s[2:3], 0, v[0:1]
	s_cbranch_vccnz .LBB111_143
; %bb.142:
	s_waitcnt lgkmcnt(1)
	v_add_f32_e32 v4, v4, v5
	v_bfe_u32 v5, v4, 16, 1
	s_movk_i32 s0, 0x7fff
	v_add3_u32 v5, v4, v5, s0
	v_cmp_o_f32_e32 vcc, v4, v4
	v_mov_b32_e32 v4, 0x7fc0
	s_nop 0
	v_cndmask_b32_sdwa v6, v4, v5, vcc dst_sel:DWORD dst_unused:UNUSED_PAD src0_sel:DWORD src1_sel:WORD_1
	v_lshl_add_u64 v[4:5], v[0:1], 1, s[12:13]
	global_store_short v[4:5], v6, off offset:56
.LBB111_143:
	s_andn2_b64 vcc, exec, s[8:9]
	s_cbranch_vccnz .LBB111_145
; %bb.144:
	s_waitcnt lgkmcnt(0)
	v_add_f32_e32 v2, v2, v3
	v_bfe_u32 v3, v2, 16, 1
	s_movk_i32 s0, 0x7fff
	v_add3_u32 v3, v2, v3, s0
	v_cmp_o_f32_e32 vcc, v2, v2
	v_mov_b32_e32 v2, 0x7fc0
	v_lshl_add_u64 v[0:1], v[0:1], 1, s[14:15]
	v_cndmask_b32_sdwa v2, v2, v3, vcc dst_sel:DWORD dst_unused:UNUSED_PAD src0_sel:DWORD src1_sel:WORD_1
	global_store_short v[0:1], v2, off offset:56
.LBB111_145:
	s_endpgm
	.section	.rodata,"a",@progbits
	.p2align	6, 0x0
	.amdhsa_kernel _ZN2at6native12_GLOBAL__N_135GammaBetaBackwardCUDAKernelTemplateIN3c108BFloat16EfLj32ELj8ELj64ELb0ELb0ELb0EEEvllPKT_S7_PKT0_SA_PS5_SB_
		.amdhsa_group_segment_fixed_size 0
		.amdhsa_private_segment_fixed_size 0
		.amdhsa_kernarg_size 320
		.amdhsa_user_sgpr_count 2
		.amdhsa_user_sgpr_dispatch_ptr 0
		.amdhsa_user_sgpr_queue_ptr 0
		.amdhsa_user_sgpr_kernarg_segment_ptr 1
		.amdhsa_user_sgpr_dispatch_id 0
		.amdhsa_user_sgpr_kernarg_preload_length 0
		.amdhsa_user_sgpr_kernarg_preload_offset 0
		.amdhsa_user_sgpr_private_segment_size 0
		.amdhsa_uses_dynamic_stack 0
		.amdhsa_enable_private_segment 0
		.amdhsa_system_sgpr_workgroup_id_x 1
		.amdhsa_system_sgpr_workgroup_id_y 1
		.amdhsa_system_sgpr_workgroup_id_z 0
		.amdhsa_system_sgpr_workgroup_info 0
		.amdhsa_system_vgpr_workitem_id 1
		.amdhsa_next_free_vgpr 105
		.amdhsa_next_free_sgpr 52
		.amdhsa_accum_offset 108
		.amdhsa_reserve_vcc 1
		.amdhsa_float_round_mode_32 0
		.amdhsa_float_round_mode_16_64 0
		.amdhsa_float_denorm_mode_32 3
		.amdhsa_float_denorm_mode_16_64 3
		.amdhsa_dx10_clamp 1
		.amdhsa_ieee_mode 1
		.amdhsa_fp16_overflow 0
		.amdhsa_tg_split 0
		.amdhsa_exception_fp_ieee_invalid_op 0
		.amdhsa_exception_fp_denorm_src 0
		.amdhsa_exception_fp_ieee_div_zero 0
		.amdhsa_exception_fp_ieee_overflow 0
		.amdhsa_exception_fp_ieee_underflow 0
		.amdhsa_exception_fp_ieee_inexact 0
		.amdhsa_exception_int_div_zero 0
	.end_amdhsa_kernel
	.section	.text._ZN2at6native12_GLOBAL__N_135GammaBetaBackwardCUDAKernelTemplateIN3c108BFloat16EfLj32ELj8ELj64ELb0ELb0ELb0EEEvllPKT_S7_PKT0_SA_PS5_SB_,"axG",@progbits,_ZN2at6native12_GLOBAL__N_135GammaBetaBackwardCUDAKernelTemplateIN3c108BFloat16EfLj32ELj8ELj64ELb0ELb0ELb0EEEvllPKT_S7_PKT0_SA_PS5_SB_,comdat
.Lfunc_end111:
	.size	_ZN2at6native12_GLOBAL__N_135GammaBetaBackwardCUDAKernelTemplateIN3c108BFloat16EfLj32ELj8ELj64ELb0ELb0ELb0EEEvllPKT_S7_PKT0_SA_PS5_SB_, .Lfunc_end111-_ZN2at6native12_GLOBAL__N_135GammaBetaBackwardCUDAKernelTemplateIN3c108BFloat16EfLj32ELj8ELj64ELb0ELb0ELb0EEEvllPKT_S7_PKT0_SA_PS5_SB_
                                        ; -- End function
	.set _ZN2at6native12_GLOBAL__N_135GammaBetaBackwardCUDAKernelTemplateIN3c108BFloat16EfLj32ELj8ELj64ELb0ELb0ELb0EEEvllPKT_S7_PKT0_SA_PS5_SB_.num_vgpr, 105
	.set _ZN2at6native12_GLOBAL__N_135GammaBetaBackwardCUDAKernelTemplateIN3c108BFloat16EfLj32ELj8ELj64ELb0ELb0ELb0EEEvllPKT_S7_PKT0_SA_PS5_SB_.num_agpr, 0
	.set _ZN2at6native12_GLOBAL__N_135GammaBetaBackwardCUDAKernelTemplateIN3c108BFloat16EfLj32ELj8ELj64ELb0ELb0ELb0EEEvllPKT_S7_PKT0_SA_PS5_SB_.numbered_sgpr, 52
	.set _ZN2at6native12_GLOBAL__N_135GammaBetaBackwardCUDAKernelTemplateIN3c108BFloat16EfLj32ELj8ELj64ELb0ELb0ELb0EEEvllPKT_S7_PKT0_SA_PS5_SB_.num_named_barrier, 0
	.set _ZN2at6native12_GLOBAL__N_135GammaBetaBackwardCUDAKernelTemplateIN3c108BFloat16EfLj32ELj8ELj64ELb0ELb0ELb0EEEvllPKT_S7_PKT0_SA_PS5_SB_.private_seg_size, 0
	.set _ZN2at6native12_GLOBAL__N_135GammaBetaBackwardCUDAKernelTemplateIN3c108BFloat16EfLj32ELj8ELj64ELb0ELb0ELb0EEEvllPKT_S7_PKT0_SA_PS5_SB_.uses_vcc, 1
	.set _ZN2at6native12_GLOBAL__N_135GammaBetaBackwardCUDAKernelTemplateIN3c108BFloat16EfLj32ELj8ELj64ELb0ELb0ELb0EEEvllPKT_S7_PKT0_SA_PS5_SB_.uses_flat_scratch, 0
	.set _ZN2at6native12_GLOBAL__N_135GammaBetaBackwardCUDAKernelTemplateIN3c108BFloat16EfLj32ELj8ELj64ELb0ELb0ELb0EEEvllPKT_S7_PKT0_SA_PS5_SB_.has_dyn_sized_stack, 0
	.set _ZN2at6native12_GLOBAL__N_135GammaBetaBackwardCUDAKernelTemplateIN3c108BFloat16EfLj32ELj8ELj64ELb0ELb0ELb0EEEvllPKT_S7_PKT0_SA_PS5_SB_.has_recursion, 0
	.set _ZN2at6native12_GLOBAL__N_135GammaBetaBackwardCUDAKernelTemplateIN3c108BFloat16EfLj32ELj8ELj64ELb0ELb0ELb0EEEvllPKT_S7_PKT0_SA_PS5_SB_.has_indirect_call, 0
	.section	.AMDGPU.csdata,"",@progbits
; Kernel info:
; codeLenInByte = 9900
; TotalNumSgprs: 58
; NumVgprs: 105
; NumAgprs: 0
; TotalNumVgprs: 105
; ScratchSize: 0
; MemoryBound: 0
; FloatMode: 240
; IeeeMode: 1
; LDSByteSize: 0 bytes/workgroup (compile time only)
; SGPRBlocks: 7
; VGPRBlocks: 13
; NumSGPRsForWavesPerEU: 58
; NumVGPRsForWavesPerEU: 105
; AccumOffset: 108
; Occupancy: 4
; WaveLimiterHint : 0
; COMPUTE_PGM_RSRC2:SCRATCH_EN: 0
; COMPUTE_PGM_RSRC2:USER_SGPR: 2
; COMPUTE_PGM_RSRC2:TRAP_HANDLER: 0
; COMPUTE_PGM_RSRC2:TGID_X_EN: 1
; COMPUTE_PGM_RSRC2:TGID_Y_EN: 1
; COMPUTE_PGM_RSRC2:TGID_Z_EN: 0
; COMPUTE_PGM_RSRC2:TIDIG_COMP_CNT: 1
; COMPUTE_PGM_RSRC3_GFX90A:ACCUM_OFFSET: 26
; COMPUTE_PGM_RSRC3_GFX90A:TG_SPLIT: 0
	.section	.text._ZN2at6native12_GLOBAL__N_135GammaBetaBackwardCUDAKernelTemplateIN3c108BFloat16EfLj32ELj16ELj128ELb0ELb1ELb0EEEvllPKT_S7_PKT0_SA_PS5_SB_,"axG",@progbits,_ZN2at6native12_GLOBAL__N_135GammaBetaBackwardCUDAKernelTemplateIN3c108BFloat16EfLj32ELj16ELj128ELb0ELb1ELb0EEEvllPKT_S7_PKT0_SA_PS5_SB_,comdat
	.globl	_ZN2at6native12_GLOBAL__N_135GammaBetaBackwardCUDAKernelTemplateIN3c108BFloat16EfLj32ELj16ELj128ELb0ELb1ELb0EEEvllPKT_S7_PKT0_SA_PS5_SB_ ; -- Begin function _ZN2at6native12_GLOBAL__N_135GammaBetaBackwardCUDAKernelTemplateIN3c108BFloat16EfLj32ELj16ELj128ELb0ELb1ELb0EEEvllPKT_S7_PKT0_SA_PS5_SB_
	.p2align	8
	.type	_ZN2at6native12_GLOBAL__N_135GammaBetaBackwardCUDAKernelTemplateIN3c108BFloat16EfLj32ELj16ELj128ELb0ELb1ELb0EEEvllPKT_S7_PKT0_SA_PS5_SB_,@function
_ZN2at6native12_GLOBAL__N_135GammaBetaBackwardCUDAKernelTemplateIN3c108BFloat16EfLj32ELj16ELj128ELb0ELb1ELb0EEEvllPKT_S7_PKT0_SA_PS5_SB_: ; @_ZN2at6native12_GLOBAL__N_135GammaBetaBackwardCUDAKernelTemplateIN3c108BFloat16EfLj32ELj16ELj128ELb0ELb1ELb0EEEvllPKT_S7_PKT0_SA_PS5_SB_
; %bb.0:
	s_load_dwordx4 s[16:19], s[0:1], 0x0
	s_lshl_b32 s20, s3, 7
	s_mov_b32 s21, 0
	v_mov_b64_e32 v[2:3], s[20:21]
	v_bfe_u32 v12, v0, 10, 10
	s_waitcnt lgkmcnt(0)
	v_cmp_gt_i64_e32 vcc, s[16:17], v[2:3]
	s_cbranch_vccnz .LBB112_2
; %bb.1:
	s_mov_b64 s[4:5], 0
	v_bfe_u32 v2, v0, 10, 10
	s_branch .LBB112_3
.LBB112_2:
	s_mov_b64 s[4:5], -1
                                        ; implicit-def: $vgpr2
.LBB112_3:
	s_load_dwordx4 s[12:15], s[0:1], 0x30
	v_mov_b32_e32 v1, 0
	v_and_b32_e32 v10, 0x3ff, v0
	s_andn2_b64 vcc, exec, s[4:5]
	v_mbcnt_lo_u32_b32 v11, -1, 0
	v_mov_b32_e32 v0, v1
	s_cbranch_vccnz .LBB112_11
; %bb.4:
	s_load_dword s3, s[0:1], 0x4c
	s_load_dword s22, s[0:1], 0x44
	s_load_dwordx8 s[4:11], s[0:1], 0x10
	v_lshlrev_b32_e32 v0, 3, v12
	v_mbcnt_hi_u32_b32 v4, -1, v11
	s_waitcnt lgkmcnt(0)
	s_and_b32 s0, s3, 0xffff
	v_mad_u32_u24 v1, v12, s0, v10
	v_and_b32_e32 v2, 63, v1
	v_mov_b32_e32 v1, 0
	v_mov_b32_e32 v3, v1
	v_lshl_add_u64 v[8:9], v[0:1], 0, s[20:21]
	v_cmp_gt_u32_e64 s[0:1], 8, v2
	s_lshl_b32 s22, s22, 7
	v_lshl_add_u64 v[2:3], v[8:9], 0, v[2:3]
	v_mul_lo_u32 v0, s19, v8
	v_mul_lo_u32 v21, s18, v9
	v_mad_u64_u32 v[8:9], s[26:27], s18, v8, 0
	v_lshl_add_u32 v6, s2, 5, v10
	v_mov_b32_e32 v7, v1
	v_lshlrev_b32_e32 v4, 2, v4
	s_mul_i32 s3, s19, s22
	s_mul_hi_u32 s26, s18, s22
	s_mov_b32 s23, 0
	v_and_b32_e32 v13, 0x100, v4
	v_add3_u32 v9, v9, v21, v0
	v_lshlrev_b64 v[6:7], 1, v[6:7]
	s_add_i32 s27, s26, s3
	s_mul_i32 s26, s18, s22
	v_or_b32_e32 v14, 4, v13
	v_or_b32_e32 v15, 8, v13
	;; [unrolled: 1-line block ×7, first 2 shown]
	v_lshlrev_b64 v[4:5], 2, v[2:3]
	s_lshl_b64 s[24:25], s[22:23], 2
	v_lshl_add_u64 v[6:7], v[8:9], 1, v[6:7]
	s_lshl_b64 s[26:27], s[26:27], 1
	s_lshl_b64 s[18:19], s[18:19], 1
	v_mov_b64_e32 v[8:9], s[16:17]
	v_mov_b32_e32 v0, v1
	s_branch .LBB112_7
.LBB112_5:                              ;   in Loop: Header=BB112_7 Depth=1
	s_or_b64 exec, exec, s[30:31]
.LBB112_6:                              ;   in Loop: Header=BB112_7 Depth=1
	s_or_b64 exec, exec, s[28:29]
	v_lshl_add_u64 v[24:25], s[4:5], 0, v[6:7]
	v_lshl_add_u64 v[26:27], s[6:7], 0, v[6:7]
	global_load_ushort v23, v[24:25], off
	global_load_ushort v28, v[26:27], off
	v_lshl_add_u64 v[24:25], v[24:25], 0, s[18:19]
	v_lshl_add_u64 v[26:27], v[26:27], 0, s[18:19]
	global_load_ushort v29, v[24:25], off
	global_load_ushort v30, v[26:27], off
	;; [unrolled: 4-line block ×8, first 2 shown]
	s_waitcnt vmcnt(17)
	ds_bpermute_b32 v26, v13, v21
	ds_bpermute_b32 v43, v14, v21
	s_waitcnt vmcnt(16)
	ds_bpermute_b32 v25, v13, v22
	ds_bpermute_b32 v45, v15, v21
	;; [unrolled: 1-line block ×14, first 2 shown]
	s_add_u32 s20, s20, s22
	s_addc_u32 s21, s21, 0
	v_cmp_lt_i64_e32 vcc, s[20:21], v[8:9]
	v_lshl_add_u64 v[4:5], v[4:5], 0, s[24:25]
	v_lshl_add_u64 v[2:3], v[2:3], 0, s[22:23]
	;; [unrolled: 1-line block ×3, first 2 shown]
	s_and_b64 vcc, exec, vcc
	s_waitcnt vmcnt(15)
	v_lshlrev_b32_e32 v22, 16, v23
	s_waitcnt vmcnt(14)
	v_lshlrev_b32_e32 v23, 16, v28
	s_waitcnt lgkmcnt(14)
	v_sub_f32_e32 v23, v23, v26
	v_mul_f32_e32 v23, v23, v22
	s_waitcnt vmcnt(13)
	v_lshlrev_b32_e32 v24, 16, v29
	s_waitcnt vmcnt(12)
	v_lshlrev_b32_e32 v28, 16, v30
	v_sub_f32_e32 v30, v28, v43
	s_waitcnt lgkmcnt(13)
	v_mul_f32_e32 v23, v23, v25
	s_waitcnt vmcnt(11)
	v_lshlrev_b32_e32 v26, 16, v31
	s_waitcnt vmcnt(10)
	v_lshlrev_b32_e32 v29, 16, v32
	v_mul_f32_e32 v25, v30, v24
	s_waitcnt lgkmcnt(12)
	v_sub_f32_e32 v29, v29, v45
	s_waitcnt vmcnt(9)
	v_lshlrev_b32_e32 v28, 16, v33
	s_waitcnt vmcnt(8)
	v_lshlrev_b32_e32 v31, 16, v34
	s_waitcnt lgkmcnt(11)
	v_mul_f32_e32 v25, v25, v27
	v_mul_f32_e32 v27, v29, v26
	s_waitcnt lgkmcnt(10)
	v_sub_f32_e32 v29, v31, v47
	s_waitcnt vmcnt(6)
	v_lshlrev_b32_e32 v32, 16, v36
	v_pk_add_f32 v[0:1], v[0:1], v[22:23]
	v_lshlrev_b32_e32 v30, 16, v35
	s_waitcnt lgkmcnt(9)
	v_mul_f32_e32 v27, v27, v44
	s_waitcnt vmcnt(4)
	v_lshlrev_b32_e32 v23, 16, v38
	v_mul_f32_e32 v29, v29, v28
	s_waitcnt lgkmcnt(6)
	v_sub_f32_e32 v31, v32, v49
	v_pk_add_f32 v[0:1], v[0:1], v[24:25]
	v_lshlrev_b32_e32 v22, 16, v37
	s_waitcnt vmcnt(2)
	v_lshlrev_b32_e32 v25, 16, v40
	v_mul_f32_e32 v29, v29, v46
	v_mul_f32_e32 v31, v31, v30
	s_waitcnt lgkmcnt(2)
	v_sub_f32_e32 v23, v23, v51
	v_pk_add_f32 v[0:1], v[0:1], v[26:27]
	v_lshlrev_b32_e32 v24, 16, v39
	s_waitcnt vmcnt(0)
	v_lshlrev_b32_e32 v27, 16, v42
	v_mul_f32_e32 v31, v31, v48
	v_mul_f32_e32 v23, v23, v22
	s_waitcnt lgkmcnt(1)
	v_sub_f32_e32 v25, v25, v53
	v_pk_add_f32 v[0:1], v[0:1], v[28:29]
	v_lshlrev_b32_e32 v26, 16, v41
	v_mul_f32_e32 v23, v23, v50
	v_mul_f32_e32 v25, v25, v24
	v_pk_add_f32 v[0:1], v[0:1], v[30:31]
	s_waitcnt lgkmcnt(0)
	v_sub_f32_e32 v21, v27, v21
	v_mul_f32_e32 v25, v25, v52
	v_pk_add_f32 v[0:1], v[0:1], v[22:23]
	v_mul_f32_e32 v21, v21, v26
	v_pk_add_f32 v[0:1], v[0:1], v[24:25]
	;; [unrolled: 2-line block ×3, first 2 shown]
	s_cbranch_vccz .LBB112_10
.LBB112_7:                              ; =>This Inner Loop Header: Depth=1
	v_mov_b32_e32 v22, 0
	v_mov_b32_e32 v21, 0
	s_and_saveexec_b64 s[28:29], s[0:1]
	s_cbranch_execz .LBB112_6
; %bb.8:                                ;   in Loop: Header=BB112_7 Depth=1
	v_cmp_gt_i64_e32 vcc, s[16:17], v[2:3]
	v_mov_b32_e32 v21, 0
	v_mov_b32_e32 v22, 0
	s_and_saveexec_b64 s[30:31], vcc
	s_cbranch_execz .LBB112_5
; %bb.9:                                ;   in Loop: Header=BB112_7 Depth=1
	v_lshl_add_u64 v[26:27], s[8:9], 0, v[4:5]
	v_lshl_add_u64 v[24:25], s[10:11], 0, v[4:5]
	global_load_dword v21, v[26:27], off
	global_load_dword v22, v[24:25], off
	s_branch .LBB112_5
.LBB112_10:
	v_mov_b32_e32 v2, v12
.LBB112_11:
	v_mad_u32_u24 v3, v2, 33, v10
	v_sub_u32_e32 v7, v3, v2
	s_movk_i32 s0, 0x800
	v_lshl_add_u32 v4, v3, 2, 0
	v_cmp_gt_u32_e32 vcc, s0, v7
	ds_write_b32 v4, v1
	ds_write_b32 v4, v0 offset:2112
	s_waitcnt lgkmcnt(0)
	s_barrier
	s_and_saveexec_b64 s[0:1], vcc
	s_cbranch_execz .LBB112_43
; %bb.12:
	v_and_b32_e32 v1, 63, v7
	v_lshrrev_b32_e32 v0, 6, v7
	v_cmp_lt_u32_e64 s[4:5], 15, v1
	v_cmp_gt_u32_e64 s[0:1], 16, v1
	v_mul_u32_u24_e32 v6, 33, v1
                                        ; implicit-def: $vgpr2
	s_and_saveexec_b64 s[6:7], s[0:1]
	s_cbranch_execz .LBB112_14
; %bb.13:
	v_add_u32_e32 v1, v0, v6
	v_lshl_add_u32 v1, v1, 2, 0
	ds_read_b32 v3, v1
	ds_read_b32 v2, v1 offset:2112
.LBB112_14:
	s_or_b64 exec, exec, s[6:7]
	v_mbcnt_hi_u32_b32 v1, -1, v11
	v_and_b32_e32 v4, 64, v1
	v_add_u32_e32 v12, 64, v4
	v_xor_b32_e32 v4, 8, v1
	v_cmp_lt_i32_e32 vcc, v4, v12
	v_xor_b32_e32 v9, 4, v1
	v_xor_b32_e32 v11, 2, v1
	v_cndmask_b32_e32 v4, v1, v4, vcc
	v_lshlrev_b32_e32 v8, 2, v4
	s_waitcnt lgkmcnt(1)
	ds_bpermute_b32 v5, v8, v3
	s_waitcnt lgkmcnt(1)
	ds_bpermute_b32 v4, v8, v2
	v_cmp_lt_i32_e32 vcc, v9, v12
	s_mov_b32 s3, 0
	s_lshl_b64 s[8:9], s[2:3], 5
	v_cndmask_b32_e32 v9, v1, v9, vcc
	v_lshlrev_b32_e32 v9, 2, v9
	s_waitcnt lgkmcnt(0)
	v_pk_add_f32 v[2:3], v[2:3], v[4:5]
	ds_bpermute_b32 v5, v9, v3
	ds_bpermute_b32 v4, v9, v2
	v_cmp_lt_i32_e32 vcc, v11, v12
	v_cmp_eq_u32_e64 s[2:3], 0, v10
	s_cmp_lg_u64 s[12:13], 0
	v_cndmask_b32_e32 v11, v1, v11, vcc
	v_lshlrev_b32_e32 v11, 2, v11
	s_waitcnt lgkmcnt(0)
	v_pk_add_f32 v[2:3], v[2:3], v[4:5]
	ds_bpermute_b32 v5, v11, v3
	ds_bpermute_b32 v4, v11, v2
	s_cselect_b64 s[10:11], -1, 0
	s_cmp_lg_u64 s[14:15], 0
	s_cselect_b64 s[6:7], -1, 0
	s_waitcnt lgkmcnt(0)
	v_pk_add_f32 v[2:3], v[2:3], v[4:5]
	v_xor_b32_e32 v4, 1, v1
	v_cmp_lt_i32_e32 vcc, v4, v12
	s_nop 1
	v_cndmask_b32_e32 v1, v1, v4, vcc
	v_lshlrev_b32_e32 v10, 2, v1
	ds_bpermute_b32 v5, v10, v3
	ds_bpermute_b32 v4, v10, v2
	v_mov_b32_e32 v1, 0
	s_waitcnt lgkmcnt(0)
	v_pk_add_f32 v[2:3], v[2:3], v[4:5]
	s_and_saveexec_b64 s[16:17], s[2:3]
	s_cbranch_execz .LBB112_19
; %bb.15:
	v_mov_b32_e32 v5, s9
	s_andn2_b64 vcc, exec, s[10:11]
	v_or_b32_e32 v4, s8, v0
	s_cbranch_vccnz .LBB112_17
; %bb.16:
	v_bfe_u32 v12, v3, 16, 1
	s_movk_i32 s18, 0x7fff
	v_add3_u32 v12, v3, v12, s18
	v_cmp_o_f32_e32 vcc, v3, v3
	v_mov_b32_e32 v13, 0x7fc0
	s_nop 0
	v_cndmask_b32_sdwa v14, v13, v12, vcc dst_sel:DWORD dst_unused:UNUSED_PAD src0_sel:DWORD src1_sel:WORD_1
	v_lshl_add_u64 v[12:13], v[4:5], 1, s[12:13]
	global_store_short v[12:13], v14, off
.LBB112_17:
	s_andn2_b64 vcc, exec, s[6:7]
	s_cbranch_vccnz .LBB112_19
; %bb.18:
	v_bfe_u32 v12, v2, 16, 1
	s_movk_i32 s18, 0x7fff
	v_add3_u32 v12, v2, v12, s18
	v_cmp_o_f32_e32 vcc, v2, v2
	v_mov_b32_e32 v13, 0x7fc0
	v_lshl_add_u64 v[4:5], v[4:5], 1, s[14:15]
	v_cndmask_b32_sdwa v12, v13, v12, vcc dst_sel:DWORD dst_unused:UNUSED_PAD src0_sel:DWORD src1_sel:WORD_1
	global_store_short v[4:5], v12, off
.LBB112_19:
	s_or_b64 exec, exec, s[16:17]
	s_movk_i32 s16, 0x600
	v_cmp_gt_u32_e32 vcc, s16, v7
	s_and_b64 exec, exec, vcc
	s_cbranch_execz .LBB112_43
; %bb.20:
	s_and_saveexec_b64 s[16:17], s[4:5]
	s_xor_b64 s[16:17], exec, s[16:17]
	s_andn2_saveexec_b64 s[16:17], s[16:17]
	s_cbranch_execz .LBB112_22
; %bb.21:
	v_add_u32_e32 v2, v0, v6
	v_lshl_add_u32 v2, v2, 2, 0
	ds_read_b32 v3, v2 offset:32
	ds_read_b32 v2, v2 offset:2144
.LBB112_22:
	s_or_b64 exec, exec, s[16:17]
	s_waitcnt lgkmcnt(1)
	ds_bpermute_b32 v5, v8, v3
	s_waitcnt lgkmcnt(1)
	ds_bpermute_b32 v4, v8, v2
	s_waitcnt lgkmcnt(0)
	v_pk_add_f32 v[2:3], v[2:3], v[4:5]
	ds_bpermute_b32 v5, v9, v3
	ds_bpermute_b32 v4, v9, v2
	s_waitcnt lgkmcnt(0)
	v_pk_add_f32 v[2:3], v[2:3], v[4:5]
	ds_bpermute_b32 v5, v11, v3
	;; [unrolled: 4-line block ×3, first 2 shown]
	ds_bpermute_b32 v4, v10, v2
	s_waitcnt lgkmcnt(0)
	v_pk_add_f32 v[2:3], v[2:3], v[4:5]
	s_and_saveexec_b64 s[16:17], s[2:3]
	s_cbranch_execz .LBB112_27
; %bb.23:
	s_andn2_b64 vcc, exec, s[10:11]
	s_cbranch_vccnz .LBB112_25
; %bb.24:
	v_bfe_u32 v4, v3, 16, 1
	s_movk_i32 s18, 0x7fff
	v_add3_u32 v4, v3, v4, s18
	v_cmp_o_f32_e32 vcc, v3, v3
	v_mov_b32_e32 v5, 0x7fc0
	s_nop 0
	v_cndmask_b32_sdwa v12, v5, v4, vcc dst_sel:DWORD dst_unused:UNUSED_PAD src0_sel:DWORD src1_sel:WORD_1
	v_lshl_add_u64 v[4:5], s[8:9], 0, v[0:1]
	v_lshl_add_u64 v[4:5], v[4:5], 1, s[12:13]
	global_store_short v[4:5], v12, off offset:16
.LBB112_25:
	s_andn2_b64 vcc, exec, s[6:7]
	s_cbranch_vccnz .LBB112_27
; %bb.26:
	v_bfe_u32 v4, v2, 16, 1
	s_movk_i32 s18, 0x7fff
	v_add3_u32 v4, v2, v4, s18
	v_cmp_o_f32_e32 vcc, v2, v2
	v_mov_b32_e32 v5, 0x7fc0
	s_nop 0
	v_cndmask_b32_sdwa v12, v5, v4, vcc dst_sel:DWORD dst_unused:UNUSED_PAD src0_sel:DWORD src1_sel:WORD_1
	v_lshl_add_u64 v[4:5], s[8:9], 0, v[0:1]
	v_lshl_add_u64 v[4:5], v[4:5], 1, s[14:15]
	global_store_short v[4:5], v12, off offset:16
.LBB112_27:
	s_or_b64 exec, exec, s[16:17]
	s_movk_i32 s16, 0x400
	v_cmp_gt_u32_e32 vcc, s16, v7
	s_and_b64 exec, exec, vcc
	s_cbranch_execz .LBB112_43
; %bb.28:
	s_and_saveexec_b64 s[16:17], s[4:5]
	s_xor_b64 s[4:5], exec, s[16:17]
	s_andn2_saveexec_b64 s[4:5], s[4:5]
	s_cbranch_execz .LBB112_30
; %bb.29:
	v_add_u32_e32 v2, v0, v6
	v_lshl_add_u32 v2, v2, 2, 0
	ds_read_b32 v3, v2 offset:64
	ds_read_b32 v2, v2 offset:2176
.LBB112_30:
	s_or_b64 exec, exec, s[4:5]
	s_waitcnt lgkmcnt(1)
	ds_bpermute_b32 v5, v8, v3
	s_waitcnt lgkmcnt(1)
	ds_bpermute_b32 v4, v8, v2
	s_waitcnt lgkmcnt(0)
	v_pk_add_f32 v[2:3], v[2:3], v[4:5]
	ds_bpermute_b32 v5, v9, v3
	ds_bpermute_b32 v4, v9, v2
	s_waitcnt lgkmcnt(0)
	v_pk_add_f32 v[2:3], v[2:3], v[4:5]
	ds_bpermute_b32 v5, v11, v3
	;; [unrolled: 4-line block ×3, first 2 shown]
	ds_bpermute_b32 v4, v10, v2
	s_waitcnt lgkmcnt(0)
	v_pk_add_f32 v[2:3], v[2:3], v[4:5]
	s_and_saveexec_b64 s[4:5], s[2:3]
	s_cbranch_execz .LBB112_35
; %bb.31:
	s_andn2_b64 vcc, exec, s[10:11]
	s_cbranch_vccnz .LBB112_33
; %bb.32:
	v_bfe_u32 v4, v3, 16, 1
	s_movk_i32 s16, 0x7fff
	v_add3_u32 v4, v3, v4, s16
	v_cmp_o_f32_e32 vcc, v3, v3
	v_mov_b32_e32 v5, 0x7fc0
	s_nop 0
	v_cndmask_b32_sdwa v12, v5, v4, vcc dst_sel:DWORD dst_unused:UNUSED_PAD src0_sel:DWORD src1_sel:WORD_1
	v_lshl_add_u64 v[4:5], s[8:9], 0, v[0:1]
	v_lshl_add_u64 v[4:5], v[4:5], 1, s[12:13]
	global_store_short v[4:5], v12, off offset:32
.LBB112_33:
	s_andn2_b64 vcc, exec, s[6:7]
	s_cbranch_vccnz .LBB112_35
; %bb.34:
	v_bfe_u32 v4, v2, 16, 1
	s_movk_i32 s16, 0x7fff
	v_add3_u32 v4, v2, v4, s16
	v_cmp_o_f32_e32 vcc, v2, v2
	v_mov_b32_e32 v5, 0x7fc0
	s_nop 0
	v_cndmask_b32_sdwa v12, v5, v4, vcc dst_sel:DWORD dst_unused:UNUSED_PAD src0_sel:DWORD src1_sel:WORD_1
	v_lshl_add_u64 v[4:5], s[8:9], 0, v[0:1]
	v_lshl_add_u64 v[4:5], v[4:5], 1, s[14:15]
	global_store_short v[4:5], v12, off offset:32
.LBB112_35:
	s_or_b64 exec, exec, s[4:5]
	s_movk_i32 s4, 0x200
	v_cmp_gt_u32_e32 vcc, s4, v7
	s_and_b64 exec, exec, vcc
	s_cbranch_execz .LBB112_43
; %bb.36:
	s_and_saveexec_b64 s[4:5], s[0:1]
	s_cbranch_execz .LBB112_38
; %bb.37:
	v_add_u32_e32 v2, v0, v6
	v_lshl_add_u32 v2, v2, 2, 0
	ds_read_b32 v3, v2 offset:96
	ds_read_b32 v2, v2 offset:2208
.LBB112_38:
	s_or_b64 exec, exec, s[4:5]
	s_waitcnt lgkmcnt(1)
	ds_bpermute_b32 v4, v8, v3
	s_waitcnt lgkmcnt(1)
	ds_bpermute_b32 v5, v8, v2
	s_waitcnt lgkmcnt(1)
	v_add_f32_e32 v3, v3, v4
	s_waitcnt lgkmcnt(0)
	v_add_f32_e32 v2, v2, v5
	ds_bpermute_b32 v4, v9, v3
	ds_bpermute_b32 v5, v9, v2
	s_waitcnt lgkmcnt(1)
	v_add_f32_e32 v3, v3, v4
	s_waitcnt lgkmcnt(0)
	v_add_f32_e32 v2, v2, v5
	ds_bpermute_b32 v4, v11, v3
	;; [unrolled: 6-line block ×3, first 2 shown]
	ds_bpermute_b32 v3, v10, v2
	s_and_b64 exec, exec, s[2:3]
	s_cbranch_execz .LBB112_43
; %bb.39:
	s_andn2_b64 vcc, exec, s[10:11]
	v_lshl_add_u64 v[0:1], s[8:9], 0, v[0:1]
	s_cbranch_vccnz .LBB112_41
; %bb.40:
	s_waitcnt lgkmcnt(1)
	v_add_f32_e32 v4, v4, v5
	v_bfe_u32 v5, v4, 16, 1
	s_movk_i32 s0, 0x7fff
	v_add3_u32 v5, v4, v5, s0
	v_cmp_o_f32_e32 vcc, v4, v4
	v_mov_b32_e32 v4, 0x7fc0
	s_nop 0
	v_cndmask_b32_sdwa v6, v4, v5, vcc dst_sel:DWORD dst_unused:UNUSED_PAD src0_sel:DWORD src1_sel:WORD_1
	v_lshl_add_u64 v[4:5], v[0:1], 1, s[12:13]
	global_store_short v[4:5], v6, off offset:48
.LBB112_41:
	s_andn2_b64 vcc, exec, s[6:7]
	s_cbranch_vccnz .LBB112_43
; %bb.42:
	s_waitcnt lgkmcnt(0)
	v_add_f32_e32 v2, v2, v3
	v_bfe_u32 v3, v2, 16, 1
	s_movk_i32 s0, 0x7fff
	v_add3_u32 v3, v2, v3, s0
	v_cmp_o_f32_e32 vcc, v2, v2
	v_mov_b32_e32 v2, 0x7fc0
	v_lshl_add_u64 v[0:1], v[0:1], 1, s[14:15]
	v_cndmask_b32_sdwa v2, v2, v3, vcc dst_sel:DWORD dst_unused:UNUSED_PAD src0_sel:DWORD src1_sel:WORD_1
	global_store_short v[0:1], v2, off offset:48
.LBB112_43:
	s_endpgm
	.section	.rodata,"a",@progbits
	.p2align	6, 0x0
	.amdhsa_kernel _ZN2at6native12_GLOBAL__N_135GammaBetaBackwardCUDAKernelTemplateIN3c108BFloat16EfLj32ELj16ELj128ELb0ELb1ELb0EEEvllPKT_S7_PKT0_SA_PS5_SB_
		.amdhsa_group_segment_fixed_size 0
		.amdhsa_private_segment_fixed_size 0
		.amdhsa_kernarg_size 320
		.amdhsa_user_sgpr_count 2
		.amdhsa_user_sgpr_dispatch_ptr 0
		.amdhsa_user_sgpr_queue_ptr 0
		.amdhsa_user_sgpr_kernarg_segment_ptr 1
		.amdhsa_user_sgpr_dispatch_id 0
		.amdhsa_user_sgpr_kernarg_preload_length 0
		.amdhsa_user_sgpr_kernarg_preload_offset 0
		.amdhsa_user_sgpr_private_segment_size 0
		.amdhsa_uses_dynamic_stack 0
		.amdhsa_enable_private_segment 0
		.amdhsa_system_sgpr_workgroup_id_x 1
		.amdhsa_system_sgpr_workgroup_id_y 1
		.amdhsa_system_sgpr_workgroup_id_z 0
		.amdhsa_system_sgpr_workgroup_info 0
		.amdhsa_system_vgpr_workitem_id 1
		.amdhsa_next_free_vgpr 55
		.amdhsa_next_free_sgpr 32
		.amdhsa_accum_offset 56
		.amdhsa_reserve_vcc 1
		.amdhsa_float_round_mode_32 0
		.amdhsa_float_round_mode_16_64 0
		.amdhsa_float_denorm_mode_32 3
		.amdhsa_float_denorm_mode_16_64 3
		.amdhsa_dx10_clamp 1
		.amdhsa_ieee_mode 1
		.amdhsa_fp16_overflow 0
		.amdhsa_tg_split 0
		.amdhsa_exception_fp_ieee_invalid_op 0
		.amdhsa_exception_fp_denorm_src 0
		.amdhsa_exception_fp_ieee_div_zero 0
		.amdhsa_exception_fp_ieee_overflow 0
		.amdhsa_exception_fp_ieee_underflow 0
		.amdhsa_exception_fp_ieee_inexact 0
		.amdhsa_exception_int_div_zero 0
	.end_amdhsa_kernel
	.section	.text._ZN2at6native12_GLOBAL__N_135GammaBetaBackwardCUDAKernelTemplateIN3c108BFloat16EfLj32ELj16ELj128ELb0ELb1ELb0EEEvllPKT_S7_PKT0_SA_PS5_SB_,"axG",@progbits,_ZN2at6native12_GLOBAL__N_135GammaBetaBackwardCUDAKernelTemplateIN3c108BFloat16EfLj32ELj16ELj128ELb0ELb1ELb0EEEvllPKT_S7_PKT0_SA_PS5_SB_,comdat
.Lfunc_end112:
	.size	_ZN2at6native12_GLOBAL__N_135GammaBetaBackwardCUDAKernelTemplateIN3c108BFloat16EfLj32ELj16ELj128ELb0ELb1ELb0EEEvllPKT_S7_PKT0_SA_PS5_SB_, .Lfunc_end112-_ZN2at6native12_GLOBAL__N_135GammaBetaBackwardCUDAKernelTemplateIN3c108BFloat16EfLj32ELj16ELj128ELb0ELb1ELb0EEEvllPKT_S7_PKT0_SA_PS5_SB_
                                        ; -- End function
	.set _ZN2at6native12_GLOBAL__N_135GammaBetaBackwardCUDAKernelTemplateIN3c108BFloat16EfLj32ELj16ELj128ELb0ELb1ELb0EEEvllPKT_S7_PKT0_SA_PS5_SB_.num_vgpr, 55
	.set _ZN2at6native12_GLOBAL__N_135GammaBetaBackwardCUDAKernelTemplateIN3c108BFloat16EfLj32ELj16ELj128ELb0ELb1ELb0EEEvllPKT_S7_PKT0_SA_PS5_SB_.num_agpr, 0
	.set _ZN2at6native12_GLOBAL__N_135GammaBetaBackwardCUDAKernelTemplateIN3c108BFloat16EfLj32ELj16ELj128ELb0ELb1ELb0EEEvllPKT_S7_PKT0_SA_PS5_SB_.numbered_sgpr, 32
	.set _ZN2at6native12_GLOBAL__N_135GammaBetaBackwardCUDAKernelTemplateIN3c108BFloat16EfLj32ELj16ELj128ELb0ELb1ELb0EEEvllPKT_S7_PKT0_SA_PS5_SB_.num_named_barrier, 0
	.set _ZN2at6native12_GLOBAL__N_135GammaBetaBackwardCUDAKernelTemplateIN3c108BFloat16EfLj32ELj16ELj128ELb0ELb1ELb0EEEvllPKT_S7_PKT0_SA_PS5_SB_.private_seg_size, 0
	.set _ZN2at6native12_GLOBAL__N_135GammaBetaBackwardCUDAKernelTemplateIN3c108BFloat16EfLj32ELj16ELj128ELb0ELb1ELb0EEEvllPKT_S7_PKT0_SA_PS5_SB_.uses_vcc, 1
	.set _ZN2at6native12_GLOBAL__N_135GammaBetaBackwardCUDAKernelTemplateIN3c108BFloat16EfLj32ELj16ELj128ELb0ELb1ELb0EEEvllPKT_S7_PKT0_SA_PS5_SB_.uses_flat_scratch, 0
	.set _ZN2at6native12_GLOBAL__N_135GammaBetaBackwardCUDAKernelTemplateIN3c108BFloat16EfLj32ELj16ELj128ELb0ELb1ELb0EEEvllPKT_S7_PKT0_SA_PS5_SB_.has_dyn_sized_stack, 0
	.set _ZN2at6native12_GLOBAL__N_135GammaBetaBackwardCUDAKernelTemplateIN3c108BFloat16EfLj32ELj16ELj128ELb0ELb1ELb0EEEvllPKT_S7_PKT0_SA_PS5_SB_.has_recursion, 0
	.set _ZN2at6native12_GLOBAL__N_135GammaBetaBackwardCUDAKernelTemplateIN3c108BFloat16EfLj32ELj16ELj128ELb0ELb1ELb0EEEvllPKT_S7_PKT0_SA_PS5_SB_.has_indirect_call, 0
	.section	.AMDGPU.csdata,"",@progbits
; Kernel info:
; codeLenInByte = 2740
; TotalNumSgprs: 38
; NumVgprs: 55
; NumAgprs: 0
; TotalNumVgprs: 55
; ScratchSize: 0
; MemoryBound: 0
; FloatMode: 240
; IeeeMode: 1
; LDSByteSize: 0 bytes/workgroup (compile time only)
; SGPRBlocks: 4
; VGPRBlocks: 6
; NumSGPRsForWavesPerEU: 38
; NumVGPRsForWavesPerEU: 55
; AccumOffset: 56
; Occupancy: 8
; WaveLimiterHint : 0
; COMPUTE_PGM_RSRC2:SCRATCH_EN: 0
; COMPUTE_PGM_RSRC2:USER_SGPR: 2
; COMPUTE_PGM_RSRC2:TRAP_HANDLER: 0
; COMPUTE_PGM_RSRC2:TGID_X_EN: 1
; COMPUTE_PGM_RSRC2:TGID_Y_EN: 1
; COMPUTE_PGM_RSRC2:TGID_Z_EN: 0
; COMPUTE_PGM_RSRC2:TIDIG_COMP_CNT: 1
; COMPUTE_PGM_RSRC3_GFX90A:ACCUM_OFFSET: 13
; COMPUTE_PGM_RSRC3_GFX90A:TG_SPLIT: 0
	.section	.text._ZN2at6native12_GLOBAL__N_135GammaBetaBackwardCUDAKernelTemplateIN3c108BFloat16EfLj32ELj16ELj128ELb0ELb0ELb0EEEvllPKT_S7_PKT0_SA_PS5_SB_,"axG",@progbits,_ZN2at6native12_GLOBAL__N_135GammaBetaBackwardCUDAKernelTemplateIN3c108BFloat16EfLj32ELj16ELj128ELb0ELb0ELb0EEEvllPKT_S7_PKT0_SA_PS5_SB_,comdat
	.globl	_ZN2at6native12_GLOBAL__N_135GammaBetaBackwardCUDAKernelTemplateIN3c108BFloat16EfLj32ELj16ELj128ELb0ELb0ELb0EEEvllPKT_S7_PKT0_SA_PS5_SB_ ; -- Begin function _ZN2at6native12_GLOBAL__N_135GammaBetaBackwardCUDAKernelTemplateIN3c108BFloat16EfLj32ELj16ELj128ELb0ELb0ELb0EEEvllPKT_S7_PKT0_SA_PS5_SB_
	.p2align	8
	.type	_ZN2at6native12_GLOBAL__N_135GammaBetaBackwardCUDAKernelTemplateIN3c108BFloat16EfLj32ELj16ELj128ELb0ELb0ELb0EEEvllPKT_S7_PKT0_SA_PS5_SB_,@function
_ZN2at6native12_GLOBAL__N_135GammaBetaBackwardCUDAKernelTemplateIN3c108BFloat16EfLj32ELj16ELj128ELb0ELb0ELb0EEEvllPKT_S7_PKT0_SA_PS5_SB_: ; @_ZN2at6native12_GLOBAL__N_135GammaBetaBackwardCUDAKernelTemplateIN3c108BFloat16EfLj32ELj16ELj128ELb0ELb0ELb0EEEvllPKT_S7_PKT0_SA_PS5_SB_
; %bb.0:
	s_load_dwordx8 s[8:15], s[0:1], 0x0
	s_load_dwordx4 s[16:19], s[0:1], 0x20
	s_lshl_b32 s33, s2, 5
	s_mov_b32 s21, 0
	s_lshl_b32 s20, s3, 7
	s_or_b32 s4, s33, 31
	v_mov_b64_e32 v[2:3], s[20:21]
	v_mov_b32_e32 v28, s4
	v_mov_b32_e32 v29, 0
	s_waitcnt lgkmcnt(0)
	v_cmp_gt_i64_e64 s[4:5], s[8:9], v[2:3]
	v_cmp_le_i64_e32 vcc, s[10:11], v[28:29]
	s_nop 0
	v_cndmask_b32_e64 v1, 0, 1, s[4:5]
	v_cmp_ne_u32_e64 s[4:5], 1, v1
	s_cbranch_vccz .LBB113_48
; %bb.1:
	s_and_b64 vcc, exec, s[4:5]
	v_mov_b32_e32 v28, 0
	s_cbranch_vccnz .LBB113_49
; %bb.2:
	v_and_b32_e32 v1, 0x3ff, v0
	v_mov_b32_e32 v2, 0
	v_bfe_u32 v62, v0, 10, 10
	v_add_u32_e32 v4, s33, v1
	v_mov_b32_e32 v5, v2
	v_lshlrev_b32_e32 v20, 3, v62
	v_mov_b32_e32 v21, v2
	v_cmp_gt_i64_e64 s[6:7], s[10:11], v[4:5]
	v_lshlrev_b64 v[22:23], 1, v[4:5]
	v_lshl_add_u64 v[4:5], v[20:21], 0, s[20:21]
	v_mul_lo_u32 v3, s11, v4
	v_mul_lo_u32 v8, s10, v5
	v_mad_u64_u32 v[6:7], s[24:25], s10, v4, 0
	v_add3_u32 v7, v7, v8, v3
	v_lshlrev_b64 v[6:7], 1, v[6:7]
	v_lshl_add_u64 v[24:25], s[12:13], 0, v[6:7]
	v_lshl_add_u64 v[26:27], s[14:15], 0, v[6:7]
	v_lshl_add_u64 v[6:7], v[4:5], 0, 7
	v_mul_lo_u32 v9, s11, v6
	v_mul_lo_u32 v10, s10, v7
	v_mad_u64_u32 v[6:7], s[26:27], s10, v6, 0
	v_add3_u32 v7, v7, v10, v9
	v_lshlrev_b64 v[6:7], 1, v[6:7]
	v_lshl_add_u64 v[30:31], s[12:13], 0, v[6:7]
	v_lshl_add_u64 v[32:33], s[14:15], 0, v[6:7]
	;; [unrolled: 8-line block ×5, first 2 shown]
	v_lshl_add_u64 v[6:7], v[4:5], 0, 3
	v_mul_lo_u32 v9, s11, v6
	v_mul_lo_u32 v10, s10, v7
	v_mad_u64_u32 v[6:7], s[26:27], s10, v6, 0
	v_add3_u32 v7, v7, v10, v9
	s_load_dword s3, s[0:1], 0x44
	v_lshlrev_b64 v[6:7], 1, v[6:7]
	v_lshl_add_u64 v[46:47], s[12:13], 0, v[6:7]
	v_lshl_add_u64 v[48:49], s[14:15], 0, v[6:7]
	;; [unrolled: 1-line block ×3, first 2 shown]
	v_mul_lo_u32 v5, s11, v6
	v_mul_lo_u32 v9, s10, v7
	v_mad_u64_u32 v[6:7], s[26:27], s10, v6, 0
	v_add3_u32 v7, v7, v9, v5
	s_add_u32 s22, s0, 64
	v_lshlrev_b64 v[6:7], 1, v[6:7]
	s_addc_u32 s23, s1, 0
	s_waitcnt lgkmcnt(0)
	s_lshl_b32 s3, s3, 7
	v_lshl_add_u64 v[50:51], s[12:13], 0, v[6:7]
	v_lshl_add_u64 v[52:53], s[14:15], 0, v[6:7]
	v_mov_b64_e32 v[6:7], s[10:11]
	s_mul_i32 s24, s11, s3
	s_mul_hi_u32 s25, s10, s3
	v_mad_u64_u32 v[4:5], s[26:27], s10, v4, v[6:7]
	s_add_i32 s25, s25, s24
	s_mul_i32 s24, s10, s3
	v_add3_u32 v5, v3, v5, v8
	v_mbcnt_lo_u32_b32 v3, -1, 0
	s_lshl_b64 s[24:25], s[24:25], 1
	v_mbcnt_hi_u32_b32 v3, -1, v3
	v_lshlrev_b64 v[4:5], 1, v[4:5]
	s_add_u32 s26, s20, 0x7f
	s_movk_i32 s28, 0xff81
	s_movk_i32 s30, 0xff82
	;; [unrolled: 1-line block ×8, first 2 shown]
	v_lshlrev_b32_e32 v3, 2, v3
	v_lshl_add_u64 v[54:55], s[12:13], 0, v[4:5]
	v_lshl_add_u64 v[56:57], s[14:15], 0, v[4:5]
	s_addc_u32 s27, 0, 0
	s_mov_b32 s29, -1
	s_mov_b32 s31, -1
	;; [unrolled: 1-line block ×8, first 2 shown]
	v_and_b32_e32 v63, 0x100, v3
	s_mov_b64 s[46:47], s[20:21]
	v_mov_b32_e32 v28, 0
	v_mov_b32_e32 v29, v2
	s_branch .LBB113_5
.LBB113_3:                              ;   in Loop: Header=BB113_5 Depth=1
	s_or_b64 exec, exec, s[48:49]
	s_waitcnt vmcnt(1)
	ds_bpermute_b32 v3, v63, v61
	ds_bpermute_b32 v58, v63, v61 offset:4
	s_waitcnt vmcnt(0)
	ds_bpermute_b32 v59, v63, v60
	ds_bpermute_b32 v64, v63, v60 offset:4
	v_mov_b32_e32 v66, v8
	s_waitcnt lgkmcnt(3)
	v_sub_f32_e32 v3, v12, v3
	v_mul_f32_e32 v3, v4, v3
	s_waitcnt lgkmcnt(2)
	v_sub_f32_e32 v12, v13, v58
	s_waitcnt lgkmcnt(1)
	v_mul_f32_e32 v13, v3, v59
	ds_bpermute_b32 v3, v63, v61 offset:8
	v_mul_f32_e32 v12, v5, v12
	s_waitcnt lgkmcnt(1)
	v_mul_f32_e32 v59, v12, v64
	ds_bpermute_b32 v12, v63, v60 offset:8
	ds_bpermute_b32 v58, v63, v61 offset:12
	s_waitcnt lgkmcnt(2)
	v_sub_f32_e32 v3, v14, v3
	ds_bpermute_b32 v14, v63, v60 offset:12
	v_mul_f32_e32 v3, v6, v3
	s_waitcnt lgkmcnt(2)
	v_mul_f32_e32 v65, v3, v12
	s_waitcnt lgkmcnt(1)
	v_sub_f32_e32 v3, v15, v58
	ds_bpermute_b32 v12, v63, v61 offset:16
	v_mul_f32_e32 v3, v7, v3
	s_waitcnt lgkmcnt(1)
	v_mul_f32_e32 v15, v3, v14
	ds_bpermute_b32 v3, v63, v60 offset:16
	ds_bpermute_b32 v14, v63, v61 offset:20
	s_waitcnt lgkmcnt(2)
	v_sub_f32_e32 v12, v16, v12
	ds_bpermute_b32 v16, v63, v60 offset:20
	v_mul_f32_e32 v12, v8, v12
	s_waitcnt lgkmcnt(2)
	v_mul_f32_e32 v67, v12, v3
	v_mov_b32_e32 v12, v4
	s_waitcnt lgkmcnt(1)
	v_sub_f32_e32 v3, v17, v14
	v_pk_add_f32 v[12:13], v[28:29], v[12:13]
	v_mov_b32_e32 v58, v5
	v_mul_f32_e32 v3, v9, v3
	v_pk_add_f32 v[4:5], v[58:59], v[12:13]
	v_mov_b32_e32 v64, v6
	s_waitcnt lgkmcnt(0)
	v_mul_f32_e32 v17, v3, v16
	v_pk_add_f32 v[4:5], v[64:65], v[4:5]
	v_mov_b32_e32 v14, v7
	ds_bpermute_b32 v3, v63, v61 offset:24
	v_pk_add_f32 v[4:5], v[14:15], v[4:5]
	v_mov_b32_e32 v16, v9
	v_pk_add_f32 v[4:5], v[66:67], v[4:5]
	s_waitcnt lgkmcnt(0)
	v_sub_f32_e32 v8, v18, v3
	v_pk_add_f32 v[6:7], v[16:17], v[4:5]
	ds_bpermute_b32 v5, v63, v60 offset:24
	ds_bpermute_b32 v3, v63, v60 offset:28
	;; [unrolled: 1-line block ×3, first 2 shown]
	v_mul_f32_e32 v8, v10, v8
	s_waitcnt lgkmcnt(2)
	v_mul_f32_e32 v9, v8, v5
	v_mov_b32_e32 v8, v10
	v_pk_add_f32 v[60:61], v[8:9], v[6:7]
.LBB113_4:                              ;   in Loop: Header=BB113_5 Depth=1
	s_waitcnt lgkmcnt(0)
	v_sub_f32_e32 v4, v19, v4
	v_mul_f32_e32 v4, v11, v4
	v_mul_f32_e32 v5, v4, v3
	v_mov_b32_e32 v4, v11
	s_add_u32 s46, s46, s3
	v_pk_add_f32 v[28:29], v[60:61], v[4:5]
	s_addc_u32 s47, s47, 0
	v_mov_b64_e32 v[4:5], s[8:9]
	s_add_u32 s26, s26, s3
	v_cmp_lt_i64_e32 vcc, s[46:47], v[4:5]
	v_lshl_add_u64 v[24:25], v[24:25], 0, s[24:25]
	v_lshl_add_u64 v[26:27], v[26:27], 0, s[24:25]
	;; [unrolled: 1-line block ×16, first 2 shown]
	s_addc_u32 s27, s27, 0
	s_cbranch_vccz .LBB113_49
.LBB113_5:                              ; =>This Inner Loop Header: Depth=1
	v_mov_b64_e32 v[4:5], s[8:9]
	v_cmp_ge_i64_e32 vcc, s[26:27], v[4:5]
	v_lshl_add_u64 v[58:59], v[20:21], 0, s[26:27]
	s_mov_b64 s[48:49], -1
	s_and_b64 vcc, exec, vcc
                                        ; implicit-def: $vgpr4_vgpr5_vgpr6_vgpr7_vgpr8_vgpr9_vgpr10_vgpr11
                                        ; implicit-def: $vgpr60_vgpr61
                                        ; implicit-def: $vgpr3
                                        ; implicit-def: $vgpr12_vgpr13_vgpr14_vgpr15_vgpr16_vgpr17_vgpr18_vgpr19
                                        ; implicit-def: $vgpr4
	s_cbranch_vccz .LBB113_27
; %bb.6:                                ;   in Loop: Header=BB113_5 Depth=1
	s_load_dword s48, s[22:23], 0xc
	v_mov_b32_e32 v60, 0
	v_mov_b32_e32 v61, 0
	s_waitcnt lgkmcnt(0)
	s_and_b32 s48, s48, 0xffff
	v_mad_u32_u24 v3, v62, s48, v1
	v_and_b32_e32 v4, 63, v3
	v_cmp_gt_u32_e32 vcc, 8, v4
	s_and_saveexec_b64 s[48:49], vcc
	s_cbranch_execz .LBB113_10
; %bb.7:                                ;   in Loop: Header=BB113_5 Depth=1
	v_mov_b32_e32 v5, v2
	v_lshl_add_u64 v[4:5], v[58:59], 0, v[4:5]
	v_lshl_add_u64 v[4:5], v[4:5], 0, s[28:29]
	v_cmp_gt_i64_e32 vcc, s[8:9], v[4:5]
	v_mov_b32_e32 v61, 0
	v_mov_b32_e32 v60, 0
	s_and_saveexec_b64 s[50:51], vcc
	s_cbranch_execz .LBB113_9
; %bb.8:                                ;   in Loop: Header=BB113_5 Depth=1
	v_lshlrev_b64 v[4:5], 2, v[4:5]
	v_lshl_add_u64 v[6:7], s[18:19], 0, v[4:5]
	v_lshl_add_u64 v[4:5], s[16:17], 0, v[4:5]
	global_load_dword v61, v[4:5], off
	global_load_dword v60, v[6:7], off
.LBB113_9:                              ;   in Loop: Header=BB113_5 Depth=1
	s_or_b64 exec, exec, s[50:51]
.LBB113_10:                             ;   in Loop: Header=BB113_5 Depth=1
	s_or_b64 exec, exec, s[48:49]
	v_lshl_add_u64 v[4:5], v[58:59], 0, s[28:29]
	v_mov_b32_e32 v8, v2
	v_mov_b32_e32 v9, v2
	v_cmp_gt_i64_e32 vcc, s[8:9], v[4:5]
	v_mov_b32_e32 v3, v2
	v_mov_b32_e32 v4, v2
	;; [unrolled: 1-line block ×5, first 2 shown]
	v_mov_b64_e32 v[18:19], v[8:9]
	v_mov_b64_e32 v[16:17], v[6:7]
	;; [unrolled: 1-line block ×5, first 2 shown]
	s_and_b64 s[50:51], s[6:7], vcc
	v_mov_b64_e32 v[8:9], v[6:7]
	v_mov_b64_e32 v[6:7], v[4:5]
	;; [unrolled: 1-line block ×3, first 2 shown]
	s_and_saveexec_b64 s[48:49], s[50:51]
	s_cbranch_execz .LBB113_12
; %bb.11:                               ;   in Loop: Header=BB113_5 Depth=1
	v_lshl_add_u64 v[4:5], v[24:25], 0, v[22:23]
	global_load_ushort v3, v[4:5], off
	v_lshl_add_u64 v[4:5], v[26:27], 0, v[22:23]
	global_load_ushort v12, v[4:5], off
	v_mov_b32_e32 v5, v2
	v_mov_b32_e32 v6, v2
	v_mov_b32_e32 v7, v2
	v_mov_b32_e32 v8, v2
	v_mov_b32_e32 v9, v2
	v_mov_b32_e32 v10, v2
	v_mov_b32_e32 v11, v2
	v_mov_b32_e32 v13, v2
	v_mov_b32_e32 v14, v2
	v_mov_b32_e32 v15, v2
	v_mov_b32_e32 v16, v2
	v_mov_b32_e32 v17, v2
	v_mov_b32_e32 v18, v2
	v_mov_b32_e32 v19, v2
	s_waitcnt vmcnt(1)
	v_lshlrev_b32_e32 v4, 16, v3
	s_waitcnt vmcnt(0)
	v_lshlrev_b32_e32 v12, 16, v12
.LBB113_12:                             ;   in Loop: Header=BB113_5 Depth=1
	s_or_b64 exec, exec, s[48:49]
	v_lshl_add_u64 v[64:65], v[58:59], 0, s[30:31]
	v_cmp_gt_i64_e32 vcc, s[8:9], v[64:65]
	s_and_b64 s[50:51], s[6:7], vcc
	s_and_saveexec_b64 s[48:49], s[50:51]
	s_cbranch_execz .LBB113_14
; %bb.13:                               ;   in Loop: Header=BB113_5 Depth=1
	v_lshl_add_u64 v[64:65], v[54:55], 0, v[22:23]
	global_load_ushort v3, v[64:65], off
	v_lshl_add_u64 v[64:65], v[56:57], 0, v[22:23]
	global_load_ushort v13, v[64:65], off
	s_waitcnt vmcnt(1)
	v_lshlrev_b32_e32 v5, 16, v3
	s_waitcnt vmcnt(0)
	v_lshlrev_b32_e32 v13, 16, v13
.LBB113_14:                             ;   in Loop: Header=BB113_5 Depth=1
	s_or_b64 exec, exec, s[48:49]
	v_lshl_add_u64 v[64:65], v[58:59], 0, s[34:35]
	v_cmp_gt_i64_e32 vcc, s[8:9], v[64:65]
	s_and_b64 s[50:51], s[6:7], vcc
	s_and_saveexec_b64 s[48:49], s[50:51]
	s_cbranch_execz .LBB113_16
; %bb.15:                               ;   in Loop: Header=BB113_5 Depth=1
	v_lshl_add_u64 v[64:65], v[50:51], 0, v[22:23]
	global_load_ushort v3, v[64:65], off
	v_lshl_add_u64 v[64:65], v[52:53], 0, v[22:23]
	global_load_ushort v14, v[64:65], off
	s_waitcnt vmcnt(1)
	v_lshlrev_b32_e32 v6, 16, v3
	s_waitcnt vmcnt(0)
	v_lshlrev_b32_e32 v14, 16, v14
.LBB113_16:                             ;   in Loop: Header=BB113_5 Depth=1
	;; [unrolled: 16-line block ×7, first 2 shown]
	s_or_b64 exec, exec, s[48:49]
	s_waitcnt vmcnt(1)
	ds_bpermute_b32 v3, v63, v61
	ds_bpermute_b32 v64, v63, v61 offset:4
	s_waitcnt vmcnt(0)
	ds_bpermute_b32 v65, v63, v60
	ds_bpermute_b32 v66, v63, v60 offset:4
	v_mov_b32_e32 v68, v8
	s_waitcnt lgkmcnt(3)
	v_sub_f32_e32 v3, v12, v3
	v_mul_f32_e32 v3, v4, v3
	s_waitcnt lgkmcnt(2)
	v_sub_f32_e32 v12, v13, v64
	s_waitcnt lgkmcnt(1)
	v_mul_f32_e32 v13, v3, v65
	ds_bpermute_b32 v3, v63, v61 offset:8
	v_mul_f32_e32 v12, v5, v12
	s_waitcnt lgkmcnt(1)
	v_mul_f32_e32 v65, v12, v66
	ds_bpermute_b32 v12, v63, v60 offset:8
	ds_bpermute_b32 v64, v63, v61 offset:12
	s_waitcnt lgkmcnt(2)
	v_sub_f32_e32 v3, v14, v3
	ds_bpermute_b32 v14, v63, v60 offset:12
	v_mul_f32_e32 v3, v6, v3
	s_waitcnt lgkmcnt(2)
	v_mul_f32_e32 v67, v3, v12
	ds_bpermute_b32 v12, v63, v61 offset:16
	s_waitcnt lgkmcnt(2)
	v_sub_f32_e32 v3, v15, v64
	v_mul_f32_e32 v3, v7, v3
	s_waitcnt lgkmcnt(1)
	v_mul_f32_e32 v15, v3, v14
	ds_bpermute_b32 v3, v63, v60 offset:16
	ds_bpermute_b32 v14, v63, v61 offset:20
	s_waitcnt lgkmcnt(2)
	v_sub_f32_e32 v12, v16, v12
	ds_bpermute_b32 v16, v63, v60 offset:20
	v_mul_f32_e32 v12, v8, v12
	s_waitcnt lgkmcnt(2)
	v_mul_f32_e32 v69, v12, v3
	s_waitcnt lgkmcnt(1)
	v_sub_f32_e32 v3, v17, v14
	v_mov_b32_e32 v12, v4
	v_mul_f32_e32 v3, v9, v3
	v_pk_add_f32 v[12:13], v[28:29], v[12:13]
	v_mov_b32_e32 v64, v5
	s_waitcnt lgkmcnt(0)
	v_mul_f32_e32 v17, v3, v16
	v_pk_add_f32 v[4:5], v[64:65], v[12:13]
	v_mov_b32_e32 v66, v6
	ds_bpermute_b32 v3, v63, v61 offset:24
	v_pk_add_f32 v[4:5], v[66:67], v[4:5]
	v_mov_b32_e32 v14, v7
	v_pk_add_f32 v[4:5], v[14:15], v[4:5]
	v_mov_b32_e32 v16, v9
	v_pk_add_f32 v[4:5], v[68:69], v[4:5]
	s_waitcnt lgkmcnt(0)
	v_sub_f32_e32 v3, v18, v3
	v_pk_add_f32 v[6:7], v[16:17], v[4:5]
	ds_bpermute_b32 v5, v63, v60 offset:24
	v_mul_f32_e32 v8, v10, v3
	ds_bpermute_b32 v3, v63, v60 offset:28
	ds_bpermute_b32 v4, v63, v61 offset:28
	s_mov_b64 s[48:49], 0
	s_waitcnt lgkmcnt(2)
	v_mul_f32_e32 v9, v8, v5
	v_mov_b32_e32 v8, v10
	v_pk_add_f32 v[60:61], v[8:9], v[6:7]
.LBB113_27:                             ;   in Loop: Header=BB113_5 Depth=1
	s_and_b64 vcc, exec, s[48:49]
	s_cbranch_vccz .LBB113_4
; %bb.28:                               ;   in Loop: Header=BB113_5 Depth=1
	s_load_dword s48, s[22:23], 0x0
	v_mov_b32_e32 v60, 0
	v_mov_b32_e32 v61, 0
	s_waitcnt lgkmcnt(0)
	s_cmp_lt_u32 s2, s48
	s_cselect_b32 s48, 12, 18
	s_add_u32 s48, s22, s48
	s_addc_u32 s49, s23, 0
	global_load_ushort v3, v2, s[48:49]
	s_waitcnt vmcnt(0)
	v_mad_u32_u24 v3, v62, v3, v1
	v_and_b32_e32 v4, 63, v3
	v_cmp_gt_u32_e32 vcc, 8, v4
	s_and_saveexec_b64 s[48:49], vcc
	s_cbranch_execz .LBB113_32
; %bb.29:                               ;   in Loop: Header=BB113_5 Depth=1
	v_mov_b32_e32 v5, v2
	v_lshl_add_u64 v[4:5], v[58:59], 0, v[4:5]
	v_lshl_add_u64 v[4:5], v[4:5], 0, s[28:29]
	v_cmp_gt_i64_e32 vcc, s[8:9], v[4:5]
	v_mov_b32_e32 v61, 0
	v_mov_b32_e32 v60, 0
	s_and_saveexec_b64 s[50:51], vcc
	s_cbranch_execz .LBB113_31
; %bb.30:                               ;   in Loop: Header=BB113_5 Depth=1
	v_lshlrev_b64 v[4:5], 2, v[4:5]
	v_lshl_add_u64 v[6:7], s[18:19], 0, v[4:5]
	v_lshl_add_u64 v[4:5], s[16:17], 0, v[4:5]
	global_load_dword v61, v[4:5], off
	global_load_dword v60, v[6:7], off
.LBB113_31:                             ;   in Loop: Header=BB113_5 Depth=1
	s_or_b64 exec, exec, s[50:51]
.LBB113_32:                             ;   in Loop: Header=BB113_5 Depth=1
	s_or_b64 exec, exec, s[48:49]
	v_mov_b32_e32 v8, v2
	v_mov_b32_e32 v9, v2
	;; [unrolled: 1-line block ×7, first 2 shown]
	v_mov_b64_e32 v[18:19], v[8:9]
	v_mov_b64_e32 v[16:17], v[6:7]
	;; [unrolled: 1-line block ×8, first 2 shown]
	s_and_saveexec_b64 s[48:49], s[6:7]
	s_cbranch_execnz .LBB113_40
; %bb.33:                               ;   in Loop: Header=BB113_5 Depth=1
	s_or_b64 exec, exec, s[48:49]
	s_and_saveexec_b64 s[48:49], s[6:7]
	s_cbranch_execnz .LBB113_41
.LBB113_34:                             ;   in Loop: Header=BB113_5 Depth=1
	s_or_b64 exec, exec, s[48:49]
	s_and_saveexec_b64 s[48:49], s[6:7]
	s_cbranch_execnz .LBB113_42
.LBB113_35:                             ;   in Loop: Header=BB113_5 Depth=1
	s_or_b64 exec, exec, s[48:49]
	s_and_saveexec_b64 s[48:49], s[6:7]
	s_cbranch_execnz .LBB113_43
.LBB113_36:                             ;   in Loop: Header=BB113_5 Depth=1
	s_or_b64 exec, exec, s[48:49]
	s_and_saveexec_b64 s[48:49], s[6:7]
	s_cbranch_execnz .LBB113_44
.LBB113_37:                             ;   in Loop: Header=BB113_5 Depth=1
	s_or_b64 exec, exec, s[48:49]
	s_and_saveexec_b64 s[48:49], s[6:7]
	s_cbranch_execnz .LBB113_45
.LBB113_38:                             ;   in Loop: Header=BB113_5 Depth=1
	s_or_b64 exec, exec, s[48:49]
	s_and_saveexec_b64 s[48:49], s[6:7]
	s_cbranch_execnz .LBB113_46
.LBB113_39:                             ;   in Loop: Header=BB113_5 Depth=1
	s_or_b64 exec, exec, s[48:49]
	s_and_saveexec_b64 s[48:49], s[6:7]
	s_cbranch_execz .LBB113_3
	s_branch .LBB113_47
.LBB113_40:                             ;   in Loop: Header=BB113_5 Depth=1
	v_lshl_add_u64 v[4:5], v[24:25], 0, v[22:23]
	global_load_ushort v3, v[4:5], off
	v_lshl_add_u64 v[4:5], v[26:27], 0, v[22:23]
	global_load_ushort v12, v[4:5], off
	v_mov_b32_e32 v5, v2
	v_mov_b32_e32 v6, v2
	;; [unrolled: 1-line block ×14, first 2 shown]
	s_waitcnt vmcnt(1)
	v_lshlrev_b32_e32 v4, 16, v3
	s_waitcnt vmcnt(0)
	v_lshlrev_b32_e32 v12, 16, v12
	s_or_b64 exec, exec, s[48:49]
	s_and_saveexec_b64 s[48:49], s[6:7]
	s_cbranch_execz .LBB113_34
.LBB113_41:                             ;   in Loop: Header=BB113_5 Depth=1
	v_lshl_add_u64 v[58:59], v[54:55], 0, v[22:23]
	global_load_ushort v3, v[58:59], off
	v_lshl_add_u64 v[58:59], v[56:57], 0, v[22:23]
	global_load_ushort v13, v[58:59], off
	s_waitcnt vmcnt(1)
	v_lshlrev_b32_e32 v5, 16, v3
	s_waitcnt vmcnt(0)
	v_lshlrev_b32_e32 v13, 16, v13
	s_or_b64 exec, exec, s[48:49]
	s_and_saveexec_b64 s[48:49], s[6:7]
	s_cbranch_execz .LBB113_35
.LBB113_42:                             ;   in Loop: Header=BB113_5 Depth=1
	v_lshl_add_u64 v[58:59], v[50:51], 0, v[22:23]
	global_load_ushort v3, v[58:59], off
	v_lshl_add_u64 v[58:59], v[52:53], 0, v[22:23]
	global_load_ushort v14, v[58:59], off
	s_waitcnt vmcnt(1)
	v_lshlrev_b32_e32 v6, 16, v3
	s_waitcnt vmcnt(0)
	v_lshlrev_b32_e32 v14, 16, v14
	s_or_b64 exec, exec, s[48:49]
	s_and_saveexec_b64 s[48:49], s[6:7]
	s_cbranch_execz .LBB113_36
.LBB113_43:                             ;   in Loop: Header=BB113_5 Depth=1
	v_lshl_add_u64 v[58:59], v[46:47], 0, v[22:23]
	global_load_ushort v3, v[58:59], off
	v_lshl_add_u64 v[58:59], v[48:49], 0, v[22:23]
	global_load_ushort v15, v[58:59], off
	s_waitcnt vmcnt(1)
	v_lshlrev_b32_e32 v7, 16, v3
	s_waitcnt vmcnt(0)
	v_lshlrev_b32_e32 v15, 16, v15
	s_or_b64 exec, exec, s[48:49]
	s_and_saveexec_b64 s[48:49], s[6:7]
	s_cbranch_execz .LBB113_37
.LBB113_44:                             ;   in Loop: Header=BB113_5 Depth=1
	v_lshl_add_u64 v[58:59], v[42:43], 0, v[22:23]
	global_load_ushort v3, v[58:59], off
	v_lshl_add_u64 v[58:59], v[44:45], 0, v[22:23]
	global_load_ushort v16, v[58:59], off
	s_waitcnt vmcnt(1)
	v_lshlrev_b32_e32 v8, 16, v3
	s_waitcnt vmcnt(0)
	v_lshlrev_b32_e32 v16, 16, v16
	s_or_b64 exec, exec, s[48:49]
	s_and_saveexec_b64 s[48:49], s[6:7]
	s_cbranch_execz .LBB113_38
.LBB113_45:                             ;   in Loop: Header=BB113_5 Depth=1
	v_lshl_add_u64 v[58:59], v[38:39], 0, v[22:23]
	global_load_ushort v3, v[58:59], off
	v_lshl_add_u64 v[58:59], v[40:41], 0, v[22:23]
	global_load_ushort v17, v[58:59], off
	s_waitcnt vmcnt(1)
	v_lshlrev_b32_e32 v9, 16, v3
	s_waitcnt vmcnt(0)
	v_lshlrev_b32_e32 v17, 16, v17
	s_or_b64 exec, exec, s[48:49]
	s_and_saveexec_b64 s[48:49], s[6:7]
	s_cbranch_execz .LBB113_39
.LBB113_46:                             ;   in Loop: Header=BB113_5 Depth=1
	v_lshl_add_u64 v[58:59], v[34:35], 0, v[22:23]
	global_load_ushort v3, v[58:59], off
	v_lshl_add_u64 v[58:59], v[36:37], 0, v[22:23]
	global_load_ushort v18, v[58:59], off
	s_waitcnt vmcnt(1)
	v_lshlrev_b32_e32 v10, 16, v3
	s_waitcnt vmcnt(0)
	v_lshlrev_b32_e32 v18, 16, v18
	s_or_b64 exec, exec, s[48:49]
	s_and_saveexec_b64 s[48:49], s[6:7]
	s_cbranch_execz .LBB113_3
.LBB113_47:                             ;   in Loop: Header=BB113_5 Depth=1
	v_lshl_add_u64 v[58:59], v[30:31], 0, v[22:23]
	global_load_ushort v3, v[58:59], off
	v_lshl_add_u64 v[58:59], v[32:33], 0, v[22:23]
	global_load_ushort v19, v[58:59], off
	s_waitcnt vmcnt(1)
	v_lshlrev_b32_e32 v11, 16, v3
	s_waitcnt vmcnt(0)
	v_lshlrev_b32_e32 v19, 16, v19
	s_branch .LBB113_3
.LBB113_48:
                                        ; implicit-def: $vgpr29
	s_branch .LBB113_50
.LBB113_49:
	s_cbranch_execnz .LBB113_81
.LBB113_50:
	v_mov_b32_e32 v29, 0
	s_and_b64 vcc, exec, s[4:5]
	v_mov_b32_e32 v28, v29
	s_cbranch_vccnz .LBB113_81
; %bb.51:
	v_mov_b32_e32 v2, 0
	v_bfe_u32 v90, v0, 10, 10
	v_lshlrev_b32_e32 v6, 4, v90
	v_mov_b32_e32 v7, v2
	v_lshl_add_u64 v[6:7], s[20:21], 1, v[6:7]
	v_lshl_add_u64 v[8:9], v[6:7], 0, 2
	v_mov_b64_e32 v[10:11], s[12:13]
	v_lshl_add_u64 v[12:13], v[6:7], 0, 4
	v_lshl_add_u64 v[14:15], v[6:7], 0, 6
	;; [unrolled: 1-line block ×6, first 2 shown]
	v_mad_u64_u32 v[22:23], s[4:5], s10, v8, v[10:11]
	v_mad_u64_u32 v[24:25], s[4:5], s10, v12, v[10:11]
	;; [unrolled: 1-line block ×7, first 2 shown]
	v_mov_b64_e32 v[10:11], s[14:15]
	v_mul_lo_u32 v9, s10, v9
	v_mul_lo_u32 v40, s11, v8
	v_mad_u64_u32 v[38:39], s[4:5], s10, v8, v[10:11]
	v_add3_u32 v23, v40, v23, v9
	v_mul_lo_u32 v13, s10, v13
	v_mul_lo_u32 v42, s11, v12
	v_add3_u32 v39, v40, v39, v9
	v_mad_u64_u32 v[40:41], s[4:5], s10, v12, v[10:11]
	v_add3_u32 v25, v42, v25, v13
	v_mul_lo_u32 v15, s10, v15
	v_mul_lo_u32 v44, s11, v14
	v_add3_u32 v41, v42, v41, v13
	;; [unrolled: 5-line block ×4, first 2 shown]
	v_mad_u64_u32 v[46:47], s[4:5], s10, v18, v[10:11]
	v_lshlrev_b32_e32 v20, 3, v90
	v_mov_b32_e32 v21, v2
	v_add3_u32 v33, v48, v33, v19
	v_mul_lo_u32 v29, s10, v29
	v_mul_lo_u32 v50, s11, v28
	v_add3_u32 v47, v48, v47, v19
	v_mad_u64_u32 v[48:49], s[4:5], s10, v28, v[10:11]
	v_lshl_add_u64 v[4:5], v[20:21], 0, s[20:21]
	v_add3_u32 v35, v50, v35, v29
	v_mul_lo_u32 v7, s10, v7
	v_mul_lo_u32 v8, s11, v6
	v_add3_u32 v49, v50, v49, v29
	v_mad_u64_u32 v[50:51], s[4:5], s10, v6, v[10:11]
	v_add3_u32 v37, v8, v37, v7
	v_add3_u32 v51, v8, v51, v7
	v_lshl_add_u64 v[6:7], v[4:5], 0, 7
	v_mul_lo_u32 v8, s11, v6
	v_mul_lo_u32 v9, s10, v7
	v_mad_u64_u32 v[6:7], s[4:5], s10, v6, 0
	v_add3_u32 v7, v7, v9, v8
	v_lshl_add_u64 v[8:9], v[4:5], 0, 6
	v_mul_lo_u32 v10, s11, v8
	v_mul_lo_u32 v11, s10, v9
	v_mad_u64_u32 v[8:9], s[4:5], s10, v8, 0
	;; [unrolled: 5-line block ×5, first 2 shown]
	v_add3_u32 v15, v15, v17, v16
	v_lshl_add_u64 v[16:17], v[4:5], 0, 2
	v_mul_lo_u32 v52, s10, v5
	v_mul_lo_u32 v5, s11, v16
	;; [unrolled: 1-line block ×3, first 2 shown]
	v_mad_u64_u32 v[16:17], s[4:5], s10, v16, 0
	v_add3_u32 v17, v17, v18, v5
	v_mov_b64_e32 v[18:19], s[10:11]
	v_mul_lo_u32 v3, s11, v4
	v_mad_u64_u32 v[18:19], s[4:5], s10, v4, v[18:19]
	v_mad_u64_u32 v[4:5], s[4:5], s10, v4, 0
	s_load_dword s3, s[0:1], 0x44
	v_add3_u32 v5, v5, v52, v3
	v_lshlrev_b64 v[4:5], 1, v[4:5]
	v_lshl_add_u64 v[54:55], s[12:13], 0, v[4:5]
	v_lshl_add_u64 v[56:57], s[14:15], 0, v[4:5]
	v_lshlrev_b64 v[4:5], 1, v[6:7]
	v_lshl_add_u64 v[58:59], s[12:13], 0, v[4:5]
	v_lshl_add_u64 v[60:61], s[14:15], 0, v[4:5]
	v_lshlrev_b64 v[4:5], 1, v[8:9]
	s_add_u32 s4, s0, 64
	v_lshl_add_u64 v[62:63], s[12:13], 0, v[4:5]
	v_lshl_add_u64 v[64:65], s[14:15], 0, v[4:5]
	v_lshlrev_b64 v[4:5], 1, v[10:11]
	s_addc_u32 s5, s1, 0
	s_waitcnt lgkmcnt(0)
	s_lshl_b32 s3, s3, 7
	v_lshl_add_u64 v[66:67], s[12:13], 0, v[4:5]
	v_lshl_add_u64 v[68:69], s[14:15], 0, v[4:5]
	v_lshlrev_b64 v[4:5], 1, v[12:13]
	s_mul_i32 s6, s11, s3
	s_mul_hi_u32 s7, s10, s3
	v_lshl_add_u64 v[70:71], s[12:13], 0, v[4:5]
	v_lshl_add_u64 v[72:73], s[14:15], 0, v[4:5]
	v_lshlrev_b64 v[4:5], 1, v[14:15]
	v_add3_u32 v19, v3, v19, v52
	s_add_i32 s7, s7, s6
	s_mul_i32 s6, s10, s3
	v_lshl_add_u64 v[74:75], s[12:13], 0, v[4:5]
	v_lshl_add_u64 v[76:77], s[14:15], 0, v[4:5]
	v_lshlrev_b64 v[4:5], 1, v[16:17]
	v_mbcnt_lo_u32_b32 v3, -1, 0
	v_and_b32_e32 v1, 0x3ff, v0
	s_lshl_b64 s[6:7], s[6:7], 1
	v_lshl_add_u64 v[78:79], s[12:13], 0, v[4:5]
	v_lshl_add_u64 v[80:81], s[14:15], 0, v[4:5]
	v_lshlrev_b64 v[4:5], 1, v[18:19]
	v_mbcnt_hi_u32_b32 v3, -1, v3
	v_add_u32_e32 v28, s33, v1
	v_mov_b32_e32 v29, v2
	s_add_u32 s22, s20, 0x7f
	v_lshl_add_u64 v[82:83], s[12:13], 0, v[4:5]
	v_lshl_add_u64 v[84:85], s[14:15], 0, v[4:5]
	s_movk_i32 s12, 0xff81
	s_movk_i32 s14, 0xff82
	;; [unrolled: 1-line block ×8, first 2 shown]
	v_lshlrev_b32_e32 v3, 2, v3
	v_lshlrev_b64 v[52:53], 1, v[28:29]
	s_addc_u32 s23, 0, 0
	s_mov_b32 s13, -1
	s_mov_b32 s15, -1
	;; [unrolled: 1-line block ×8, first 2 shown]
	v_and_b32_e32 v91, 0x100, v3
	v_mov_b32_e32 v28, 0
	s_branch .LBB113_55
.LBB113_52:                             ;   in Loop: Header=BB113_55 Depth=1
	s_or_b64 exec, exec, s[40:41]
.LBB113_53:                             ;   in Loop: Header=BB113_55 Depth=1
	s_or_b64 exec, exec, s[38:39]
	v_lshl_add_u64 v[4:5], v[54:55], 0, v[52:53]
	global_load_ushort v7, v[4:5], off
	v_lshl_add_u64 v[4:5], v[56:57], 0, v[52:53]
	global_load_ushort v8, v[4:5], off
	;; [unrolled: 2-line block ×16, first 2 shown]
	s_waitcnt vmcnt(17)
	ds_bpermute_b32 v89, v91, v6
	ds_bpermute_b32 v93, v91, v6 offset:4
	s_waitcnt vmcnt(16)
	ds_bpermute_b32 v88, v91, v3
	ds_bpermute_b32 v95, v91, v6 offset:8
	ds_bpermute_b32 v92, v91, v3 offset:4
	;; [unrolled: 1-line block ×13, first 2 shown]
	s_waitcnt vmcnt(15)
	v_lshlrev_b32_e32 v4, 16, v7
	s_waitcnt vmcnt(14)
	v_lshlrev_b32_e32 v7, 16, v8
	;; [unrolled: 2-line block ×16, first 2 shown]
	s_waitcnt lgkmcnt(14)
	v_sub_f32_e32 v5, v7, v89
	v_sub_f32_e32 v7, v9, v93
	v_mul_f32_e32 v5, v5, v4
	s_waitcnt lgkmcnt(12)
	v_sub_f32_e32 v9, v11, v95
	v_mul_f32_e32 v7, v7, v6
	v_mul_f32_e32 v5, v5, v88
	s_waitcnt lgkmcnt(10)
	v_sub_f32_e32 v11, v13, v97
	v_mul_f32_e32 v9, v9, v8
	v_mul_f32_e32 v7, v7, v92
	v_pk_add_f32 v[4:5], v[86:87], v[4:5]
	s_waitcnt lgkmcnt(8)
	v_sub_f32_e32 v13, v15, v99
	v_mul_f32_e32 v11, v11, v10
	v_mul_f32_e32 v9, v9, v94
	v_pk_add_f32 v[4:5], v[4:5], v[6:7]
	;; [unrolled: 5-line block ×3, first 2 shown]
	s_waitcnt lgkmcnt(5)
	v_sub_f32_e32 v17, v19, v103
	v_mul_f32_e32 v15, v15, v14
	s_waitcnt lgkmcnt(3)
	v_mul_f32_e32 v13, v13, v98
	v_pk_add_f32 v[4:5], v[4:5], v[10:11]
	v_mul_f32_e32 v17, v17, v16
	s_waitcnt lgkmcnt(2)
	v_mul_f32_e32 v15, v15, v100
	v_pk_add_f32 v[4:5], v[4:5], v[12:13]
	v_sub_f32_e32 v6, v28, v104
	s_waitcnt lgkmcnt(1)
	v_mul_f32_e32 v17, v17, v102
	v_pk_add_f32 v[4:5], v[4:5], v[14:15]
	v_mul_f32_e32 v6, v6, v18
	v_pk_add_f32 v[4:5], v[4:5], v[16:17]
	s_waitcnt lgkmcnt(0)
	v_mul_f32_e32 v19, v6, v3
	v_pk_add_f32 v[28:29], v[4:5], v[18:19]
.LBB113_54:                             ;   in Loop: Header=BB113_55 Depth=1
	s_add_u32 s20, s20, s3
	s_addc_u32 s21, s21, 0
	v_mov_b64_e32 v[4:5], s[8:9]
	s_add_u32 s22, s22, s3
	v_cmp_ge_i64_e32 vcc, s[20:21], v[4:5]
	v_lshl_add_u64 v[54:55], v[54:55], 0, s[6:7]
	v_lshl_add_u64 v[56:57], v[56:57], 0, s[6:7]
	s_addc_u32 s23, s23, 0
	v_lshl_add_u64 v[22:23], v[22:23], 0, s[6:7]
	v_lshl_add_u64 v[24:25], v[24:25], 0, s[6:7]
	;; [unrolled: 1-line block ×28, first 2 shown]
	s_cbranch_vccnz .LBB113_81
.LBB113_55:                             ; =>This Inner Loop Header: Depth=1
	v_mov_b64_e32 v[4:5], s[8:9]
	v_cmp_ge_i64_e32 vcc, s[22:23], v[4:5]
	v_mov_b32_e32 v86, v28
	v_mov_b32_e32 v87, v29
	v_lshl_add_u64 v[88:89], v[20:21], 0, s[22:23]
	s_mov_b64 s[38:39], -1
                                        ; implicit-def: $vgpr29
	s_cbranch_vccz .LBB113_77
; %bb.56:                               ;   in Loop: Header=BB113_55 Depth=1
	s_load_dword s33, s[4:5], 0xc
	v_mov_b32_e32 v28, 0
	v_mov_b32_e32 v29, 0
	s_waitcnt lgkmcnt(0)
	s_and_b32 s33, s33, 0xffff
	v_mad_u32_u24 v3, v90, s33, v1
	v_and_b32_e32 v4, 63, v3
	v_cmp_gt_u32_e32 vcc, 8, v4
	s_and_saveexec_b64 s[38:39], vcc
	s_cbranch_execz .LBB113_60
; %bb.57:                               ;   in Loop: Header=BB113_55 Depth=1
	v_mov_b32_e32 v5, v2
	v_lshl_add_u64 v[4:5], v[88:89], 0, v[4:5]
	v_lshl_add_u64 v[4:5], v[4:5], 0, s[12:13]
	v_cmp_gt_i64_e32 vcc, s[8:9], v[4:5]
	v_mov_b32_e32 v29, 0
	v_mov_b32_e32 v28, 0
	s_and_saveexec_b64 s[40:41], vcc
	s_cbranch_execz .LBB113_59
; %bb.58:                               ;   in Loop: Header=BB113_55 Depth=1
	v_lshlrev_b64 v[4:5], 2, v[4:5]
	v_lshl_add_u64 v[6:7], s[18:19], 0, v[4:5]
	v_lshl_add_u64 v[4:5], s[16:17], 0, v[4:5]
	global_load_dword v29, v[4:5], off
	global_load_dword v28, v[6:7], off
.LBB113_59:                             ;   in Loop: Header=BB113_55 Depth=1
	s_or_b64 exec, exec, s[40:41]
.LBB113_60:                             ;   in Loop: Header=BB113_55 Depth=1
	s_or_b64 exec, exec, s[38:39]
	v_lshl_add_u64 v[4:5], v[88:89], 0, s[12:13]
	v_mov_b32_e32 v8, v2
	v_mov_b32_e32 v9, v2
	v_cmp_gt_i64_e32 vcc, s[8:9], v[4:5]
	v_mov_b32_e32 v3, v2
	v_mov_b32_e32 v4, v2
	;; [unrolled: 1-line block ×5, first 2 shown]
	v_mov_b64_e32 v[18:19], v[8:9]
	v_mov_b64_e32 v[16:17], v[6:7]
	;; [unrolled: 1-line block ×8, first 2 shown]
	s_and_saveexec_b64 s[38:39], vcc
	s_cbranch_execz .LBB113_62
; %bb.61:                               ;   in Loop: Header=BB113_55 Depth=1
	v_lshl_add_u64 v[4:5], v[54:55], 0, v[52:53]
	global_load_ushort v3, v[4:5], off
	v_lshl_add_u64 v[4:5], v[56:57], 0, v[52:53]
	global_load_ushort v12, v[4:5], off
	v_mov_b32_e32 v5, v2
	v_mov_b32_e32 v6, v2
	;; [unrolled: 1-line block ×14, first 2 shown]
	s_waitcnt vmcnt(1)
	v_lshlrev_b32_e32 v4, 16, v3
	s_waitcnt vmcnt(0)
	v_lshlrev_b32_e32 v12, 16, v12
.LBB113_62:                             ;   in Loop: Header=BB113_55 Depth=1
	s_or_b64 exec, exec, s[38:39]
	v_lshl_add_u64 v[92:93], v[88:89], 0, s[14:15]
	v_cmp_gt_i64_e32 vcc, s[8:9], v[92:93]
	s_and_saveexec_b64 s[38:39], vcc
	s_cbranch_execz .LBB113_64
; %bb.63:                               ;   in Loop: Header=BB113_55 Depth=1
	v_lshl_add_u64 v[92:93], v[82:83], 0, v[52:53]
	global_load_ushort v3, v[92:93], off
	v_lshl_add_u64 v[92:93], v[84:85], 0, v[52:53]
	global_load_ushort v13, v[92:93], off
	s_waitcnt vmcnt(1)
	v_lshlrev_b32_e32 v5, 16, v3
	s_waitcnt vmcnt(0)
	v_lshlrev_b32_e32 v13, 16, v13
.LBB113_64:                             ;   in Loop: Header=BB113_55 Depth=1
	s_or_b64 exec, exec, s[38:39]
	v_lshl_add_u64 v[92:93], v[88:89], 0, s[24:25]
	v_cmp_gt_i64_e32 vcc, s[8:9], v[92:93]
	s_and_saveexec_b64 s[38:39], vcc
	s_cbranch_execz .LBB113_66
; %bb.65:                               ;   in Loop: Header=BB113_55 Depth=1
	v_lshl_add_u64 v[92:93], v[78:79], 0, v[52:53]
	global_load_ushort v3, v[92:93], off
	v_lshl_add_u64 v[92:93], v[80:81], 0, v[52:53]
	global_load_ushort v14, v[92:93], off
	s_waitcnt vmcnt(1)
	v_lshlrev_b32_e32 v6, 16, v3
	s_waitcnt vmcnt(0)
	v_lshlrev_b32_e32 v14, 16, v14
.LBB113_66:                             ;   in Loop: Header=BB113_55 Depth=1
	;; [unrolled: 15-line block ×7, first 2 shown]
	s_or_b64 exec, exec, s[38:39]
	s_waitcnt vmcnt(1)
	ds_bpermute_b32 v3, v91, v29
	s_waitcnt vmcnt(0)
	ds_bpermute_b32 v92, v91, v28
	ds_bpermute_b32 v95, v91, v29 offset:4
	ds_bpermute_b32 v94, v91, v28 offset:4
	;; [unrolled: 1-line block ×3, first 2 shown]
	s_waitcnt lgkmcnt(4)
	v_sub_f32_e32 v3, v12, v3
	v_mul_f32_e32 v3, v4, v3
	ds_bpermute_b32 v12, v91, v28 offset:8
	s_waitcnt lgkmcnt(4)
	v_mul_f32_e32 v93, v3, v92
	s_waitcnt lgkmcnt(3)
	v_sub_f32_e32 v3, v13, v95
	v_mul_f32_e32 v3, v5, v3
	s_waitcnt lgkmcnt(2)
	v_mul_f32_e32 v13, v3, v94
	s_waitcnt lgkmcnt(1)
	v_sub_f32_e32 v3, v14, v96
	ds_bpermute_b32 v14, v91, v29 offset:12
	v_mul_f32_e32 v3, v6, v3
	s_waitcnt lgkmcnt(1)
	v_mul_f32_e32 v95, v3, v12
	ds_bpermute_b32 v3, v91, v28 offset:12
	ds_bpermute_b32 v12, v91, v29 offset:16
	;; [unrolled: 1-line block ×3, first 2 shown]
	s_waitcnt lgkmcnt(3)
	v_sub_f32_e32 v14, v15, v14
	v_mul_f32_e32 v14, v7, v14
	s_waitcnt lgkmcnt(2)
	v_mul_f32_e32 v15, v14, v3
	s_waitcnt lgkmcnt(1)
	v_sub_f32_e32 v3, v16, v12
	ds_bpermute_b32 v12, v91, v29 offset:20
	v_mul_f32_e32 v3, v8, v3
	s_waitcnt lgkmcnt(1)
	v_mul_f32_e32 v97, v3, v92
	ds_bpermute_b32 v3, v91, v28 offset:20
	ds_bpermute_b32 v14, v91, v29 offset:24
	;; [unrolled: 1-line block ×3, first 2 shown]
	s_waitcnt lgkmcnt(3)
	v_sub_f32_e32 v12, v17, v12
	v_mul_f32_e32 v12, v9, v12
	s_waitcnt lgkmcnt(2)
	v_mul_f32_e32 v17, v12, v3
	s_waitcnt lgkmcnt(1)
	v_sub_f32_e32 v3, v18, v14
	v_mul_f32_e32 v3, v10, v3
	s_waitcnt lgkmcnt(0)
	v_mul_f32_e32 v99, v3, v16
	v_mov_b32_e32 v92, v4
	ds_bpermute_b32 v3, v91, v29 offset:28
	v_pk_add_f32 v[92:93], v[86:87], v[92:93]
	v_mov_b32_e32 v12, v5
	v_pk_add_f32 v[4:5], v[12:13], v[92:93]
	v_mov_b32_e32 v94, v6
	ds_bpermute_b32 v6, v91, v28 offset:28
	v_pk_add_f32 v[4:5], v[94:95], v[4:5]
	v_mov_b32_e32 v14, v7
	v_pk_add_f32 v[4:5], v[14:15], v[4:5]
	v_mov_b32_e32 v96, v8
	;; [unrolled: 2-line block ×3, first 2 shown]
	s_waitcnt lgkmcnt(1)
	v_sub_f32_e32 v3, v19, v3
	v_pk_add_f32 v[4:5], v[16:17], v[4:5]
	v_mov_b32_e32 v98, v10
	v_mul_f32_e32 v3, v11, v3
	v_pk_add_f32 v[4:5], v[98:99], v[4:5]
	s_waitcnt lgkmcnt(0)
	v_mul_f32_e32 v7, v3, v6
	v_mov_b32_e32 v6, v11
	v_pk_add_f32 v[28:29], v[6:7], v[4:5]
	s_mov_b64 s[38:39], 0
.LBB113_77:                             ;   in Loop: Header=BB113_55 Depth=1
	s_and_b64 vcc, exec, s[38:39]
	s_cbranch_vccz .LBB113_54
; %bb.78:                               ;   in Loop: Header=BB113_55 Depth=1
	s_load_dword s33, s[4:5], 0x0
	v_mov_b32_e32 v3, 0
	v_mov_b32_e32 v6, 0
	s_waitcnt lgkmcnt(0)
	s_cmp_lt_u32 s2, s33
	s_cselect_b32 s33, 12, 18
	s_add_u32 s38, s4, s33
	s_addc_u32 s39, s5, 0
	global_load_ushort v4, v2, s[38:39]
	s_waitcnt vmcnt(0)
	v_mad_u32_u24 v4, v90, v4, v1
	v_and_b32_e32 v4, 63, v4
	v_cmp_gt_u32_e32 vcc, 8, v4
	s_and_saveexec_b64 s[38:39], vcc
	s_cbranch_execz .LBB113_53
; %bb.79:                               ;   in Loop: Header=BB113_55 Depth=1
	v_mov_b32_e32 v5, v2
	v_lshl_add_u64 v[4:5], v[88:89], 0, v[4:5]
	v_lshl_add_u64 v[4:5], v[4:5], 0, s[12:13]
	v_cmp_gt_i64_e32 vcc, s[8:9], v[4:5]
	v_mov_b32_e32 v6, 0
	v_mov_b32_e32 v3, 0
	s_and_saveexec_b64 s[40:41], vcc
	s_cbranch_execz .LBB113_52
; %bb.80:                               ;   in Loop: Header=BB113_55 Depth=1
	v_lshlrev_b64 v[4:5], 2, v[4:5]
	v_lshl_add_u64 v[8:9], s[18:19], 0, v[4:5]
	v_lshl_add_u64 v[4:5], s[16:17], 0, v[4:5]
	global_load_dword v6, v[4:5], off
	global_load_dword v3, v[8:9], off
	s_branch .LBB113_52
.LBB113_81:
	v_and_b32_e32 v1, 0x3ff, v0
	v_bfe_u32 v0, v0, 10, 10
	v_mad_u32_u24 v2, v0, 33, v1
	v_sub_u32_e32 v7, v2, v0
	s_movk_i32 s3, 0x800
	v_lshl_add_u32 v3, v2, 2, 0
	v_cmp_gt_u32_e32 vcc, s3, v7
	ds_write_b32 v3, v29
	ds_write_b32 v3, v28 offset:2112
	s_waitcnt lgkmcnt(0)
	s_barrier
	s_and_saveexec_b64 s[4:5], vcc
	s_cbranch_execz .LBB113_113
; %bb.82:
	s_load_dwordx4 s[12:15], s[0:1], 0x30
	v_and_b32_e32 v2, 63, v7
	v_lshrrev_b32_e32 v0, 6, v7
	v_cmp_lt_u32_e64 s[4:5], 15, v2
	v_cmp_gt_u32_e64 s[0:1], 16, v2
	v_mul_u32_u24_e32 v6, 33, v2
                                        ; implicit-def: $vgpr2
	s_and_saveexec_b64 s[6:7], s[0:1]
	s_cbranch_execz .LBB113_84
; %bb.83:
	v_add_u32_e32 v2, v0, v6
	v_lshl_add_u32 v2, v2, 2, 0
	ds_read_b32 v3, v2
	ds_read_b32 v2, v2 offset:2112
.LBB113_84:
	s_or_b64 exec, exec, s[6:7]
	v_mbcnt_lo_u32_b32 v4, -1, 0
	v_mbcnt_hi_u32_b32 v11, -1, v4
	v_and_b32_e32 v4, 64, v11
	v_add_u32_e32 v12, 64, v4
	v_xor_b32_e32 v4, 8, v11
	v_cmp_lt_i32_e32 vcc, v4, v12
	v_xor_b32_e32 v9, 4, v11
	v_xor_b32_e32 v10, 2, v11
	v_cndmask_b32_e32 v4, v11, v4, vcc
	v_lshlrev_b32_e32 v8, 2, v4
	s_waitcnt lgkmcnt(0)
	ds_bpermute_b32 v5, v8, v3
	ds_bpermute_b32 v4, v8, v2
	v_cmp_lt_i32_e32 vcc, v9, v12
	s_mov_b32 s3, 0
	s_lshl_b64 s[8:9], s[2:3], 5
	v_cndmask_b32_e32 v9, v11, v9, vcc
	v_lshlrev_b32_e32 v9, 2, v9
	s_waitcnt lgkmcnt(0)
	v_pk_add_f32 v[2:3], v[2:3], v[4:5]
	ds_bpermute_b32 v5, v9, v3
	ds_bpermute_b32 v4, v9, v2
	v_cmp_lt_i32_e32 vcc, v10, v12
	v_cmp_eq_u32_e64 s[2:3], 0, v1
	v_xor_b32_e32 v1, 1, v11
	v_cndmask_b32_e32 v10, v11, v10, vcc
	v_lshlrev_b32_e32 v10, 2, v10
	s_waitcnt lgkmcnt(0)
	v_pk_add_f32 v[2:3], v[2:3], v[4:5]
	ds_bpermute_b32 v5, v10, v3
	ds_bpermute_b32 v4, v10, v2
	v_cmp_lt_i32_e32 vcc, v1, v12
	s_cmp_lg_u64 s[12:13], 0
	s_cselect_b64 s[16:17], -1, 0
	v_cndmask_b32_e32 v1, v11, v1, vcc
	s_waitcnt lgkmcnt(0)
	v_pk_add_f32 v[2:3], v[2:3], v[4:5]
	v_lshlrev_b32_e32 v11, 2, v1
	ds_bpermute_b32 v5, v11, v3
	ds_bpermute_b32 v4, v11, v2
	s_cmp_lg_u64 s[14:15], 0
	s_cselect_b64 s[6:7], -1, 0
	v_mov_b32_e32 v1, 0
	s_waitcnt lgkmcnt(0)
	v_pk_add_f32 v[2:3], v[2:3], v[4:5]
	v_or_b32_e32 v4, s8, v0
	v_mov_b32_e32 v5, s9
	v_cmp_gt_i64_e32 vcc, s[10:11], v[4:5]
	s_and_b64 s[20:21], s[2:3], vcc
	s_and_saveexec_b64 s[18:19], s[20:21]
	s_cbranch_execz .LBB113_89
; %bb.85:
	s_andn2_b64 vcc, exec, s[16:17]
	s_cbranch_vccnz .LBB113_87
; %bb.86:
	v_bfe_u32 v12, v3, 16, 1
	s_movk_i32 s20, 0x7fff
	v_add3_u32 v12, v3, v12, s20
	v_cmp_o_f32_e32 vcc, v3, v3
	v_mov_b32_e32 v13, 0x7fc0
	s_nop 0
	v_cndmask_b32_sdwa v14, v13, v12, vcc dst_sel:DWORD dst_unused:UNUSED_PAD src0_sel:DWORD src1_sel:WORD_1
	v_lshl_add_u64 v[12:13], v[4:5], 1, s[12:13]
	global_store_short v[12:13], v14, off
.LBB113_87:
	s_andn2_b64 vcc, exec, s[6:7]
	s_cbranch_vccnz .LBB113_89
; %bb.88:
	v_bfe_u32 v12, v2, 16, 1
	s_movk_i32 s20, 0x7fff
	v_add3_u32 v12, v2, v12, s20
	v_cmp_o_f32_e32 vcc, v2, v2
	v_mov_b32_e32 v13, 0x7fc0
	v_lshl_add_u64 v[4:5], v[4:5], 1, s[14:15]
	v_cndmask_b32_sdwa v12, v13, v12, vcc dst_sel:DWORD dst_unused:UNUSED_PAD src0_sel:DWORD src1_sel:WORD_1
	global_store_short v[4:5], v12, off
.LBB113_89:
	s_or_b64 exec, exec, s[18:19]
	s_movk_i32 s18, 0x600
	v_cmp_gt_u32_e32 vcc, s18, v7
	s_and_b64 exec, exec, vcc
	s_cbranch_execz .LBB113_113
; %bb.90:
	s_and_saveexec_b64 s[18:19], s[4:5]
	s_xor_b64 s[18:19], exec, s[18:19]
	s_andn2_saveexec_b64 s[18:19], s[18:19]
	s_cbranch_execz .LBB113_92
; %bb.91:
	v_add_u32_e32 v2, v0, v6
	v_lshl_add_u32 v2, v2, 2, 0
	ds_read_b32 v3, v2 offset:32
	ds_read_b32 v2, v2 offset:2144
.LBB113_92:
	s_or_b64 exec, exec, s[18:19]
	s_waitcnt lgkmcnt(1)
	ds_bpermute_b32 v5, v8, v3
	s_waitcnt lgkmcnt(1)
	ds_bpermute_b32 v4, v8, v2
	v_add_u32_e32 v12, 8, v0
	v_mov_b32_e32 v13, 0
	v_lshl_add_u64 v[12:13], s[8:9], 0, v[12:13]
	v_cmp_gt_i64_e32 vcc, s[10:11], v[12:13]
	s_waitcnt lgkmcnt(0)
	v_pk_add_f32 v[2:3], v[2:3], v[4:5]
	ds_bpermute_b32 v5, v9, v3
	ds_bpermute_b32 v4, v9, v2
	s_and_b64 s[20:21], s[2:3], vcc
	s_waitcnt lgkmcnt(0)
	v_pk_add_f32 v[2:3], v[2:3], v[4:5]
	ds_bpermute_b32 v5, v10, v3
	ds_bpermute_b32 v4, v10, v2
	s_waitcnt lgkmcnt(0)
	v_pk_add_f32 v[2:3], v[2:3], v[4:5]
	ds_bpermute_b32 v5, v11, v3
	ds_bpermute_b32 v4, v11, v2
	s_waitcnt lgkmcnt(0)
	v_pk_add_f32 v[2:3], v[2:3], v[4:5]
	s_and_saveexec_b64 s[18:19], s[20:21]
	s_cbranch_execz .LBB113_97
; %bb.93:
	s_andn2_b64 vcc, exec, s[16:17]
	s_cbranch_vccnz .LBB113_95
; %bb.94:
	v_bfe_u32 v4, v3, 16, 1
	s_movk_i32 s20, 0x7fff
	v_add3_u32 v4, v3, v4, s20
	v_cmp_o_f32_e32 vcc, v3, v3
	v_mov_b32_e32 v5, 0x7fc0
	s_nop 0
	v_cndmask_b32_sdwa v12, v5, v4, vcc dst_sel:DWORD dst_unused:UNUSED_PAD src0_sel:DWORD src1_sel:WORD_1
	v_lshl_add_u64 v[4:5], s[8:9], 0, v[0:1]
	v_lshl_add_u64 v[4:5], v[4:5], 1, s[12:13]
	global_store_short v[4:5], v12, off offset:16
.LBB113_95:
	s_andn2_b64 vcc, exec, s[6:7]
	s_cbranch_vccnz .LBB113_97
; %bb.96:
	v_bfe_u32 v4, v2, 16, 1
	s_movk_i32 s20, 0x7fff
	v_add3_u32 v4, v2, v4, s20
	v_cmp_o_f32_e32 vcc, v2, v2
	v_mov_b32_e32 v5, 0x7fc0
	s_nop 0
	v_cndmask_b32_sdwa v12, v5, v4, vcc dst_sel:DWORD dst_unused:UNUSED_PAD src0_sel:DWORD src1_sel:WORD_1
	v_lshl_add_u64 v[4:5], s[8:9], 0, v[0:1]
	v_lshl_add_u64 v[4:5], v[4:5], 1, s[14:15]
	global_store_short v[4:5], v12, off offset:16
.LBB113_97:
	s_or_b64 exec, exec, s[18:19]
	s_movk_i32 s18, 0x400
	v_cmp_gt_u32_e32 vcc, s18, v7
	s_and_b64 exec, exec, vcc
	s_cbranch_execz .LBB113_113
; %bb.98:
	s_and_saveexec_b64 s[18:19], s[4:5]
	s_xor_b64 s[4:5], exec, s[18:19]
	s_andn2_saveexec_b64 s[4:5], s[4:5]
	s_cbranch_execz .LBB113_100
; %bb.99:
	v_add_u32_e32 v2, v0, v6
	v_lshl_add_u32 v2, v2, 2, 0
	ds_read_b32 v3, v2 offset:64
	ds_read_b32 v2, v2 offset:2176
.LBB113_100:
	s_or_b64 exec, exec, s[4:5]
	s_waitcnt lgkmcnt(1)
	ds_bpermute_b32 v5, v8, v3
	s_waitcnt lgkmcnt(1)
	ds_bpermute_b32 v4, v8, v2
	v_add_u32_e32 v12, 16, v0
	v_mov_b32_e32 v13, s9
	v_or_b32_e32 v12, s8, v12
	v_cmp_gt_i64_e32 vcc, s[10:11], v[12:13]
	s_waitcnt lgkmcnt(0)
	v_pk_add_f32 v[2:3], v[2:3], v[4:5]
	ds_bpermute_b32 v5, v9, v3
	ds_bpermute_b32 v4, v9, v2
	s_and_b64 s[18:19], s[2:3], vcc
	s_waitcnt lgkmcnt(0)
	v_pk_add_f32 v[2:3], v[2:3], v[4:5]
	ds_bpermute_b32 v5, v10, v3
	ds_bpermute_b32 v4, v10, v2
	s_waitcnt lgkmcnt(0)
	v_pk_add_f32 v[2:3], v[2:3], v[4:5]
	ds_bpermute_b32 v5, v11, v3
	ds_bpermute_b32 v4, v11, v2
	s_waitcnt lgkmcnt(0)
	v_pk_add_f32 v[2:3], v[2:3], v[4:5]
	s_and_saveexec_b64 s[4:5], s[18:19]
	s_cbranch_execz .LBB113_105
; %bb.101:
	s_andn2_b64 vcc, exec, s[16:17]
	s_cbranch_vccnz .LBB113_103
; %bb.102:
	v_bfe_u32 v4, v3, 16, 1
	s_movk_i32 s18, 0x7fff
	v_add3_u32 v4, v3, v4, s18
	v_cmp_o_f32_e32 vcc, v3, v3
	v_mov_b32_e32 v5, 0x7fc0
	s_nop 0
	v_cndmask_b32_sdwa v12, v5, v4, vcc dst_sel:DWORD dst_unused:UNUSED_PAD src0_sel:DWORD src1_sel:WORD_1
	v_lshl_add_u64 v[4:5], s[8:9], 0, v[0:1]
	v_lshl_add_u64 v[4:5], v[4:5], 1, s[12:13]
	global_store_short v[4:5], v12, off offset:32
.LBB113_103:
	s_andn2_b64 vcc, exec, s[6:7]
	s_cbranch_vccnz .LBB113_105
; %bb.104:
	v_bfe_u32 v4, v2, 16, 1
	s_movk_i32 s18, 0x7fff
	v_add3_u32 v4, v2, v4, s18
	v_cmp_o_f32_e32 vcc, v2, v2
	v_mov_b32_e32 v5, 0x7fc0
	s_nop 0
	v_cndmask_b32_sdwa v12, v5, v4, vcc dst_sel:DWORD dst_unused:UNUSED_PAD src0_sel:DWORD src1_sel:WORD_1
	v_lshl_add_u64 v[4:5], s[8:9], 0, v[0:1]
	v_lshl_add_u64 v[4:5], v[4:5], 1, s[14:15]
	global_store_short v[4:5], v12, off offset:32
.LBB113_105:
	s_or_b64 exec, exec, s[4:5]
	s_movk_i32 s4, 0x200
	v_cmp_gt_u32_e32 vcc, s4, v7
	s_and_b64 exec, exec, vcc
	s_cbranch_execz .LBB113_113
; %bb.106:
	s_and_saveexec_b64 s[4:5], s[0:1]
	s_cbranch_execz .LBB113_108
; %bb.107:
	v_add_u32_e32 v2, v0, v6
	v_lshl_add_u32 v2, v2, 2, 0
	ds_read_b32 v3, v2 offset:96
	ds_read_b32 v2, v2 offset:2208
.LBB113_108:
	s_or_b64 exec, exec, s[4:5]
	s_waitcnt lgkmcnt(1)
	ds_bpermute_b32 v4, v8, v3
	s_waitcnt lgkmcnt(1)
	ds_bpermute_b32 v5, v8, v2
	v_add_u32_e32 v6, 24, v0
	v_or_b32_e32 v6, s8, v6
	v_mov_b32_e32 v7, s9
	s_waitcnt lgkmcnt(1)
	v_add_f32_e32 v3, v3, v4
	s_waitcnt lgkmcnt(0)
	v_add_f32_e32 v2, v2, v5
	ds_bpermute_b32 v4, v9, v3
	ds_bpermute_b32 v5, v9, v2
	v_cmp_gt_i64_e32 vcc, s[10:11], v[6:7]
	s_and_b64 s[0:1], s[2:3], vcc
	s_waitcnt lgkmcnt(1)
	v_add_f32_e32 v3, v3, v4
	s_waitcnt lgkmcnt(0)
	v_add_f32_e32 v2, v2, v5
	ds_bpermute_b32 v4, v10, v3
	ds_bpermute_b32 v5, v10, v2
	s_waitcnt lgkmcnt(1)
	v_add_f32_e32 v4, v3, v4
	s_waitcnt lgkmcnt(0)
	v_add_f32_e32 v2, v2, v5
	ds_bpermute_b32 v5, v11, v4
	ds_bpermute_b32 v3, v11, v2
	s_and_b64 exec, exec, s[0:1]
	s_cbranch_execz .LBB113_113
; %bb.109:
	s_andn2_b64 vcc, exec, s[16:17]
	v_lshl_add_u64 v[0:1], s[8:9], 0, v[0:1]
	s_cbranch_vccnz .LBB113_111
; %bb.110:
	s_waitcnt lgkmcnt(1)
	v_add_f32_e32 v4, v4, v5
	v_bfe_u32 v5, v4, 16, 1
	s_movk_i32 s0, 0x7fff
	v_add3_u32 v5, v4, v5, s0
	v_cmp_o_f32_e32 vcc, v4, v4
	v_mov_b32_e32 v4, 0x7fc0
	s_nop 0
	v_cndmask_b32_sdwa v6, v4, v5, vcc dst_sel:DWORD dst_unused:UNUSED_PAD src0_sel:DWORD src1_sel:WORD_1
	v_lshl_add_u64 v[4:5], v[0:1], 1, s[12:13]
	global_store_short v[4:5], v6, off offset:48
.LBB113_111:
	s_andn2_b64 vcc, exec, s[6:7]
	s_cbranch_vccnz .LBB113_113
; %bb.112:
	s_waitcnt lgkmcnt(0)
	v_add_f32_e32 v2, v2, v3
	v_bfe_u32 v3, v2, 16, 1
	s_movk_i32 s0, 0x7fff
	v_add3_u32 v3, v2, v3, s0
	v_cmp_o_f32_e32 vcc, v2, v2
	v_mov_b32_e32 v2, 0x7fc0
	v_lshl_add_u64 v[0:1], v[0:1], 1, s[14:15]
	v_cndmask_b32_sdwa v2, v2, v3, vcc dst_sel:DWORD dst_unused:UNUSED_PAD src0_sel:DWORD src1_sel:WORD_1
	global_store_short v[0:1], v2, off offset:48
.LBB113_113:
	s_endpgm
	.section	.rodata,"a",@progbits
	.p2align	6, 0x0
	.amdhsa_kernel _ZN2at6native12_GLOBAL__N_135GammaBetaBackwardCUDAKernelTemplateIN3c108BFloat16EfLj32ELj16ELj128ELb0ELb0ELb0EEEvllPKT_S7_PKT0_SA_PS5_SB_
		.amdhsa_group_segment_fixed_size 0
		.amdhsa_private_segment_fixed_size 0
		.amdhsa_kernarg_size 320
		.amdhsa_user_sgpr_count 2
		.amdhsa_user_sgpr_dispatch_ptr 0
		.amdhsa_user_sgpr_queue_ptr 0
		.amdhsa_user_sgpr_kernarg_segment_ptr 1
		.amdhsa_user_sgpr_dispatch_id 0
		.amdhsa_user_sgpr_kernarg_preload_length 0
		.amdhsa_user_sgpr_kernarg_preload_offset 0
		.amdhsa_user_sgpr_private_segment_size 0
		.amdhsa_uses_dynamic_stack 0
		.amdhsa_enable_private_segment 0
		.amdhsa_system_sgpr_workgroup_id_x 1
		.amdhsa_system_sgpr_workgroup_id_y 1
		.amdhsa_system_sgpr_workgroup_id_z 0
		.amdhsa_system_sgpr_workgroup_info 0
		.amdhsa_system_vgpr_workitem_id 1
		.amdhsa_next_free_vgpr 105
		.amdhsa_next_free_sgpr 52
		.amdhsa_accum_offset 108
		.amdhsa_reserve_vcc 1
		.amdhsa_float_round_mode_32 0
		.amdhsa_float_round_mode_16_64 0
		.amdhsa_float_denorm_mode_32 3
		.amdhsa_float_denorm_mode_16_64 3
		.amdhsa_dx10_clamp 1
		.amdhsa_ieee_mode 1
		.amdhsa_fp16_overflow 0
		.amdhsa_tg_split 0
		.amdhsa_exception_fp_ieee_invalid_op 0
		.amdhsa_exception_fp_denorm_src 0
		.amdhsa_exception_fp_ieee_div_zero 0
		.amdhsa_exception_fp_ieee_overflow 0
		.amdhsa_exception_fp_ieee_underflow 0
		.amdhsa_exception_fp_ieee_inexact 0
		.amdhsa_exception_int_div_zero 0
	.end_amdhsa_kernel
	.section	.text._ZN2at6native12_GLOBAL__N_135GammaBetaBackwardCUDAKernelTemplateIN3c108BFloat16EfLj32ELj16ELj128ELb0ELb0ELb0EEEvllPKT_S7_PKT0_SA_PS5_SB_,"axG",@progbits,_ZN2at6native12_GLOBAL__N_135GammaBetaBackwardCUDAKernelTemplateIN3c108BFloat16EfLj32ELj16ELj128ELb0ELb0ELb0EEEvllPKT_S7_PKT0_SA_PS5_SB_,comdat
.Lfunc_end113:
	.size	_ZN2at6native12_GLOBAL__N_135GammaBetaBackwardCUDAKernelTemplateIN3c108BFloat16EfLj32ELj16ELj128ELb0ELb0ELb0EEEvllPKT_S7_PKT0_SA_PS5_SB_, .Lfunc_end113-_ZN2at6native12_GLOBAL__N_135GammaBetaBackwardCUDAKernelTemplateIN3c108BFloat16EfLj32ELj16ELj128ELb0ELb0ELb0EEEvllPKT_S7_PKT0_SA_PS5_SB_
                                        ; -- End function
	.set _ZN2at6native12_GLOBAL__N_135GammaBetaBackwardCUDAKernelTemplateIN3c108BFloat16EfLj32ELj16ELj128ELb0ELb0ELb0EEEvllPKT_S7_PKT0_SA_PS5_SB_.num_vgpr, 105
	.set _ZN2at6native12_GLOBAL__N_135GammaBetaBackwardCUDAKernelTemplateIN3c108BFloat16EfLj32ELj16ELj128ELb0ELb0ELb0EEEvllPKT_S7_PKT0_SA_PS5_SB_.num_agpr, 0
	.set _ZN2at6native12_GLOBAL__N_135GammaBetaBackwardCUDAKernelTemplateIN3c108BFloat16EfLj32ELj16ELj128ELb0ELb0ELb0EEEvllPKT_S7_PKT0_SA_PS5_SB_.numbered_sgpr, 52
	.set _ZN2at6native12_GLOBAL__N_135GammaBetaBackwardCUDAKernelTemplateIN3c108BFloat16EfLj32ELj16ELj128ELb0ELb0ELb0EEEvllPKT_S7_PKT0_SA_PS5_SB_.num_named_barrier, 0
	.set _ZN2at6native12_GLOBAL__N_135GammaBetaBackwardCUDAKernelTemplateIN3c108BFloat16EfLj32ELj16ELj128ELb0ELb0ELb0EEEvllPKT_S7_PKT0_SA_PS5_SB_.private_seg_size, 0
	.set _ZN2at6native12_GLOBAL__N_135GammaBetaBackwardCUDAKernelTemplateIN3c108BFloat16EfLj32ELj16ELj128ELb0ELb0ELb0EEEvllPKT_S7_PKT0_SA_PS5_SB_.uses_vcc, 1
	.set _ZN2at6native12_GLOBAL__N_135GammaBetaBackwardCUDAKernelTemplateIN3c108BFloat16EfLj32ELj16ELj128ELb0ELb0ELb0EEEvllPKT_S7_PKT0_SA_PS5_SB_.uses_flat_scratch, 0
	.set _ZN2at6native12_GLOBAL__N_135GammaBetaBackwardCUDAKernelTemplateIN3c108BFloat16EfLj32ELj16ELj128ELb0ELb0ELb0EEEvllPKT_S7_PKT0_SA_PS5_SB_.has_dyn_sized_stack, 0
	.set _ZN2at6native12_GLOBAL__N_135GammaBetaBackwardCUDAKernelTemplateIN3c108BFloat16EfLj32ELj16ELj128ELb0ELb0ELb0EEEvllPKT_S7_PKT0_SA_PS5_SB_.has_recursion, 0
	.set _ZN2at6native12_GLOBAL__N_135GammaBetaBackwardCUDAKernelTemplateIN3c108BFloat16EfLj32ELj16ELj128ELb0ELb0ELb0EEEvllPKT_S7_PKT0_SA_PS5_SB_.has_indirect_call, 0
	.section	.AMDGPU.csdata,"",@progbits
; Kernel info:
; codeLenInByte = 8668
; TotalNumSgprs: 58
; NumVgprs: 105
; NumAgprs: 0
; TotalNumVgprs: 105
; ScratchSize: 0
; MemoryBound: 0
; FloatMode: 240
; IeeeMode: 1
; LDSByteSize: 0 bytes/workgroup (compile time only)
; SGPRBlocks: 7
; VGPRBlocks: 13
; NumSGPRsForWavesPerEU: 58
; NumVGPRsForWavesPerEU: 105
; AccumOffset: 108
; Occupancy: 4
; WaveLimiterHint : 0
; COMPUTE_PGM_RSRC2:SCRATCH_EN: 0
; COMPUTE_PGM_RSRC2:USER_SGPR: 2
; COMPUTE_PGM_RSRC2:TRAP_HANDLER: 0
; COMPUTE_PGM_RSRC2:TGID_X_EN: 1
; COMPUTE_PGM_RSRC2:TGID_Y_EN: 1
; COMPUTE_PGM_RSRC2:TGID_Z_EN: 0
; COMPUTE_PGM_RSRC2:TIDIG_COMP_CNT: 1
; COMPUTE_PGM_RSRC3_GFX90A:ACCUM_OFFSET: 26
; COMPUTE_PGM_RSRC3_GFX90A:TG_SPLIT: 0
	.section	.text._ZN2at6native12_GLOBAL__N_135GammaBetaBackwardCUDAKernelTemplateIN3c108BFloat16EfLj32ELj32ELj256ELb0ELb1ELb0EEEvllPKT_S7_PKT0_SA_PS5_SB_,"axG",@progbits,_ZN2at6native12_GLOBAL__N_135GammaBetaBackwardCUDAKernelTemplateIN3c108BFloat16EfLj32ELj32ELj256ELb0ELb1ELb0EEEvllPKT_S7_PKT0_SA_PS5_SB_,comdat
	.globl	_ZN2at6native12_GLOBAL__N_135GammaBetaBackwardCUDAKernelTemplateIN3c108BFloat16EfLj32ELj32ELj256ELb0ELb1ELb0EEEvllPKT_S7_PKT0_SA_PS5_SB_ ; -- Begin function _ZN2at6native12_GLOBAL__N_135GammaBetaBackwardCUDAKernelTemplateIN3c108BFloat16EfLj32ELj32ELj256ELb0ELb1ELb0EEEvllPKT_S7_PKT0_SA_PS5_SB_
	.p2align	8
	.type	_ZN2at6native12_GLOBAL__N_135GammaBetaBackwardCUDAKernelTemplateIN3c108BFloat16EfLj32ELj32ELj256ELb0ELb1ELb0EEEvllPKT_S7_PKT0_SA_PS5_SB_,@function
_ZN2at6native12_GLOBAL__N_135GammaBetaBackwardCUDAKernelTemplateIN3c108BFloat16EfLj32ELj32ELj256ELb0ELb1ELb0EEEvllPKT_S7_PKT0_SA_PS5_SB_: ; @_ZN2at6native12_GLOBAL__N_135GammaBetaBackwardCUDAKernelTemplateIN3c108BFloat16EfLj32ELj32ELj256ELb0ELb1ELb0EEEvllPKT_S7_PKT0_SA_PS5_SB_
; %bb.0:
	s_load_dwordx4 s[16:19], s[0:1], 0x0
	s_lshl_b32 s20, s3, 8
	s_mov_b32 s21, 0
	v_mov_b64_e32 v[2:3], s[20:21]
	v_bfe_u32 v12, v0, 10, 10
	s_waitcnt lgkmcnt(0)
	v_cmp_gt_i64_e32 vcc, s[16:17], v[2:3]
	s_cbranch_vccnz .LBB114_2
; %bb.1:
	s_mov_b64 s[4:5], 0
	v_bfe_u32 v2, v0, 10, 10
	s_branch .LBB114_3
.LBB114_2:
	s_mov_b64 s[4:5], -1
                                        ; implicit-def: $vgpr2
.LBB114_3:
	s_load_dwordx4 s[12:15], s[0:1], 0x30
	v_mov_b32_e32 v1, 0
	v_and_b32_e32 v10, 0x3ff, v0
	s_andn2_b64 vcc, exec, s[4:5]
	v_mbcnt_lo_u32_b32 v11, -1, 0
	v_mov_b32_e32 v0, v1
	s_cbranch_vccnz .LBB114_11
; %bb.4:
	s_load_dword s3, s[0:1], 0x4c
	s_load_dword s22, s[0:1], 0x44
	s_load_dwordx8 s[4:11], s[0:1], 0x10
	v_lshlrev_b32_e32 v0, 3, v12
	v_mbcnt_hi_u32_b32 v4, -1, v11
	s_waitcnt lgkmcnt(0)
	s_and_b32 s0, s3, 0xffff
	v_mad_u32_u24 v1, v12, s0, v10
	v_and_b32_e32 v2, 63, v1
	v_mov_b32_e32 v1, 0
	v_mov_b32_e32 v3, v1
	v_lshl_add_u64 v[8:9], v[0:1], 0, s[20:21]
	v_cmp_gt_u32_e64 s[0:1], 8, v2
	s_lshl_b32 s22, s22, 8
	v_lshl_add_u64 v[2:3], v[8:9], 0, v[2:3]
	v_mul_lo_u32 v0, s19, v8
	v_mul_lo_u32 v21, s18, v9
	v_mad_u64_u32 v[8:9], s[26:27], s18, v8, 0
	v_lshl_add_u32 v6, s2, 5, v10
	v_mov_b32_e32 v7, v1
	v_lshlrev_b32_e32 v4, 2, v4
	s_mul_i32 s3, s19, s22
	s_mul_hi_u32 s26, s18, s22
	s_mov_b32 s23, 0
	v_and_b32_e32 v13, 0x100, v4
	v_add3_u32 v9, v9, v21, v0
	v_lshlrev_b64 v[6:7], 1, v[6:7]
	s_add_i32 s27, s26, s3
	s_mul_i32 s26, s18, s22
	v_or_b32_e32 v14, 4, v13
	v_or_b32_e32 v15, 8, v13
	;; [unrolled: 1-line block ×7, first 2 shown]
	v_lshlrev_b64 v[4:5], 2, v[2:3]
	s_lshl_b64 s[24:25], s[22:23], 2
	v_lshl_add_u64 v[6:7], v[8:9], 1, v[6:7]
	s_lshl_b64 s[26:27], s[26:27], 1
	s_lshl_b64 s[18:19], s[18:19], 1
	v_mov_b64_e32 v[8:9], s[16:17]
	v_mov_b32_e32 v0, v1
	s_branch .LBB114_7
.LBB114_5:                              ;   in Loop: Header=BB114_7 Depth=1
	s_or_b64 exec, exec, s[30:31]
.LBB114_6:                              ;   in Loop: Header=BB114_7 Depth=1
	s_or_b64 exec, exec, s[28:29]
	v_lshl_add_u64 v[24:25], s[4:5], 0, v[6:7]
	v_lshl_add_u64 v[26:27], s[6:7], 0, v[6:7]
	global_load_ushort v23, v[24:25], off
	global_load_ushort v28, v[26:27], off
	v_lshl_add_u64 v[24:25], v[24:25], 0, s[18:19]
	v_lshl_add_u64 v[26:27], v[26:27], 0, s[18:19]
	global_load_ushort v29, v[24:25], off
	global_load_ushort v30, v[26:27], off
	;; [unrolled: 4-line block ×8, first 2 shown]
	s_waitcnt vmcnt(17)
	ds_bpermute_b32 v26, v13, v21
	ds_bpermute_b32 v43, v14, v21
	s_waitcnt vmcnt(16)
	ds_bpermute_b32 v25, v13, v22
	ds_bpermute_b32 v45, v15, v21
	;; [unrolled: 1-line block ×14, first 2 shown]
	s_add_u32 s20, s20, s22
	s_addc_u32 s21, s21, 0
	v_cmp_lt_i64_e32 vcc, s[20:21], v[8:9]
	v_lshl_add_u64 v[4:5], v[4:5], 0, s[24:25]
	v_lshl_add_u64 v[2:3], v[2:3], 0, s[22:23]
	;; [unrolled: 1-line block ×3, first 2 shown]
	s_and_b64 vcc, exec, vcc
	s_waitcnt vmcnt(15)
	v_lshlrev_b32_e32 v22, 16, v23
	s_waitcnt vmcnt(14)
	v_lshlrev_b32_e32 v23, 16, v28
	s_waitcnt lgkmcnt(14)
	v_sub_f32_e32 v23, v23, v26
	v_mul_f32_e32 v23, v23, v22
	s_waitcnt vmcnt(13)
	v_lshlrev_b32_e32 v24, 16, v29
	s_waitcnt vmcnt(12)
	v_lshlrev_b32_e32 v28, 16, v30
	v_sub_f32_e32 v30, v28, v43
	s_waitcnt lgkmcnt(13)
	v_mul_f32_e32 v23, v23, v25
	s_waitcnt vmcnt(11)
	v_lshlrev_b32_e32 v26, 16, v31
	s_waitcnt vmcnt(10)
	v_lshlrev_b32_e32 v29, 16, v32
	v_mul_f32_e32 v25, v30, v24
	s_waitcnt lgkmcnt(12)
	v_sub_f32_e32 v29, v29, v45
	s_waitcnt vmcnt(9)
	v_lshlrev_b32_e32 v28, 16, v33
	s_waitcnt vmcnt(8)
	v_lshlrev_b32_e32 v31, 16, v34
	s_waitcnt lgkmcnt(11)
	v_mul_f32_e32 v25, v25, v27
	v_mul_f32_e32 v27, v29, v26
	s_waitcnt lgkmcnt(10)
	v_sub_f32_e32 v29, v31, v47
	s_waitcnt vmcnt(6)
	v_lshlrev_b32_e32 v32, 16, v36
	v_pk_add_f32 v[0:1], v[0:1], v[22:23]
	v_lshlrev_b32_e32 v30, 16, v35
	s_waitcnt lgkmcnt(9)
	v_mul_f32_e32 v27, v27, v44
	s_waitcnt vmcnt(4)
	v_lshlrev_b32_e32 v23, 16, v38
	v_mul_f32_e32 v29, v29, v28
	s_waitcnt lgkmcnt(6)
	v_sub_f32_e32 v31, v32, v49
	v_pk_add_f32 v[0:1], v[0:1], v[24:25]
	v_lshlrev_b32_e32 v22, 16, v37
	s_waitcnt vmcnt(2)
	v_lshlrev_b32_e32 v25, 16, v40
	v_mul_f32_e32 v29, v29, v46
	v_mul_f32_e32 v31, v31, v30
	s_waitcnt lgkmcnt(2)
	v_sub_f32_e32 v23, v23, v51
	v_pk_add_f32 v[0:1], v[0:1], v[26:27]
	v_lshlrev_b32_e32 v24, 16, v39
	s_waitcnt vmcnt(0)
	v_lshlrev_b32_e32 v27, 16, v42
	v_mul_f32_e32 v31, v31, v48
	v_mul_f32_e32 v23, v23, v22
	s_waitcnt lgkmcnt(1)
	v_sub_f32_e32 v25, v25, v53
	v_pk_add_f32 v[0:1], v[0:1], v[28:29]
	v_lshlrev_b32_e32 v26, 16, v41
	v_mul_f32_e32 v23, v23, v50
	v_mul_f32_e32 v25, v25, v24
	v_pk_add_f32 v[0:1], v[0:1], v[30:31]
	s_waitcnt lgkmcnt(0)
	v_sub_f32_e32 v21, v27, v21
	v_mul_f32_e32 v25, v25, v52
	v_pk_add_f32 v[0:1], v[0:1], v[22:23]
	v_mul_f32_e32 v21, v21, v26
	v_pk_add_f32 v[0:1], v[0:1], v[24:25]
	;; [unrolled: 2-line block ×3, first 2 shown]
	s_cbranch_vccz .LBB114_10
.LBB114_7:                              ; =>This Inner Loop Header: Depth=1
	v_mov_b32_e32 v22, 0
	v_mov_b32_e32 v21, 0
	s_and_saveexec_b64 s[28:29], s[0:1]
	s_cbranch_execz .LBB114_6
; %bb.8:                                ;   in Loop: Header=BB114_7 Depth=1
	v_cmp_gt_i64_e32 vcc, s[16:17], v[2:3]
	v_mov_b32_e32 v21, 0
	v_mov_b32_e32 v22, 0
	s_and_saveexec_b64 s[30:31], vcc
	s_cbranch_execz .LBB114_5
; %bb.9:                                ;   in Loop: Header=BB114_7 Depth=1
	v_lshl_add_u64 v[26:27], s[8:9], 0, v[4:5]
	v_lshl_add_u64 v[24:25], s[10:11], 0, v[4:5]
	global_load_dword v21, v[26:27], off
	global_load_dword v22, v[24:25], off
	s_branch .LBB114_5
.LBB114_10:
	v_mov_b32_e32 v2, v12
.LBB114_11:
	v_mad_u32_u24 v3, v2, 33, v10
	v_sub_u32_e32 v7, v3, v2
	s_movk_i32 s0, 0x800
	v_lshl_add_u32 v4, v3, 2, 0
	v_cmp_gt_u32_e32 vcc, s0, v7
	ds_write_b32 v4, v1
	ds_write_b32 v4, v0 offset:4224
	s_waitcnt lgkmcnt(0)
	s_barrier
	s_and_saveexec_b64 s[0:1], vcc
	s_cbranch_execz .LBB114_27
; %bb.12:
	v_and_b32_e32 v1, 63, v7
	v_lshrrev_b32_e32 v0, 6, v7
	v_cmp_gt_u32_e64 s[4:5], 32, v1
	v_mul_u32_u24_e32 v6, 33, v1
                                        ; implicit-def: $vgpr2
	s_and_saveexec_b64 s[0:1], s[4:5]
	s_cbranch_execz .LBB114_14
; %bb.13:
	v_add_u32_e32 v1, v0, v6
	v_lshl_add_u32 v1, v1, 2, 0
	ds_read_b32 v3, v1
	ds_read_b32 v2, v1 offset:4224
.LBB114_14:
	s_or_b64 exec, exec, s[0:1]
	v_mbcnt_hi_u32_b32 v1, -1, v11
	v_and_b32_e32 v4, 64, v1
	v_add_u32_e32 v12, 64, v4
	v_xor_b32_e32 v4, 16, v1
	v_cmp_lt_i32_e32 vcc, v4, v12
	v_xor_b32_e32 v9, 8, v1
	v_cmp_eq_u32_e64 s[0:1], 0, v10
	v_cndmask_b32_e32 v4, v1, v4, vcc
	v_lshlrev_b32_e32 v8, 2, v4
	s_waitcnt lgkmcnt(1)
	ds_bpermute_b32 v5, v8, v3
	s_waitcnt lgkmcnt(1)
	ds_bpermute_b32 v4, v8, v2
	v_cmp_lt_i32_e32 vcc, v9, v12
	v_xor_b32_e32 v10, 4, v1
	v_xor_b32_e32 v11, 2, v1
	v_cndmask_b32_e32 v9, v1, v9, vcc
	v_lshlrev_b32_e32 v9, 2, v9
	s_waitcnt lgkmcnt(0)
	v_pk_add_f32 v[2:3], v[2:3], v[4:5]
	ds_bpermute_b32 v5, v9, v3
	ds_bpermute_b32 v4, v9, v2
	v_cmp_lt_i32_e32 vcc, v10, v12
	v_xor_b32_e32 v13, 1, v1
	s_mov_b32 s3, 0
	v_cndmask_b32_e32 v10, v1, v10, vcc
	v_lshlrev_b32_e32 v10, 2, v10
	s_waitcnt lgkmcnt(0)
	v_pk_add_f32 v[2:3], v[2:3], v[4:5]
	ds_bpermute_b32 v5, v10, v3
	ds_bpermute_b32 v4, v10, v2
	v_cmp_lt_i32_e32 vcc, v11, v12
	s_lshl_b64 s[2:3], s[2:3], 5
	s_cmp_lg_u64 s[12:13], 0
	v_cndmask_b32_e32 v11, v1, v11, vcc
	v_lshlrev_b32_e32 v11, 2, v11
	s_waitcnt lgkmcnt(0)
	v_pk_add_f32 v[2:3], v[2:3], v[4:5]
	ds_bpermute_b32 v5, v11, v3
	ds_bpermute_b32 v4, v11, v2
	v_cmp_lt_i32_e32 vcc, v13, v12
	s_cselect_b64 s[8:9], -1, 0
	s_cmp_lg_u64 s[14:15], 0
	v_cndmask_b32_e32 v1, v1, v13, vcc
	v_lshlrev_b32_e32 v12, 2, v1
	s_waitcnt lgkmcnt(0)
	v_pk_add_f32 v[2:3], v[2:3], v[4:5]
	ds_bpermute_b32 v5, v12, v3
	ds_bpermute_b32 v4, v12, v2
	s_cselect_b64 s[6:7], -1, 0
	v_mov_b32_e32 v1, 0
	s_waitcnt lgkmcnt(0)
	v_pk_add_f32 v[2:3], v[2:3], v[4:5]
	s_and_saveexec_b64 s[10:11], s[0:1]
	s_cbranch_execz .LBB114_19
; %bb.15:
	v_mov_b32_e32 v5, s3
	s_andn2_b64 vcc, exec, s[8:9]
	v_or_b32_e32 v4, s2, v0
	s_cbranch_vccnz .LBB114_17
; %bb.16:
	v_bfe_u32 v13, v3, 16, 1
	s_movk_i32 s16, 0x7fff
	v_add3_u32 v13, v3, v13, s16
	v_cmp_o_f32_e32 vcc, v3, v3
	v_mov_b32_e32 v14, 0x7fc0
	s_nop 0
	v_cndmask_b32_sdwa v13, v14, v13, vcc dst_sel:DWORD dst_unused:UNUSED_PAD src0_sel:DWORD src1_sel:WORD_1
	v_lshl_add_u64 v[14:15], v[4:5], 1, s[12:13]
	global_store_short v[14:15], v13, off
.LBB114_17:
	s_andn2_b64 vcc, exec, s[6:7]
	s_cbranch_vccnz .LBB114_19
; %bb.18:
	v_bfe_u32 v13, v2, 16, 1
	s_movk_i32 s16, 0x7fff
	v_add3_u32 v13, v2, v13, s16
	v_cmp_o_f32_e32 vcc, v2, v2
	v_mov_b32_e32 v14, 0x7fc0
	v_lshl_add_u64 v[4:5], v[4:5], 1, s[14:15]
	v_cndmask_b32_sdwa v13, v14, v13, vcc dst_sel:DWORD dst_unused:UNUSED_PAD src0_sel:DWORD src1_sel:WORD_1
	global_store_short v[4:5], v13, off
.LBB114_19:
	s_or_b64 exec, exec, s[10:11]
	s_movk_i32 s10, 0x400
	v_cmp_gt_u32_e32 vcc, s10, v7
	s_and_b64 exec, exec, vcc
	s_cbranch_execz .LBB114_27
; %bb.20:
	s_and_saveexec_b64 s[10:11], s[4:5]
	s_cbranch_execz .LBB114_22
; %bb.21:
	v_add_u32_e32 v2, v0, v6
	v_lshl_add_u32 v2, v2, 2, 0
	ds_read_b32 v3, v2 offset:64
	ds_read_b32 v2, v2 offset:4288
.LBB114_22:
	s_or_b64 exec, exec, s[10:11]
	s_waitcnt lgkmcnt(1)
	ds_bpermute_b32 v4, v8, v3
	s_waitcnt lgkmcnt(1)
	ds_bpermute_b32 v5, v8, v2
	s_waitcnt lgkmcnt(1)
	v_add_f32_e32 v3, v3, v4
	s_waitcnt lgkmcnt(0)
	v_add_f32_e32 v2, v2, v5
	ds_bpermute_b32 v4, v9, v3
	ds_bpermute_b32 v5, v9, v2
	s_waitcnt lgkmcnt(1)
	v_add_f32_e32 v3, v3, v4
	s_waitcnt lgkmcnt(0)
	v_add_f32_e32 v2, v2, v5
	ds_bpermute_b32 v4, v10, v3
	;; [unrolled: 6-line block ×4, first 2 shown]
	ds_bpermute_b32 v3, v12, v2
	s_and_b64 exec, exec, s[0:1]
	s_cbranch_execz .LBB114_27
; %bb.23:
	s_andn2_b64 vcc, exec, s[8:9]
	v_lshl_add_u64 v[0:1], s[2:3], 0, v[0:1]
	s_cbranch_vccnz .LBB114_25
; %bb.24:
	s_waitcnt lgkmcnt(1)
	v_add_f32_e32 v4, v4, v5
	v_bfe_u32 v5, v4, 16, 1
	s_movk_i32 s0, 0x7fff
	v_add3_u32 v5, v4, v5, s0
	v_cmp_o_f32_e32 vcc, v4, v4
	v_mov_b32_e32 v4, 0x7fc0
	s_nop 0
	v_cndmask_b32_sdwa v6, v4, v5, vcc dst_sel:DWORD dst_unused:UNUSED_PAD src0_sel:DWORD src1_sel:WORD_1
	v_lshl_add_u64 v[4:5], v[0:1], 1, s[12:13]
	global_store_short v[4:5], v6, off offset:32
.LBB114_25:
	s_andn2_b64 vcc, exec, s[6:7]
	s_cbranch_vccnz .LBB114_27
; %bb.26:
	s_waitcnt lgkmcnt(0)
	v_add_f32_e32 v2, v2, v3
	v_bfe_u32 v3, v2, 16, 1
	s_movk_i32 s0, 0x7fff
	v_add3_u32 v3, v2, v3, s0
	v_cmp_o_f32_e32 vcc, v2, v2
	v_mov_b32_e32 v2, 0x7fc0
	v_lshl_add_u64 v[0:1], v[0:1], 1, s[14:15]
	v_cndmask_b32_sdwa v2, v2, v3, vcc dst_sel:DWORD dst_unused:UNUSED_PAD src0_sel:DWORD src1_sel:WORD_1
	global_store_short v[0:1], v2, off offset:32
.LBB114_27:
	s_endpgm
	.section	.rodata,"a",@progbits
	.p2align	6, 0x0
	.amdhsa_kernel _ZN2at6native12_GLOBAL__N_135GammaBetaBackwardCUDAKernelTemplateIN3c108BFloat16EfLj32ELj32ELj256ELb0ELb1ELb0EEEvllPKT_S7_PKT0_SA_PS5_SB_
		.amdhsa_group_segment_fixed_size 0
		.amdhsa_private_segment_fixed_size 0
		.amdhsa_kernarg_size 320
		.amdhsa_user_sgpr_count 2
		.amdhsa_user_sgpr_dispatch_ptr 0
		.amdhsa_user_sgpr_queue_ptr 0
		.amdhsa_user_sgpr_kernarg_segment_ptr 1
		.amdhsa_user_sgpr_dispatch_id 0
		.amdhsa_user_sgpr_kernarg_preload_length 0
		.amdhsa_user_sgpr_kernarg_preload_offset 0
		.amdhsa_user_sgpr_private_segment_size 0
		.amdhsa_uses_dynamic_stack 0
		.amdhsa_enable_private_segment 0
		.amdhsa_system_sgpr_workgroup_id_x 1
		.amdhsa_system_sgpr_workgroup_id_y 1
		.amdhsa_system_sgpr_workgroup_id_z 0
		.amdhsa_system_sgpr_workgroup_info 0
		.amdhsa_system_vgpr_workitem_id 1
		.amdhsa_next_free_vgpr 55
		.amdhsa_next_free_sgpr 32
		.amdhsa_accum_offset 56
		.amdhsa_reserve_vcc 1
		.amdhsa_float_round_mode_32 0
		.amdhsa_float_round_mode_16_64 0
		.amdhsa_float_denorm_mode_32 3
		.amdhsa_float_denorm_mode_16_64 3
		.amdhsa_dx10_clamp 1
		.amdhsa_ieee_mode 1
		.amdhsa_fp16_overflow 0
		.amdhsa_tg_split 0
		.amdhsa_exception_fp_ieee_invalid_op 0
		.amdhsa_exception_fp_denorm_src 0
		.amdhsa_exception_fp_ieee_div_zero 0
		.amdhsa_exception_fp_ieee_overflow 0
		.amdhsa_exception_fp_ieee_underflow 0
		.amdhsa_exception_fp_ieee_inexact 0
		.amdhsa_exception_int_div_zero 0
	.end_amdhsa_kernel
	.section	.text._ZN2at6native12_GLOBAL__N_135GammaBetaBackwardCUDAKernelTemplateIN3c108BFloat16EfLj32ELj32ELj256ELb0ELb1ELb0EEEvllPKT_S7_PKT0_SA_PS5_SB_,"axG",@progbits,_ZN2at6native12_GLOBAL__N_135GammaBetaBackwardCUDAKernelTemplateIN3c108BFloat16EfLj32ELj32ELj256ELb0ELb1ELb0EEEvllPKT_S7_PKT0_SA_PS5_SB_,comdat
.Lfunc_end114:
	.size	_ZN2at6native12_GLOBAL__N_135GammaBetaBackwardCUDAKernelTemplateIN3c108BFloat16EfLj32ELj32ELj256ELb0ELb1ELb0EEEvllPKT_S7_PKT0_SA_PS5_SB_, .Lfunc_end114-_ZN2at6native12_GLOBAL__N_135GammaBetaBackwardCUDAKernelTemplateIN3c108BFloat16EfLj32ELj32ELj256ELb0ELb1ELb0EEEvllPKT_S7_PKT0_SA_PS5_SB_
                                        ; -- End function
	.set _ZN2at6native12_GLOBAL__N_135GammaBetaBackwardCUDAKernelTemplateIN3c108BFloat16EfLj32ELj32ELj256ELb0ELb1ELb0EEEvllPKT_S7_PKT0_SA_PS5_SB_.num_vgpr, 55
	.set _ZN2at6native12_GLOBAL__N_135GammaBetaBackwardCUDAKernelTemplateIN3c108BFloat16EfLj32ELj32ELj256ELb0ELb1ELb0EEEvllPKT_S7_PKT0_SA_PS5_SB_.num_agpr, 0
	.set _ZN2at6native12_GLOBAL__N_135GammaBetaBackwardCUDAKernelTemplateIN3c108BFloat16EfLj32ELj32ELj256ELb0ELb1ELb0EEEvllPKT_S7_PKT0_SA_PS5_SB_.numbered_sgpr, 32
	.set _ZN2at6native12_GLOBAL__N_135GammaBetaBackwardCUDAKernelTemplateIN3c108BFloat16EfLj32ELj32ELj256ELb0ELb1ELb0EEEvllPKT_S7_PKT0_SA_PS5_SB_.num_named_barrier, 0
	.set _ZN2at6native12_GLOBAL__N_135GammaBetaBackwardCUDAKernelTemplateIN3c108BFloat16EfLj32ELj32ELj256ELb0ELb1ELb0EEEvllPKT_S7_PKT0_SA_PS5_SB_.private_seg_size, 0
	.set _ZN2at6native12_GLOBAL__N_135GammaBetaBackwardCUDAKernelTemplateIN3c108BFloat16EfLj32ELj32ELj256ELb0ELb1ELb0EEEvllPKT_S7_PKT0_SA_PS5_SB_.uses_vcc, 1
	.set _ZN2at6native12_GLOBAL__N_135GammaBetaBackwardCUDAKernelTemplateIN3c108BFloat16EfLj32ELj32ELj256ELb0ELb1ELb0EEEvllPKT_S7_PKT0_SA_PS5_SB_.uses_flat_scratch, 0
	.set _ZN2at6native12_GLOBAL__N_135GammaBetaBackwardCUDAKernelTemplateIN3c108BFloat16EfLj32ELj32ELj256ELb0ELb1ELb0EEEvllPKT_S7_PKT0_SA_PS5_SB_.has_dyn_sized_stack, 0
	.set _ZN2at6native12_GLOBAL__N_135GammaBetaBackwardCUDAKernelTemplateIN3c108BFloat16EfLj32ELj32ELj256ELb0ELb1ELb0EEEvllPKT_S7_PKT0_SA_PS5_SB_.has_recursion, 0
	.set _ZN2at6native12_GLOBAL__N_135GammaBetaBackwardCUDAKernelTemplateIN3c108BFloat16EfLj32ELj32ELj256ELb0ELb1ELb0EEEvllPKT_S7_PKT0_SA_PS5_SB_.has_indirect_call, 0
	.section	.AMDGPU.csdata,"",@progbits
; Kernel info:
; codeLenInByte = 2108
; TotalNumSgprs: 38
; NumVgprs: 55
; NumAgprs: 0
; TotalNumVgprs: 55
; ScratchSize: 0
; MemoryBound: 0
; FloatMode: 240
; IeeeMode: 1
; LDSByteSize: 0 bytes/workgroup (compile time only)
; SGPRBlocks: 4
; VGPRBlocks: 6
; NumSGPRsForWavesPerEU: 38
; NumVGPRsForWavesPerEU: 55
; AccumOffset: 56
; Occupancy: 8
; WaveLimiterHint : 0
; COMPUTE_PGM_RSRC2:SCRATCH_EN: 0
; COMPUTE_PGM_RSRC2:USER_SGPR: 2
; COMPUTE_PGM_RSRC2:TRAP_HANDLER: 0
; COMPUTE_PGM_RSRC2:TGID_X_EN: 1
; COMPUTE_PGM_RSRC2:TGID_Y_EN: 1
; COMPUTE_PGM_RSRC2:TGID_Z_EN: 0
; COMPUTE_PGM_RSRC2:TIDIG_COMP_CNT: 1
; COMPUTE_PGM_RSRC3_GFX90A:ACCUM_OFFSET: 13
; COMPUTE_PGM_RSRC3_GFX90A:TG_SPLIT: 0
	.section	.text._ZN2at6native12_GLOBAL__N_135GammaBetaBackwardCUDAKernelTemplateIN3c108BFloat16EfLj32ELj32ELj256ELb0ELb0ELb0EEEvllPKT_S7_PKT0_SA_PS5_SB_,"axG",@progbits,_ZN2at6native12_GLOBAL__N_135GammaBetaBackwardCUDAKernelTemplateIN3c108BFloat16EfLj32ELj32ELj256ELb0ELb0ELb0EEEvllPKT_S7_PKT0_SA_PS5_SB_,comdat
	.globl	_ZN2at6native12_GLOBAL__N_135GammaBetaBackwardCUDAKernelTemplateIN3c108BFloat16EfLj32ELj32ELj256ELb0ELb0ELb0EEEvllPKT_S7_PKT0_SA_PS5_SB_ ; -- Begin function _ZN2at6native12_GLOBAL__N_135GammaBetaBackwardCUDAKernelTemplateIN3c108BFloat16EfLj32ELj32ELj256ELb0ELb0ELb0EEEvllPKT_S7_PKT0_SA_PS5_SB_
	.p2align	8
	.type	_ZN2at6native12_GLOBAL__N_135GammaBetaBackwardCUDAKernelTemplateIN3c108BFloat16EfLj32ELj32ELj256ELb0ELb0ELb0EEEvllPKT_S7_PKT0_SA_PS5_SB_,@function
_ZN2at6native12_GLOBAL__N_135GammaBetaBackwardCUDAKernelTemplateIN3c108BFloat16EfLj32ELj32ELj256ELb0ELb0ELb0EEEvllPKT_S7_PKT0_SA_PS5_SB_: ; @_ZN2at6native12_GLOBAL__N_135GammaBetaBackwardCUDAKernelTemplateIN3c108BFloat16EfLj32ELj32ELj256ELb0ELb0ELb0EEEvllPKT_S7_PKT0_SA_PS5_SB_
; %bb.0:
	s_load_dwordx8 s[8:15], s[0:1], 0x0
	s_load_dwordx4 s[16:19], s[0:1], 0x20
	s_lshl_b32 s33, s2, 5
	s_mov_b32 s21, 0
	s_lshl_b32 s20, s3, 8
	s_or_b32 s4, s33, 31
	v_mov_b64_e32 v[2:3], s[20:21]
	v_mov_b32_e32 v26, s4
	v_mov_b32_e32 v27, 0
	s_waitcnt lgkmcnt(0)
	v_cmp_gt_i64_e64 s[4:5], s[8:9], v[2:3]
	v_cmp_le_i64_e32 vcc, s[10:11], v[26:27]
	s_nop 0
	v_cndmask_b32_e64 v1, 0, 1, s[4:5]
	v_cmp_ne_u32_e64 s[4:5], 1, v1
	s_cbranch_vccz .LBB115_48
; %bb.1:
	s_and_b64 vcc, exec, s[4:5]
	v_mov_b32_e32 v26, 0
	s_cbranch_vccnz .LBB115_49
; %bb.2:
	v_and_b32_e32 v1, 0x3ff, v0
	v_mov_b32_e32 v2, 0
	v_bfe_u32 v62, v0, 10, 10
	v_add_u32_e32 v4, s33, v1
	v_mov_b32_e32 v5, v2
	v_lshlrev_b32_e32 v20, 3, v62
	v_mov_b32_e32 v21, v2
	v_cmp_gt_i64_e64 s[6:7], s[10:11], v[4:5]
	v_lshlrev_b64 v[22:23], 1, v[4:5]
	v_lshl_add_u64 v[4:5], v[20:21], 0, s[20:21]
	v_mul_lo_u32 v3, s11, v4
	v_mul_lo_u32 v8, s10, v5
	v_mad_u64_u32 v[6:7], s[24:25], s10, v4, 0
	v_add3_u32 v7, v7, v8, v3
	v_lshlrev_b64 v[6:7], 1, v[6:7]
	v_lshl_add_u64 v[24:25], s[12:13], 0, v[6:7]
	v_lshl_add_u64 v[28:29], s[14:15], 0, v[6:7]
	v_lshl_add_u64 v[6:7], v[4:5], 0, 7
	v_mul_lo_u32 v9, s11, v6
	v_mul_lo_u32 v10, s10, v7
	v_mad_u64_u32 v[6:7], s[26:27], s10, v6, 0
	v_add3_u32 v7, v7, v10, v9
	v_lshlrev_b64 v[6:7], 1, v[6:7]
	v_lshl_add_u64 v[30:31], s[12:13], 0, v[6:7]
	v_lshl_add_u64 v[32:33], s[14:15], 0, v[6:7]
	;; [unrolled: 8-line block ×5, first 2 shown]
	v_lshl_add_u64 v[6:7], v[4:5], 0, 3
	v_mul_lo_u32 v9, s11, v6
	v_mul_lo_u32 v10, s10, v7
	v_mad_u64_u32 v[6:7], s[26:27], s10, v6, 0
	v_add3_u32 v7, v7, v10, v9
	s_load_dword s3, s[0:1], 0x44
	v_lshlrev_b64 v[6:7], 1, v[6:7]
	v_lshl_add_u64 v[46:47], s[12:13], 0, v[6:7]
	v_lshl_add_u64 v[48:49], s[14:15], 0, v[6:7]
	;; [unrolled: 1-line block ×3, first 2 shown]
	v_mul_lo_u32 v5, s11, v6
	v_mul_lo_u32 v9, s10, v7
	v_mad_u64_u32 v[6:7], s[26:27], s10, v6, 0
	v_add3_u32 v7, v7, v9, v5
	s_add_u32 s22, s0, 64
	v_lshlrev_b64 v[6:7], 1, v[6:7]
	s_addc_u32 s23, s1, 0
	s_waitcnt lgkmcnt(0)
	s_lshl_b32 s3, s3, 8
	v_lshl_add_u64 v[50:51], s[12:13], 0, v[6:7]
	v_lshl_add_u64 v[52:53], s[14:15], 0, v[6:7]
	v_mov_b64_e32 v[6:7], s[10:11]
	s_mul_i32 s24, s11, s3
	s_mul_hi_u32 s25, s10, s3
	v_mad_u64_u32 v[4:5], s[26:27], s10, v4, v[6:7]
	s_add_i32 s25, s25, s24
	s_mul_i32 s24, s10, s3
	v_add3_u32 v5, v3, v5, v8
	v_mbcnt_lo_u32_b32 v3, -1, 0
	s_lshl_b64 s[24:25], s[24:25], 1
	v_mbcnt_hi_u32_b32 v3, -1, v3
	v_lshlrev_b64 v[4:5], 1, v[4:5]
	s_add_u32 s26, s20, 0xff
	s_movk_i32 s28, 0xff01
	s_movk_i32 s30, 0xff02
	;; [unrolled: 1-line block ×8, first 2 shown]
	v_lshlrev_b32_e32 v3, 2, v3
	v_lshl_add_u64 v[54:55], s[12:13], 0, v[4:5]
	v_lshl_add_u64 v[56:57], s[14:15], 0, v[4:5]
	s_addc_u32 s27, 0, 0
	s_mov_b32 s29, -1
	s_mov_b32 s31, -1
	;; [unrolled: 1-line block ×8, first 2 shown]
	v_and_b32_e32 v63, 0x100, v3
	s_mov_b64 s[46:47], s[20:21]
	v_mov_b32_e32 v26, 0
	v_mov_b32_e32 v27, v2
	s_branch .LBB115_5
.LBB115_3:                              ;   in Loop: Header=BB115_5 Depth=1
	s_or_b64 exec, exec, s[48:49]
	s_waitcnt vmcnt(1)
	ds_bpermute_b32 v3, v63, v61
	ds_bpermute_b32 v58, v63, v61 offset:4
	s_waitcnt vmcnt(0)
	ds_bpermute_b32 v59, v63, v60
	ds_bpermute_b32 v64, v63, v60 offset:4
	v_mov_b32_e32 v66, v8
	s_waitcnt lgkmcnt(3)
	v_sub_f32_e32 v3, v12, v3
	v_mul_f32_e32 v3, v4, v3
	s_waitcnt lgkmcnt(2)
	v_sub_f32_e32 v12, v13, v58
	s_waitcnt lgkmcnt(1)
	v_mul_f32_e32 v13, v3, v59
	ds_bpermute_b32 v3, v63, v61 offset:8
	v_mul_f32_e32 v12, v5, v12
	s_waitcnt lgkmcnt(1)
	v_mul_f32_e32 v59, v12, v64
	ds_bpermute_b32 v12, v63, v60 offset:8
	ds_bpermute_b32 v58, v63, v61 offset:12
	s_waitcnt lgkmcnt(2)
	v_sub_f32_e32 v3, v14, v3
	ds_bpermute_b32 v14, v63, v60 offset:12
	v_mul_f32_e32 v3, v6, v3
	s_waitcnt lgkmcnt(2)
	v_mul_f32_e32 v65, v3, v12
	s_waitcnt lgkmcnt(1)
	v_sub_f32_e32 v3, v15, v58
	ds_bpermute_b32 v12, v63, v61 offset:16
	v_mul_f32_e32 v3, v7, v3
	s_waitcnt lgkmcnt(1)
	v_mul_f32_e32 v15, v3, v14
	ds_bpermute_b32 v3, v63, v60 offset:16
	ds_bpermute_b32 v14, v63, v61 offset:20
	s_waitcnt lgkmcnt(2)
	v_sub_f32_e32 v12, v16, v12
	ds_bpermute_b32 v16, v63, v60 offset:20
	v_mul_f32_e32 v12, v8, v12
	s_waitcnt lgkmcnt(2)
	v_mul_f32_e32 v67, v12, v3
	v_mov_b32_e32 v12, v4
	s_waitcnt lgkmcnt(1)
	v_sub_f32_e32 v3, v17, v14
	v_pk_add_f32 v[12:13], v[26:27], v[12:13]
	v_mov_b32_e32 v58, v5
	v_mul_f32_e32 v3, v9, v3
	v_pk_add_f32 v[4:5], v[58:59], v[12:13]
	v_mov_b32_e32 v64, v6
	s_waitcnt lgkmcnt(0)
	v_mul_f32_e32 v17, v3, v16
	v_pk_add_f32 v[4:5], v[64:65], v[4:5]
	v_mov_b32_e32 v14, v7
	ds_bpermute_b32 v3, v63, v61 offset:24
	v_pk_add_f32 v[4:5], v[14:15], v[4:5]
	v_mov_b32_e32 v16, v9
	v_pk_add_f32 v[4:5], v[66:67], v[4:5]
	s_waitcnt lgkmcnt(0)
	v_sub_f32_e32 v8, v18, v3
	v_pk_add_f32 v[6:7], v[16:17], v[4:5]
	ds_bpermute_b32 v5, v63, v60 offset:24
	ds_bpermute_b32 v3, v63, v60 offset:28
	;; [unrolled: 1-line block ×3, first 2 shown]
	v_mul_f32_e32 v8, v10, v8
	s_waitcnt lgkmcnt(2)
	v_mul_f32_e32 v9, v8, v5
	v_mov_b32_e32 v8, v10
	v_pk_add_f32 v[60:61], v[8:9], v[6:7]
.LBB115_4:                              ;   in Loop: Header=BB115_5 Depth=1
	s_waitcnt lgkmcnt(0)
	v_sub_f32_e32 v4, v19, v4
	v_mul_f32_e32 v4, v11, v4
	v_mul_f32_e32 v5, v4, v3
	v_mov_b32_e32 v4, v11
	s_add_u32 s46, s46, s3
	v_pk_add_f32 v[26:27], v[60:61], v[4:5]
	s_addc_u32 s47, s47, 0
	v_mov_b64_e32 v[4:5], s[8:9]
	s_add_u32 s26, s26, s3
	v_cmp_lt_i64_e32 vcc, s[46:47], v[4:5]
	v_lshl_add_u64 v[24:25], v[24:25], 0, s[24:25]
	v_lshl_add_u64 v[28:29], v[28:29], 0, s[24:25]
	;; [unrolled: 1-line block ×16, first 2 shown]
	s_addc_u32 s27, s27, 0
	s_cbranch_vccz .LBB115_49
.LBB115_5:                              ; =>This Inner Loop Header: Depth=1
	v_mov_b64_e32 v[4:5], s[8:9]
	v_cmp_ge_i64_e32 vcc, s[26:27], v[4:5]
	v_lshl_add_u64 v[58:59], v[20:21], 0, s[26:27]
	s_mov_b64 s[48:49], -1
	s_and_b64 vcc, exec, vcc
                                        ; implicit-def: $vgpr4_vgpr5_vgpr6_vgpr7_vgpr8_vgpr9_vgpr10_vgpr11
                                        ; implicit-def: $vgpr60_vgpr61
                                        ; implicit-def: $vgpr3
                                        ; implicit-def: $vgpr12_vgpr13_vgpr14_vgpr15_vgpr16_vgpr17_vgpr18_vgpr19
                                        ; implicit-def: $vgpr4
	s_cbranch_vccz .LBB115_27
; %bb.6:                                ;   in Loop: Header=BB115_5 Depth=1
	s_load_dword s48, s[22:23], 0xc
	v_mov_b32_e32 v60, 0
	v_mov_b32_e32 v61, 0
	s_waitcnt lgkmcnt(0)
	s_and_b32 s48, s48, 0xffff
	v_mad_u32_u24 v3, v62, s48, v1
	v_and_b32_e32 v4, 63, v3
	v_cmp_gt_u32_e32 vcc, 8, v4
	s_and_saveexec_b64 s[48:49], vcc
	s_cbranch_execz .LBB115_10
; %bb.7:                                ;   in Loop: Header=BB115_5 Depth=1
	v_mov_b32_e32 v5, v2
	v_lshl_add_u64 v[4:5], v[58:59], 0, v[4:5]
	v_lshl_add_u64 v[4:5], v[4:5], 0, s[28:29]
	v_cmp_gt_i64_e32 vcc, s[8:9], v[4:5]
	v_mov_b32_e32 v61, 0
	v_mov_b32_e32 v60, 0
	s_and_saveexec_b64 s[50:51], vcc
	s_cbranch_execz .LBB115_9
; %bb.8:                                ;   in Loop: Header=BB115_5 Depth=1
	v_lshlrev_b64 v[4:5], 2, v[4:5]
	v_lshl_add_u64 v[6:7], s[18:19], 0, v[4:5]
	v_lshl_add_u64 v[4:5], s[16:17], 0, v[4:5]
	global_load_dword v61, v[4:5], off
	global_load_dword v60, v[6:7], off
.LBB115_9:                              ;   in Loop: Header=BB115_5 Depth=1
	s_or_b64 exec, exec, s[50:51]
.LBB115_10:                             ;   in Loop: Header=BB115_5 Depth=1
	s_or_b64 exec, exec, s[48:49]
	v_lshl_add_u64 v[4:5], v[58:59], 0, s[28:29]
	v_mov_b32_e32 v8, v2
	v_mov_b32_e32 v9, v2
	v_cmp_gt_i64_e32 vcc, s[8:9], v[4:5]
	v_mov_b32_e32 v3, v2
	v_mov_b32_e32 v4, v2
	v_mov_b32_e32 v5, v2
	v_mov_b32_e32 v6, v2
	v_mov_b32_e32 v7, v2
	v_mov_b64_e32 v[18:19], v[8:9]
	v_mov_b64_e32 v[16:17], v[6:7]
	;; [unrolled: 1-line block ×5, first 2 shown]
	s_and_b64 s[50:51], s[6:7], vcc
	v_mov_b64_e32 v[8:9], v[6:7]
	v_mov_b64_e32 v[6:7], v[4:5]
	;; [unrolled: 1-line block ×3, first 2 shown]
	s_and_saveexec_b64 s[48:49], s[50:51]
	s_cbranch_execz .LBB115_12
; %bb.11:                               ;   in Loop: Header=BB115_5 Depth=1
	v_lshl_add_u64 v[4:5], v[24:25], 0, v[22:23]
	global_load_ushort v3, v[4:5], off
	v_lshl_add_u64 v[4:5], v[28:29], 0, v[22:23]
	global_load_ushort v12, v[4:5], off
	v_mov_b32_e32 v5, v2
	v_mov_b32_e32 v6, v2
	;; [unrolled: 1-line block ×14, first 2 shown]
	s_waitcnt vmcnt(1)
	v_lshlrev_b32_e32 v4, 16, v3
	s_waitcnt vmcnt(0)
	v_lshlrev_b32_e32 v12, 16, v12
.LBB115_12:                             ;   in Loop: Header=BB115_5 Depth=1
	s_or_b64 exec, exec, s[48:49]
	v_lshl_add_u64 v[64:65], v[58:59], 0, s[30:31]
	v_cmp_gt_i64_e32 vcc, s[8:9], v[64:65]
	s_and_b64 s[50:51], s[6:7], vcc
	s_and_saveexec_b64 s[48:49], s[50:51]
	s_cbranch_execz .LBB115_14
; %bb.13:                               ;   in Loop: Header=BB115_5 Depth=1
	v_lshl_add_u64 v[64:65], v[54:55], 0, v[22:23]
	global_load_ushort v3, v[64:65], off
	v_lshl_add_u64 v[64:65], v[56:57], 0, v[22:23]
	global_load_ushort v13, v[64:65], off
	s_waitcnt vmcnt(1)
	v_lshlrev_b32_e32 v5, 16, v3
	s_waitcnt vmcnt(0)
	v_lshlrev_b32_e32 v13, 16, v13
.LBB115_14:                             ;   in Loop: Header=BB115_5 Depth=1
	s_or_b64 exec, exec, s[48:49]
	v_lshl_add_u64 v[64:65], v[58:59], 0, s[34:35]
	v_cmp_gt_i64_e32 vcc, s[8:9], v[64:65]
	s_and_b64 s[50:51], s[6:7], vcc
	s_and_saveexec_b64 s[48:49], s[50:51]
	s_cbranch_execz .LBB115_16
; %bb.15:                               ;   in Loop: Header=BB115_5 Depth=1
	v_lshl_add_u64 v[64:65], v[50:51], 0, v[22:23]
	global_load_ushort v3, v[64:65], off
	v_lshl_add_u64 v[64:65], v[52:53], 0, v[22:23]
	global_load_ushort v14, v[64:65], off
	s_waitcnt vmcnt(1)
	v_lshlrev_b32_e32 v6, 16, v3
	s_waitcnt vmcnt(0)
	v_lshlrev_b32_e32 v14, 16, v14
.LBB115_16:                             ;   in Loop: Header=BB115_5 Depth=1
	;; [unrolled: 16-line block ×7, first 2 shown]
	s_or_b64 exec, exec, s[48:49]
	s_waitcnt vmcnt(1)
	ds_bpermute_b32 v3, v63, v61
	ds_bpermute_b32 v64, v63, v61 offset:4
	s_waitcnt vmcnt(0)
	ds_bpermute_b32 v65, v63, v60
	ds_bpermute_b32 v66, v63, v60 offset:4
	v_mov_b32_e32 v68, v8
	s_waitcnt lgkmcnt(3)
	v_sub_f32_e32 v3, v12, v3
	v_mul_f32_e32 v3, v4, v3
	s_waitcnt lgkmcnt(2)
	v_sub_f32_e32 v12, v13, v64
	s_waitcnt lgkmcnt(1)
	v_mul_f32_e32 v13, v3, v65
	ds_bpermute_b32 v3, v63, v61 offset:8
	v_mul_f32_e32 v12, v5, v12
	s_waitcnt lgkmcnt(1)
	v_mul_f32_e32 v65, v12, v66
	ds_bpermute_b32 v12, v63, v60 offset:8
	ds_bpermute_b32 v64, v63, v61 offset:12
	s_waitcnt lgkmcnt(2)
	v_sub_f32_e32 v3, v14, v3
	ds_bpermute_b32 v14, v63, v60 offset:12
	v_mul_f32_e32 v3, v6, v3
	s_waitcnt lgkmcnt(2)
	v_mul_f32_e32 v67, v3, v12
	ds_bpermute_b32 v12, v63, v61 offset:16
	s_waitcnt lgkmcnt(2)
	v_sub_f32_e32 v3, v15, v64
	v_mul_f32_e32 v3, v7, v3
	s_waitcnt lgkmcnt(1)
	v_mul_f32_e32 v15, v3, v14
	ds_bpermute_b32 v3, v63, v60 offset:16
	ds_bpermute_b32 v14, v63, v61 offset:20
	s_waitcnt lgkmcnt(2)
	v_sub_f32_e32 v12, v16, v12
	ds_bpermute_b32 v16, v63, v60 offset:20
	v_mul_f32_e32 v12, v8, v12
	s_waitcnt lgkmcnt(2)
	v_mul_f32_e32 v69, v12, v3
	s_waitcnt lgkmcnt(1)
	v_sub_f32_e32 v3, v17, v14
	v_mov_b32_e32 v12, v4
	v_mul_f32_e32 v3, v9, v3
	v_pk_add_f32 v[12:13], v[26:27], v[12:13]
	v_mov_b32_e32 v64, v5
	s_waitcnt lgkmcnt(0)
	v_mul_f32_e32 v17, v3, v16
	v_pk_add_f32 v[4:5], v[64:65], v[12:13]
	v_mov_b32_e32 v66, v6
	ds_bpermute_b32 v3, v63, v61 offset:24
	v_pk_add_f32 v[4:5], v[66:67], v[4:5]
	v_mov_b32_e32 v14, v7
	v_pk_add_f32 v[4:5], v[14:15], v[4:5]
	v_mov_b32_e32 v16, v9
	v_pk_add_f32 v[4:5], v[68:69], v[4:5]
	s_waitcnt lgkmcnt(0)
	v_sub_f32_e32 v3, v18, v3
	v_pk_add_f32 v[6:7], v[16:17], v[4:5]
	ds_bpermute_b32 v5, v63, v60 offset:24
	v_mul_f32_e32 v8, v10, v3
	ds_bpermute_b32 v3, v63, v60 offset:28
	ds_bpermute_b32 v4, v63, v61 offset:28
	s_mov_b64 s[48:49], 0
	s_waitcnt lgkmcnt(2)
	v_mul_f32_e32 v9, v8, v5
	v_mov_b32_e32 v8, v10
	v_pk_add_f32 v[60:61], v[8:9], v[6:7]
.LBB115_27:                             ;   in Loop: Header=BB115_5 Depth=1
	s_and_b64 vcc, exec, s[48:49]
	s_cbranch_vccz .LBB115_4
; %bb.28:                               ;   in Loop: Header=BB115_5 Depth=1
	s_load_dword s48, s[22:23], 0x0
	v_mov_b32_e32 v60, 0
	v_mov_b32_e32 v61, 0
	s_waitcnt lgkmcnt(0)
	s_cmp_lt_u32 s2, s48
	s_cselect_b32 s48, 12, 18
	s_add_u32 s48, s22, s48
	s_addc_u32 s49, s23, 0
	global_load_ushort v3, v2, s[48:49]
	s_waitcnt vmcnt(0)
	v_mad_u32_u24 v3, v62, v3, v1
	v_and_b32_e32 v4, 63, v3
	v_cmp_gt_u32_e32 vcc, 8, v4
	s_and_saveexec_b64 s[48:49], vcc
	s_cbranch_execz .LBB115_32
; %bb.29:                               ;   in Loop: Header=BB115_5 Depth=1
	v_mov_b32_e32 v5, v2
	v_lshl_add_u64 v[4:5], v[58:59], 0, v[4:5]
	v_lshl_add_u64 v[4:5], v[4:5], 0, s[28:29]
	v_cmp_gt_i64_e32 vcc, s[8:9], v[4:5]
	v_mov_b32_e32 v61, 0
	v_mov_b32_e32 v60, 0
	s_and_saveexec_b64 s[50:51], vcc
	s_cbranch_execz .LBB115_31
; %bb.30:                               ;   in Loop: Header=BB115_5 Depth=1
	v_lshlrev_b64 v[4:5], 2, v[4:5]
	v_lshl_add_u64 v[6:7], s[18:19], 0, v[4:5]
	v_lshl_add_u64 v[4:5], s[16:17], 0, v[4:5]
	global_load_dword v61, v[4:5], off
	global_load_dword v60, v[6:7], off
.LBB115_31:                             ;   in Loop: Header=BB115_5 Depth=1
	s_or_b64 exec, exec, s[50:51]
.LBB115_32:                             ;   in Loop: Header=BB115_5 Depth=1
	s_or_b64 exec, exec, s[48:49]
	v_mov_b32_e32 v8, v2
	v_mov_b32_e32 v9, v2
	;; [unrolled: 1-line block ×7, first 2 shown]
	v_mov_b64_e32 v[18:19], v[8:9]
	v_mov_b64_e32 v[16:17], v[6:7]
	;; [unrolled: 1-line block ×8, first 2 shown]
	s_and_saveexec_b64 s[48:49], s[6:7]
	s_cbranch_execnz .LBB115_40
; %bb.33:                               ;   in Loop: Header=BB115_5 Depth=1
	s_or_b64 exec, exec, s[48:49]
	s_and_saveexec_b64 s[48:49], s[6:7]
	s_cbranch_execnz .LBB115_41
.LBB115_34:                             ;   in Loop: Header=BB115_5 Depth=1
	s_or_b64 exec, exec, s[48:49]
	s_and_saveexec_b64 s[48:49], s[6:7]
	s_cbranch_execnz .LBB115_42
.LBB115_35:                             ;   in Loop: Header=BB115_5 Depth=1
	s_or_b64 exec, exec, s[48:49]
	s_and_saveexec_b64 s[48:49], s[6:7]
	s_cbranch_execnz .LBB115_43
.LBB115_36:                             ;   in Loop: Header=BB115_5 Depth=1
	s_or_b64 exec, exec, s[48:49]
	s_and_saveexec_b64 s[48:49], s[6:7]
	s_cbranch_execnz .LBB115_44
.LBB115_37:                             ;   in Loop: Header=BB115_5 Depth=1
	s_or_b64 exec, exec, s[48:49]
	s_and_saveexec_b64 s[48:49], s[6:7]
	s_cbranch_execnz .LBB115_45
.LBB115_38:                             ;   in Loop: Header=BB115_5 Depth=1
	s_or_b64 exec, exec, s[48:49]
	s_and_saveexec_b64 s[48:49], s[6:7]
	s_cbranch_execnz .LBB115_46
.LBB115_39:                             ;   in Loop: Header=BB115_5 Depth=1
	s_or_b64 exec, exec, s[48:49]
	s_and_saveexec_b64 s[48:49], s[6:7]
	s_cbranch_execz .LBB115_3
	s_branch .LBB115_47
.LBB115_40:                             ;   in Loop: Header=BB115_5 Depth=1
	v_lshl_add_u64 v[4:5], v[24:25], 0, v[22:23]
	global_load_ushort v3, v[4:5], off
	v_lshl_add_u64 v[4:5], v[28:29], 0, v[22:23]
	global_load_ushort v12, v[4:5], off
	v_mov_b32_e32 v5, v2
	v_mov_b32_e32 v6, v2
	;; [unrolled: 1-line block ×14, first 2 shown]
	s_waitcnt vmcnt(1)
	v_lshlrev_b32_e32 v4, 16, v3
	s_waitcnt vmcnt(0)
	v_lshlrev_b32_e32 v12, 16, v12
	s_or_b64 exec, exec, s[48:49]
	s_and_saveexec_b64 s[48:49], s[6:7]
	s_cbranch_execz .LBB115_34
.LBB115_41:                             ;   in Loop: Header=BB115_5 Depth=1
	v_lshl_add_u64 v[58:59], v[54:55], 0, v[22:23]
	global_load_ushort v3, v[58:59], off
	v_lshl_add_u64 v[58:59], v[56:57], 0, v[22:23]
	global_load_ushort v13, v[58:59], off
	s_waitcnt vmcnt(1)
	v_lshlrev_b32_e32 v5, 16, v3
	s_waitcnt vmcnt(0)
	v_lshlrev_b32_e32 v13, 16, v13
	s_or_b64 exec, exec, s[48:49]
	s_and_saveexec_b64 s[48:49], s[6:7]
	s_cbranch_execz .LBB115_35
.LBB115_42:                             ;   in Loop: Header=BB115_5 Depth=1
	v_lshl_add_u64 v[58:59], v[50:51], 0, v[22:23]
	global_load_ushort v3, v[58:59], off
	v_lshl_add_u64 v[58:59], v[52:53], 0, v[22:23]
	global_load_ushort v14, v[58:59], off
	s_waitcnt vmcnt(1)
	v_lshlrev_b32_e32 v6, 16, v3
	s_waitcnt vmcnt(0)
	v_lshlrev_b32_e32 v14, 16, v14
	s_or_b64 exec, exec, s[48:49]
	s_and_saveexec_b64 s[48:49], s[6:7]
	s_cbranch_execz .LBB115_36
.LBB115_43:                             ;   in Loop: Header=BB115_5 Depth=1
	v_lshl_add_u64 v[58:59], v[46:47], 0, v[22:23]
	global_load_ushort v3, v[58:59], off
	v_lshl_add_u64 v[58:59], v[48:49], 0, v[22:23]
	global_load_ushort v15, v[58:59], off
	s_waitcnt vmcnt(1)
	v_lshlrev_b32_e32 v7, 16, v3
	s_waitcnt vmcnt(0)
	v_lshlrev_b32_e32 v15, 16, v15
	s_or_b64 exec, exec, s[48:49]
	s_and_saveexec_b64 s[48:49], s[6:7]
	s_cbranch_execz .LBB115_37
.LBB115_44:                             ;   in Loop: Header=BB115_5 Depth=1
	v_lshl_add_u64 v[58:59], v[42:43], 0, v[22:23]
	global_load_ushort v3, v[58:59], off
	v_lshl_add_u64 v[58:59], v[44:45], 0, v[22:23]
	global_load_ushort v16, v[58:59], off
	s_waitcnt vmcnt(1)
	v_lshlrev_b32_e32 v8, 16, v3
	s_waitcnt vmcnt(0)
	v_lshlrev_b32_e32 v16, 16, v16
	s_or_b64 exec, exec, s[48:49]
	s_and_saveexec_b64 s[48:49], s[6:7]
	s_cbranch_execz .LBB115_38
.LBB115_45:                             ;   in Loop: Header=BB115_5 Depth=1
	v_lshl_add_u64 v[58:59], v[38:39], 0, v[22:23]
	global_load_ushort v3, v[58:59], off
	v_lshl_add_u64 v[58:59], v[40:41], 0, v[22:23]
	global_load_ushort v17, v[58:59], off
	s_waitcnt vmcnt(1)
	v_lshlrev_b32_e32 v9, 16, v3
	s_waitcnt vmcnt(0)
	v_lshlrev_b32_e32 v17, 16, v17
	s_or_b64 exec, exec, s[48:49]
	s_and_saveexec_b64 s[48:49], s[6:7]
	s_cbranch_execz .LBB115_39
.LBB115_46:                             ;   in Loop: Header=BB115_5 Depth=1
	v_lshl_add_u64 v[58:59], v[34:35], 0, v[22:23]
	global_load_ushort v3, v[58:59], off
	v_lshl_add_u64 v[58:59], v[36:37], 0, v[22:23]
	global_load_ushort v18, v[58:59], off
	s_waitcnt vmcnt(1)
	v_lshlrev_b32_e32 v10, 16, v3
	s_waitcnt vmcnt(0)
	v_lshlrev_b32_e32 v18, 16, v18
	s_or_b64 exec, exec, s[48:49]
	s_and_saveexec_b64 s[48:49], s[6:7]
	s_cbranch_execz .LBB115_3
.LBB115_47:                             ;   in Loop: Header=BB115_5 Depth=1
	v_lshl_add_u64 v[58:59], v[30:31], 0, v[22:23]
	global_load_ushort v3, v[58:59], off
	v_lshl_add_u64 v[58:59], v[32:33], 0, v[22:23]
	global_load_ushort v19, v[58:59], off
	s_waitcnt vmcnt(1)
	v_lshlrev_b32_e32 v11, 16, v3
	s_waitcnt vmcnt(0)
	v_lshlrev_b32_e32 v19, 16, v19
	s_branch .LBB115_3
.LBB115_48:
                                        ; implicit-def: $vgpr27
	s_branch .LBB115_50
.LBB115_49:
	s_cbranch_execnz .LBB115_81
.LBB115_50:
	v_mov_b32_e32 v27, 0
	s_and_b64 vcc, exec, s[4:5]
	v_mov_b32_e32 v26, v27
	s_cbranch_vccnz .LBB115_81
; %bb.51:
	v_mov_b32_e32 v2, 0
	v_bfe_u32 v90, v0, 10, 10
	v_lshlrev_b32_e32 v6, 4, v90
	v_mov_b32_e32 v7, v2
	v_lshl_add_u64 v[6:7], s[20:21], 1, v[6:7]
	v_lshl_add_u64 v[8:9], v[6:7], 0, 2
	v_mov_b64_e32 v[10:11], s[12:13]
	v_lshl_add_u64 v[12:13], v[6:7], 0, 4
	v_lshl_add_u64 v[14:15], v[6:7], 0, 6
	;; [unrolled: 1-line block ×6, first 2 shown]
	v_mad_u64_u32 v[22:23], s[4:5], s10, v8, v[10:11]
	v_mad_u64_u32 v[24:25], s[4:5], s10, v12, v[10:11]
	;; [unrolled: 1-line block ×7, first 2 shown]
	v_mov_b64_e32 v[10:11], s[14:15]
	v_mul_lo_u32 v9, s10, v9
	v_mul_lo_u32 v40, s11, v8
	v_mad_u64_u32 v[38:39], s[4:5], s10, v8, v[10:11]
	v_add3_u32 v23, v40, v23, v9
	v_mul_lo_u32 v13, s10, v13
	v_mul_lo_u32 v42, s11, v12
	v_add3_u32 v39, v40, v39, v9
	v_mad_u64_u32 v[40:41], s[4:5], s10, v12, v[10:11]
	v_add3_u32 v25, v42, v25, v13
	v_mul_lo_u32 v15, s10, v15
	v_mul_lo_u32 v44, s11, v14
	v_add3_u32 v41, v42, v41, v13
	v_mad_u64_u32 v[42:43], s[4:5], s10, v14, v[10:11]
	v_add3_u32 v29, v44, v29, v15
	v_mul_lo_u32 v17, s10, v17
	v_mul_lo_u32 v46, s11, v16
	v_add3_u32 v43, v44, v43, v15
	v_mad_u64_u32 v[44:45], s[4:5], s10, v16, v[10:11]
	v_add3_u32 v31, v46, v31, v17
	v_mul_lo_u32 v19, s10, v19
	v_mul_lo_u32 v48, s11, v18
	v_add3_u32 v45, v46, v45, v17
	v_mad_u64_u32 v[46:47], s[4:5], s10, v18, v[10:11]
	v_lshlrev_b32_e32 v20, 3, v90
	v_mov_b32_e32 v21, v2
	v_add3_u32 v33, v48, v33, v19
	v_mul_lo_u32 v27, s10, v27
	v_mul_lo_u32 v50, s11, v26
	v_add3_u32 v47, v48, v47, v19
	v_mad_u64_u32 v[48:49], s[4:5], s10, v26, v[10:11]
	v_lshl_add_u64 v[4:5], v[20:21], 0, s[20:21]
	v_add3_u32 v35, v50, v35, v27
	v_mul_lo_u32 v7, s10, v7
	v_mul_lo_u32 v8, s11, v6
	v_add3_u32 v49, v50, v49, v27
	v_mad_u64_u32 v[50:51], s[4:5], s10, v6, v[10:11]
	v_add3_u32 v37, v8, v37, v7
	v_add3_u32 v51, v8, v51, v7
	v_lshl_add_u64 v[6:7], v[4:5], 0, 7
	v_mul_lo_u32 v8, s11, v6
	v_mul_lo_u32 v9, s10, v7
	v_mad_u64_u32 v[6:7], s[4:5], s10, v6, 0
	v_add3_u32 v7, v7, v9, v8
	v_lshl_add_u64 v[8:9], v[4:5], 0, 6
	v_mul_lo_u32 v10, s11, v8
	v_mul_lo_u32 v11, s10, v9
	v_mad_u64_u32 v[8:9], s[4:5], s10, v8, 0
	;; [unrolled: 5-line block ×5, first 2 shown]
	v_add3_u32 v15, v15, v17, v16
	v_lshl_add_u64 v[16:17], v[4:5], 0, 2
	v_mul_lo_u32 v52, s10, v5
	v_mul_lo_u32 v5, s11, v16
	;; [unrolled: 1-line block ×3, first 2 shown]
	v_mad_u64_u32 v[16:17], s[4:5], s10, v16, 0
	v_add3_u32 v17, v17, v18, v5
	v_mov_b64_e32 v[18:19], s[10:11]
	v_mul_lo_u32 v3, s11, v4
	v_mad_u64_u32 v[18:19], s[4:5], s10, v4, v[18:19]
	v_mad_u64_u32 v[4:5], s[4:5], s10, v4, 0
	s_load_dword s3, s[0:1], 0x44
	v_add3_u32 v5, v5, v52, v3
	v_lshlrev_b64 v[4:5], 1, v[4:5]
	v_lshl_add_u64 v[54:55], s[12:13], 0, v[4:5]
	v_lshl_add_u64 v[56:57], s[14:15], 0, v[4:5]
	v_lshlrev_b64 v[4:5], 1, v[6:7]
	v_lshl_add_u64 v[58:59], s[12:13], 0, v[4:5]
	v_lshl_add_u64 v[60:61], s[14:15], 0, v[4:5]
	v_lshlrev_b64 v[4:5], 1, v[8:9]
	s_add_u32 s4, s0, 64
	v_lshl_add_u64 v[62:63], s[12:13], 0, v[4:5]
	v_lshl_add_u64 v[64:65], s[14:15], 0, v[4:5]
	v_lshlrev_b64 v[4:5], 1, v[10:11]
	s_addc_u32 s5, s1, 0
	s_waitcnt lgkmcnt(0)
	s_lshl_b32 s3, s3, 8
	v_lshl_add_u64 v[66:67], s[12:13], 0, v[4:5]
	v_lshl_add_u64 v[68:69], s[14:15], 0, v[4:5]
	v_lshlrev_b64 v[4:5], 1, v[12:13]
	s_mul_i32 s6, s11, s3
	s_mul_hi_u32 s7, s10, s3
	v_lshl_add_u64 v[70:71], s[12:13], 0, v[4:5]
	v_lshl_add_u64 v[72:73], s[14:15], 0, v[4:5]
	v_lshlrev_b64 v[4:5], 1, v[14:15]
	v_add3_u32 v19, v3, v19, v52
	s_add_i32 s7, s7, s6
	s_mul_i32 s6, s10, s3
	v_lshl_add_u64 v[74:75], s[12:13], 0, v[4:5]
	v_lshl_add_u64 v[76:77], s[14:15], 0, v[4:5]
	v_lshlrev_b64 v[4:5], 1, v[16:17]
	v_mbcnt_lo_u32_b32 v3, -1, 0
	v_and_b32_e32 v1, 0x3ff, v0
	s_lshl_b64 s[6:7], s[6:7], 1
	v_lshl_add_u64 v[78:79], s[12:13], 0, v[4:5]
	v_lshl_add_u64 v[80:81], s[14:15], 0, v[4:5]
	v_lshlrev_b64 v[4:5], 1, v[18:19]
	v_mbcnt_hi_u32_b32 v3, -1, v3
	v_add_u32_e32 v26, s33, v1
	v_mov_b32_e32 v27, v2
	s_add_u32 s22, s20, 0xff
	v_lshl_add_u64 v[82:83], s[12:13], 0, v[4:5]
	v_lshl_add_u64 v[84:85], s[14:15], 0, v[4:5]
	s_movk_i32 s12, 0xff01
	s_movk_i32 s14, 0xff02
	s_movk_i32 s24, 0xff03
	s_movk_i32 s26, 0xff04
	s_movk_i32 s28, 0xff05
	s_movk_i32 s30, 0xff06
	s_movk_i32 s34, 0xff07
	s_movk_i32 s36, 0xff08
	v_lshlrev_b32_e32 v3, 2, v3
	v_lshlrev_b64 v[52:53], 1, v[26:27]
	s_addc_u32 s23, 0, 0
	s_mov_b32 s13, -1
	s_mov_b32 s15, -1
	;; [unrolled: 1-line block ×8, first 2 shown]
	v_and_b32_e32 v91, 0x100, v3
	v_mov_b32_e32 v26, 0
	s_branch .LBB115_55
.LBB115_52:                             ;   in Loop: Header=BB115_55 Depth=1
	s_or_b64 exec, exec, s[40:41]
.LBB115_53:                             ;   in Loop: Header=BB115_55 Depth=1
	s_or_b64 exec, exec, s[38:39]
	v_lshl_add_u64 v[4:5], v[54:55], 0, v[52:53]
	global_load_ushort v7, v[4:5], off
	v_lshl_add_u64 v[4:5], v[56:57], 0, v[52:53]
	global_load_ushort v8, v[4:5], off
	;; [unrolled: 2-line block ×16, first 2 shown]
	s_waitcnt vmcnt(17)
	ds_bpermute_b32 v89, v91, v6
	ds_bpermute_b32 v93, v91, v6 offset:4
	s_waitcnt vmcnt(16)
	ds_bpermute_b32 v88, v91, v3
	ds_bpermute_b32 v95, v91, v6 offset:8
	ds_bpermute_b32 v92, v91, v3 offset:4
	;; [unrolled: 1-line block ×13, first 2 shown]
	s_waitcnt vmcnt(15)
	v_lshlrev_b32_e32 v4, 16, v7
	s_waitcnt vmcnt(14)
	v_lshlrev_b32_e32 v7, 16, v8
	;; [unrolled: 2-line block ×16, first 2 shown]
	s_waitcnt lgkmcnt(14)
	v_sub_f32_e32 v5, v7, v89
	v_sub_f32_e32 v7, v9, v93
	v_mul_f32_e32 v5, v5, v4
	s_waitcnt lgkmcnt(12)
	v_sub_f32_e32 v9, v11, v95
	v_mul_f32_e32 v7, v7, v6
	v_mul_f32_e32 v5, v5, v88
	s_waitcnt lgkmcnt(10)
	v_sub_f32_e32 v11, v13, v97
	v_mul_f32_e32 v9, v9, v8
	v_mul_f32_e32 v7, v7, v92
	v_pk_add_f32 v[4:5], v[86:87], v[4:5]
	s_waitcnt lgkmcnt(8)
	v_sub_f32_e32 v13, v15, v99
	v_mul_f32_e32 v11, v11, v10
	v_mul_f32_e32 v9, v9, v94
	v_pk_add_f32 v[4:5], v[4:5], v[6:7]
	;; [unrolled: 5-line block ×3, first 2 shown]
	s_waitcnt lgkmcnt(5)
	v_sub_f32_e32 v17, v19, v103
	v_mul_f32_e32 v15, v15, v14
	s_waitcnt lgkmcnt(3)
	v_mul_f32_e32 v13, v13, v98
	v_pk_add_f32 v[4:5], v[4:5], v[10:11]
	v_mul_f32_e32 v17, v17, v16
	s_waitcnt lgkmcnt(2)
	v_mul_f32_e32 v15, v15, v100
	v_pk_add_f32 v[4:5], v[4:5], v[12:13]
	v_sub_f32_e32 v6, v26, v104
	s_waitcnt lgkmcnt(1)
	v_mul_f32_e32 v17, v17, v102
	v_pk_add_f32 v[4:5], v[4:5], v[14:15]
	v_mul_f32_e32 v6, v6, v18
	v_pk_add_f32 v[4:5], v[4:5], v[16:17]
	s_waitcnt lgkmcnt(0)
	v_mul_f32_e32 v19, v6, v3
	v_pk_add_f32 v[26:27], v[4:5], v[18:19]
.LBB115_54:                             ;   in Loop: Header=BB115_55 Depth=1
	s_add_u32 s20, s20, s3
	s_addc_u32 s21, s21, 0
	v_mov_b64_e32 v[4:5], s[8:9]
	s_add_u32 s22, s22, s3
	v_cmp_ge_i64_e32 vcc, s[20:21], v[4:5]
	v_lshl_add_u64 v[54:55], v[54:55], 0, s[6:7]
	v_lshl_add_u64 v[56:57], v[56:57], 0, s[6:7]
	s_addc_u32 s23, s23, 0
	v_lshl_add_u64 v[22:23], v[22:23], 0, s[6:7]
	v_lshl_add_u64 v[24:25], v[24:25], 0, s[6:7]
	;; [unrolled: 1-line block ×28, first 2 shown]
	s_cbranch_vccnz .LBB115_81
.LBB115_55:                             ; =>This Inner Loop Header: Depth=1
	v_mov_b64_e32 v[4:5], s[8:9]
	v_cmp_ge_i64_e32 vcc, s[22:23], v[4:5]
	v_mov_b32_e32 v86, v26
	v_mov_b32_e32 v87, v27
	v_lshl_add_u64 v[88:89], v[20:21], 0, s[22:23]
	s_mov_b64 s[38:39], -1
                                        ; implicit-def: $vgpr27
	s_cbranch_vccz .LBB115_77
; %bb.56:                               ;   in Loop: Header=BB115_55 Depth=1
	s_load_dword s33, s[4:5], 0xc
	v_mov_b32_e32 v26, 0
	v_mov_b32_e32 v27, 0
	s_waitcnt lgkmcnt(0)
	s_and_b32 s33, s33, 0xffff
	v_mad_u32_u24 v3, v90, s33, v1
	v_and_b32_e32 v4, 63, v3
	v_cmp_gt_u32_e32 vcc, 8, v4
	s_and_saveexec_b64 s[38:39], vcc
	s_cbranch_execz .LBB115_60
; %bb.57:                               ;   in Loop: Header=BB115_55 Depth=1
	v_mov_b32_e32 v5, v2
	v_lshl_add_u64 v[4:5], v[88:89], 0, v[4:5]
	v_lshl_add_u64 v[4:5], v[4:5], 0, s[12:13]
	v_cmp_gt_i64_e32 vcc, s[8:9], v[4:5]
	v_mov_b32_e32 v27, 0
	v_mov_b32_e32 v26, 0
	s_and_saveexec_b64 s[40:41], vcc
	s_cbranch_execz .LBB115_59
; %bb.58:                               ;   in Loop: Header=BB115_55 Depth=1
	v_lshlrev_b64 v[4:5], 2, v[4:5]
	v_lshl_add_u64 v[6:7], s[18:19], 0, v[4:5]
	v_lshl_add_u64 v[4:5], s[16:17], 0, v[4:5]
	global_load_dword v27, v[4:5], off
	global_load_dword v26, v[6:7], off
.LBB115_59:                             ;   in Loop: Header=BB115_55 Depth=1
	s_or_b64 exec, exec, s[40:41]
.LBB115_60:                             ;   in Loop: Header=BB115_55 Depth=1
	s_or_b64 exec, exec, s[38:39]
	v_lshl_add_u64 v[4:5], v[88:89], 0, s[12:13]
	v_mov_b32_e32 v8, v2
	v_mov_b32_e32 v9, v2
	v_cmp_gt_i64_e32 vcc, s[8:9], v[4:5]
	v_mov_b32_e32 v3, v2
	v_mov_b32_e32 v4, v2
	;; [unrolled: 1-line block ×5, first 2 shown]
	v_mov_b64_e32 v[18:19], v[8:9]
	v_mov_b64_e32 v[16:17], v[6:7]
	;; [unrolled: 1-line block ×8, first 2 shown]
	s_and_saveexec_b64 s[38:39], vcc
	s_cbranch_execz .LBB115_62
; %bb.61:                               ;   in Loop: Header=BB115_55 Depth=1
	v_lshl_add_u64 v[4:5], v[54:55], 0, v[52:53]
	global_load_ushort v3, v[4:5], off
	v_lshl_add_u64 v[4:5], v[56:57], 0, v[52:53]
	global_load_ushort v12, v[4:5], off
	v_mov_b32_e32 v5, v2
	v_mov_b32_e32 v6, v2
	;; [unrolled: 1-line block ×14, first 2 shown]
	s_waitcnt vmcnt(1)
	v_lshlrev_b32_e32 v4, 16, v3
	s_waitcnt vmcnt(0)
	v_lshlrev_b32_e32 v12, 16, v12
.LBB115_62:                             ;   in Loop: Header=BB115_55 Depth=1
	s_or_b64 exec, exec, s[38:39]
	v_lshl_add_u64 v[92:93], v[88:89], 0, s[14:15]
	v_cmp_gt_i64_e32 vcc, s[8:9], v[92:93]
	s_and_saveexec_b64 s[38:39], vcc
	s_cbranch_execz .LBB115_64
; %bb.63:                               ;   in Loop: Header=BB115_55 Depth=1
	v_lshl_add_u64 v[92:93], v[82:83], 0, v[52:53]
	global_load_ushort v3, v[92:93], off
	v_lshl_add_u64 v[92:93], v[84:85], 0, v[52:53]
	global_load_ushort v13, v[92:93], off
	s_waitcnt vmcnt(1)
	v_lshlrev_b32_e32 v5, 16, v3
	s_waitcnt vmcnt(0)
	v_lshlrev_b32_e32 v13, 16, v13
.LBB115_64:                             ;   in Loop: Header=BB115_55 Depth=1
	s_or_b64 exec, exec, s[38:39]
	v_lshl_add_u64 v[92:93], v[88:89], 0, s[24:25]
	v_cmp_gt_i64_e32 vcc, s[8:9], v[92:93]
	s_and_saveexec_b64 s[38:39], vcc
	s_cbranch_execz .LBB115_66
; %bb.65:                               ;   in Loop: Header=BB115_55 Depth=1
	v_lshl_add_u64 v[92:93], v[78:79], 0, v[52:53]
	global_load_ushort v3, v[92:93], off
	v_lshl_add_u64 v[92:93], v[80:81], 0, v[52:53]
	global_load_ushort v14, v[92:93], off
	s_waitcnt vmcnt(1)
	v_lshlrev_b32_e32 v6, 16, v3
	s_waitcnt vmcnt(0)
	v_lshlrev_b32_e32 v14, 16, v14
.LBB115_66:                             ;   in Loop: Header=BB115_55 Depth=1
	;; [unrolled: 15-line block ×7, first 2 shown]
	s_or_b64 exec, exec, s[38:39]
	s_waitcnt vmcnt(1)
	ds_bpermute_b32 v3, v91, v27
	s_waitcnt vmcnt(0)
	ds_bpermute_b32 v92, v91, v26
	ds_bpermute_b32 v95, v91, v27 offset:4
	ds_bpermute_b32 v94, v91, v26 offset:4
	;; [unrolled: 1-line block ×3, first 2 shown]
	s_waitcnt lgkmcnt(4)
	v_sub_f32_e32 v3, v12, v3
	v_mul_f32_e32 v3, v4, v3
	ds_bpermute_b32 v12, v91, v26 offset:8
	s_waitcnt lgkmcnt(4)
	v_mul_f32_e32 v93, v3, v92
	s_waitcnt lgkmcnt(3)
	v_sub_f32_e32 v3, v13, v95
	v_mul_f32_e32 v3, v5, v3
	s_waitcnt lgkmcnt(2)
	v_mul_f32_e32 v13, v3, v94
	s_waitcnt lgkmcnt(1)
	v_sub_f32_e32 v3, v14, v96
	ds_bpermute_b32 v14, v91, v27 offset:12
	v_mul_f32_e32 v3, v6, v3
	s_waitcnt lgkmcnt(1)
	v_mul_f32_e32 v95, v3, v12
	ds_bpermute_b32 v3, v91, v26 offset:12
	ds_bpermute_b32 v12, v91, v27 offset:16
	;; [unrolled: 1-line block ×3, first 2 shown]
	s_waitcnt lgkmcnt(3)
	v_sub_f32_e32 v14, v15, v14
	v_mul_f32_e32 v14, v7, v14
	s_waitcnt lgkmcnt(2)
	v_mul_f32_e32 v15, v14, v3
	s_waitcnt lgkmcnt(1)
	v_sub_f32_e32 v3, v16, v12
	ds_bpermute_b32 v12, v91, v27 offset:20
	v_mul_f32_e32 v3, v8, v3
	s_waitcnt lgkmcnt(1)
	v_mul_f32_e32 v97, v3, v92
	ds_bpermute_b32 v3, v91, v26 offset:20
	ds_bpermute_b32 v14, v91, v27 offset:24
	;; [unrolled: 1-line block ×3, first 2 shown]
	s_waitcnt lgkmcnt(3)
	v_sub_f32_e32 v12, v17, v12
	v_mul_f32_e32 v12, v9, v12
	s_waitcnt lgkmcnt(2)
	v_mul_f32_e32 v17, v12, v3
	s_waitcnt lgkmcnt(1)
	v_sub_f32_e32 v3, v18, v14
	v_mul_f32_e32 v3, v10, v3
	s_waitcnt lgkmcnt(0)
	v_mul_f32_e32 v99, v3, v16
	v_mov_b32_e32 v92, v4
	ds_bpermute_b32 v3, v91, v27 offset:28
	v_pk_add_f32 v[92:93], v[86:87], v[92:93]
	v_mov_b32_e32 v12, v5
	v_pk_add_f32 v[4:5], v[12:13], v[92:93]
	v_mov_b32_e32 v94, v6
	ds_bpermute_b32 v6, v91, v26 offset:28
	v_pk_add_f32 v[4:5], v[94:95], v[4:5]
	v_mov_b32_e32 v14, v7
	v_pk_add_f32 v[4:5], v[14:15], v[4:5]
	v_mov_b32_e32 v96, v8
	;; [unrolled: 2-line block ×3, first 2 shown]
	s_waitcnt lgkmcnt(1)
	v_sub_f32_e32 v3, v19, v3
	v_pk_add_f32 v[4:5], v[16:17], v[4:5]
	v_mov_b32_e32 v98, v10
	v_mul_f32_e32 v3, v11, v3
	v_pk_add_f32 v[4:5], v[98:99], v[4:5]
	s_waitcnt lgkmcnt(0)
	v_mul_f32_e32 v7, v3, v6
	v_mov_b32_e32 v6, v11
	v_pk_add_f32 v[26:27], v[6:7], v[4:5]
	s_mov_b64 s[38:39], 0
.LBB115_77:                             ;   in Loop: Header=BB115_55 Depth=1
	s_and_b64 vcc, exec, s[38:39]
	s_cbranch_vccz .LBB115_54
; %bb.78:                               ;   in Loop: Header=BB115_55 Depth=1
	s_load_dword s33, s[4:5], 0x0
	v_mov_b32_e32 v3, 0
	v_mov_b32_e32 v6, 0
	s_waitcnt lgkmcnt(0)
	s_cmp_lt_u32 s2, s33
	s_cselect_b32 s33, 12, 18
	s_add_u32 s38, s4, s33
	s_addc_u32 s39, s5, 0
	global_load_ushort v4, v2, s[38:39]
	s_waitcnt vmcnt(0)
	v_mad_u32_u24 v4, v90, v4, v1
	v_and_b32_e32 v4, 63, v4
	v_cmp_gt_u32_e32 vcc, 8, v4
	s_and_saveexec_b64 s[38:39], vcc
	s_cbranch_execz .LBB115_53
; %bb.79:                               ;   in Loop: Header=BB115_55 Depth=1
	v_mov_b32_e32 v5, v2
	v_lshl_add_u64 v[4:5], v[88:89], 0, v[4:5]
	v_lshl_add_u64 v[4:5], v[4:5], 0, s[12:13]
	v_cmp_gt_i64_e32 vcc, s[8:9], v[4:5]
	v_mov_b32_e32 v6, 0
	v_mov_b32_e32 v3, 0
	s_and_saveexec_b64 s[40:41], vcc
	s_cbranch_execz .LBB115_52
; %bb.80:                               ;   in Loop: Header=BB115_55 Depth=1
	v_lshlrev_b64 v[4:5], 2, v[4:5]
	v_lshl_add_u64 v[8:9], s[18:19], 0, v[4:5]
	v_lshl_add_u64 v[4:5], s[16:17], 0, v[4:5]
	global_load_dword v6, v[4:5], off
	global_load_dword v3, v[8:9], off
	s_branch .LBB115_52
.LBB115_81:
	v_and_b32_e32 v1, 0x3ff, v0
	v_bfe_u32 v0, v0, 10, 10
	v_mad_u32_u24 v2, v0, 33, v1
	v_sub_u32_e32 v7, v2, v0
	s_movk_i32 s3, 0x800
	v_lshl_add_u32 v3, v2, 2, 0
	v_cmp_gt_u32_e32 vcc, s3, v7
	ds_write_b32 v3, v27
	ds_write_b32 v3, v26 offset:4224
	s_waitcnt lgkmcnt(0)
	s_barrier
	s_and_saveexec_b64 s[4:5], vcc
	s_cbranch_execz .LBB115_97
; %bb.82:
	s_load_dwordx4 s[12:15], s[0:1], 0x30
	v_and_b32_e32 v2, 63, v7
	v_lshrrev_b32_e32 v0, 6, v7
	v_cmp_gt_u32_e64 s[4:5], 32, v2
	v_mul_u32_u24_e32 v6, 33, v2
                                        ; implicit-def: $vgpr2
	s_and_saveexec_b64 s[0:1], s[4:5]
	s_cbranch_execz .LBB115_84
; %bb.83:
	v_add_u32_e32 v2, v0, v6
	v_lshl_add_u32 v2, v2, 2, 0
	ds_read_b32 v3, v2
	ds_read_b32 v2, v2 offset:4224
.LBB115_84:
	s_or_b64 exec, exec, s[0:1]
	v_mbcnt_lo_u32_b32 v4, -1, 0
	v_mbcnt_hi_u32_b32 v12, -1, v4
	v_and_b32_e32 v4, 64, v12
	v_add_u32_e32 v13, 64, v4
	v_cmp_eq_u32_e64 s[0:1], 0, v1
	v_xor_b32_e32 v1, 16, v12
	v_cmp_lt_i32_e32 vcc, v1, v13
	s_mov_b32 s3, 0
	s_lshl_b64 s[2:3], s[2:3], 5
	v_cndmask_b32_e32 v1, v12, v1, vcc
	v_lshlrev_b32_e32 v8, 2, v1
	s_waitcnt lgkmcnt(0)
	ds_bpermute_b32 v5, v8, v3
	ds_bpermute_b32 v4, v8, v2
	v_xor_b32_e32 v1, 8, v12
	v_cmp_lt_i32_e32 vcc, v1, v13
	s_cmp_lg_u64 s[12:13], 0
	s_cselect_b64 s[8:9], -1, 0
	v_cndmask_b32_e32 v1, v12, v1, vcc
	v_lshlrev_b32_e32 v9, 2, v1
	s_waitcnt lgkmcnt(0)
	v_pk_add_f32 v[2:3], v[2:3], v[4:5]
	ds_bpermute_b32 v5, v9, v3
	ds_bpermute_b32 v4, v9, v2
	v_xor_b32_e32 v1, 4, v12
	v_cmp_lt_i32_e32 vcc, v1, v13
	s_cmp_lg_u64 s[14:15], 0
	s_cselect_b64 s[6:7], -1, 0
	v_cndmask_b32_e32 v1, v12, v1, vcc
	v_lshlrev_b32_e32 v10, 2, v1
	s_waitcnt lgkmcnt(0)
	v_pk_add_f32 v[2:3], v[2:3], v[4:5]
	ds_bpermute_b32 v5, v10, v3
	ds_bpermute_b32 v4, v10, v2
	v_xor_b32_e32 v1, 2, v12
	v_cmp_lt_i32_e32 vcc, v1, v13
	s_waitcnt lgkmcnt(0)
	v_pk_add_f32 v[2:3], v[2:3], v[4:5]
	v_cndmask_b32_e32 v1, v12, v1, vcc
	v_lshlrev_b32_e32 v11, 2, v1
	ds_bpermute_b32 v5, v11, v3
	ds_bpermute_b32 v4, v11, v2
	v_xor_b32_e32 v1, 1, v12
	v_cmp_lt_i32_e32 vcc, v1, v13
	s_waitcnt lgkmcnt(0)
	v_pk_add_f32 v[2:3], v[2:3], v[4:5]
	v_cndmask_b32_e32 v1, v12, v1, vcc
	v_lshlrev_b32_e32 v12, 2, v1
	ds_bpermute_b32 v5, v12, v3
	ds_bpermute_b32 v4, v12, v2
	v_mov_b32_e32 v1, 0
	s_waitcnt lgkmcnt(0)
	v_pk_add_f32 v[2:3], v[2:3], v[4:5]
	v_or_b32_e32 v4, s2, v0
	v_mov_b32_e32 v5, s3
	v_cmp_gt_i64_e32 vcc, s[10:11], v[4:5]
	s_and_b64 s[18:19], s[0:1], vcc
	s_and_saveexec_b64 s[16:17], s[18:19]
	s_cbranch_execz .LBB115_89
; %bb.85:
	s_andn2_b64 vcc, exec, s[8:9]
	s_cbranch_vccnz .LBB115_87
; %bb.86:
	v_bfe_u32 v13, v3, 16, 1
	s_movk_i32 s18, 0x7fff
	v_add3_u32 v13, v3, v13, s18
	v_cmp_o_f32_e32 vcc, v3, v3
	v_mov_b32_e32 v14, 0x7fc0
	s_nop 0
	v_cndmask_b32_sdwa v13, v14, v13, vcc dst_sel:DWORD dst_unused:UNUSED_PAD src0_sel:DWORD src1_sel:WORD_1
	v_lshl_add_u64 v[14:15], v[4:5], 1, s[12:13]
	global_store_short v[14:15], v13, off
.LBB115_87:
	s_andn2_b64 vcc, exec, s[6:7]
	s_cbranch_vccnz .LBB115_89
; %bb.88:
	v_bfe_u32 v13, v2, 16, 1
	s_movk_i32 s18, 0x7fff
	v_add3_u32 v13, v2, v13, s18
	v_cmp_o_f32_e32 vcc, v2, v2
	v_mov_b32_e32 v14, 0x7fc0
	v_lshl_add_u64 v[4:5], v[4:5], 1, s[14:15]
	v_cndmask_b32_sdwa v13, v14, v13, vcc dst_sel:DWORD dst_unused:UNUSED_PAD src0_sel:DWORD src1_sel:WORD_1
	global_store_short v[4:5], v13, off
.LBB115_89:
	s_or_b64 exec, exec, s[16:17]
	s_movk_i32 s16, 0x400
	v_cmp_gt_u32_e32 vcc, s16, v7
	s_and_b64 exec, exec, vcc
	s_cbranch_execz .LBB115_97
; %bb.90:
	s_and_saveexec_b64 s[16:17], s[4:5]
	s_cbranch_execz .LBB115_92
; %bb.91:
	v_add_u32_e32 v2, v0, v6
	v_lshl_add_u32 v2, v2, 2, 0
	ds_read_b32 v3, v2 offset:64
	ds_read_b32 v2, v2 offset:4288
.LBB115_92:
	s_or_b64 exec, exec, s[16:17]
	s_waitcnt lgkmcnt(1)
	ds_bpermute_b32 v4, v8, v3
	s_waitcnt lgkmcnt(1)
	ds_bpermute_b32 v5, v8, v2
	v_add_u32_e32 v6, 16, v0
	v_or_b32_e32 v6, s2, v6
	v_mov_b32_e32 v7, s3
	s_waitcnt lgkmcnt(1)
	v_add_f32_e32 v3, v3, v4
	s_waitcnt lgkmcnt(0)
	v_add_f32_e32 v2, v2, v5
	ds_bpermute_b32 v4, v9, v3
	ds_bpermute_b32 v5, v9, v2
	v_cmp_gt_i64_e32 vcc, s[10:11], v[6:7]
	s_and_b64 s[0:1], s[0:1], vcc
	s_waitcnt lgkmcnt(1)
	v_add_f32_e32 v3, v3, v4
	s_waitcnt lgkmcnt(0)
	v_add_f32_e32 v2, v2, v5
	ds_bpermute_b32 v4, v10, v3
	ds_bpermute_b32 v5, v10, v2
	s_waitcnt lgkmcnt(1)
	v_add_f32_e32 v3, v3, v4
	s_waitcnt lgkmcnt(0)
	v_add_f32_e32 v2, v2, v5
	ds_bpermute_b32 v4, v11, v3
	ds_bpermute_b32 v5, v11, v2
	;; [unrolled: 6-line block ×3, first 2 shown]
	s_and_b64 exec, exec, s[0:1]
	s_cbranch_execz .LBB115_97
; %bb.93:
	s_andn2_b64 vcc, exec, s[8:9]
	v_lshl_add_u64 v[0:1], s[2:3], 0, v[0:1]
	s_cbranch_vccnz .LBB115_95
; %bb.94:
	s_waitcnt lgkmcnt(1)
	v_add_f32_e32 v4, v4, v5
	v_bfe_u32 v5, v4, 16, 1
	s_movk_i32 s0, 0x7fff
	v_add3_u32 v5, v4, v5, s0
	v_cmp_o_f32_e32 vcc, v4, v4
	v_mov_b32_e32 v4, 0x7fc0
	s_nop 0
	v_cndmask_b32_sdwa v6, v4, v5, vcc dst_sel:DWORD dst_unused:UNUSED_PAD src0_sel:DWORD src1_sel:WORD_1
	v_lshl_add_u64 v[4:5], v[0:1], 1, s[12:13]
	global_store_short v[4:5], v6, off offset:32
.LBB115_95:
	s_andn2_b64 vcc, exec, s[6:7]
	s_cbranch_vccnz .LBB115_97
; %bb.96:
	s_waitcnt lgkmcnt(0)
	v_add_f32_e32 v2, v2, v3
	v_bfe_u32 v3, v2, 16, 1
	s_movk_i32 s0, 0x7fff
	v_add3_u32 v3, v2, v3, s0
	v_cmp_o_f32_e32 vcc, v2, v2
	v_mov_b32_e32 v2, 0x7fc0
	v_lshl_add_u64 v[0:1], v[0:1], 1, s[14:15]
	v_cndmask_b32_sdwa v2, v2, v3, vcc dst_sel:DWORD dst_unused:UNUSED_PAD src0_sel:DWORD src1_sel:WORD_1
	global_store_short v[0:1], v2, off offset:32
.LBB115_97:
	s_endpgm
	.section	.rodata,"a",@progbits
	.p2align	6, 0x0
	.amdhsa_kernel _ZN2at6native12_GLOBAL__N_135GammaBetaBackwardCUDAKernelTemplateIN3c108BFloat16EfLj32ELj32ELj256ELb0ELb0ELb0EEEvllPKT_S7_PKT0_SA_PS5_SB_
		.amdhsa_group_segment_fixed_size 0
		.amdhsa_private_segment_fixed_size 0
		.amdhsa_kernarg_size 320
		.amdhsa_user_sgpr_count 2
		.amdhsa_user_sgpr_dispatch_ptr 0
		.amdhsa_user_sgpr_queue_ptr 0
		.amdhsa_user_sgpr_kernarg_segment_ptr 1
		.amdhsa_user_sgpr_dispatch_id 0
		.amdhsa_user_sgpr_kernarg_preload_length 0
		.amdhsa_user_sgpr_kernarg_preload_offset 0
		.amdhsa_user_sgpr_private_segment_size 0
		.amdhsa_uses_dynamic_stack 0
		.amdhsa_enable_private_segment 0
		.amdhsa_system_sgpr_workgroup_id_x 1
		.amdhsa_system_sgpr_workgroup_id_y 1
		.amdhsa_system_sgpr_workgroup_id_z 0
		.amdhsa_system_sgpr_workgroup_info 0
		.amdhsa_system_vgpr_workitem_id 1
		.amdhsa_next_free_vgpr 105
		.amdhsa_next_free_sgpr 52
		.amdhsa_accum_offset 108
		.amdhsa_reserve_vcc 1
		.amdhsa_float_round_mode_32 0
		.amdhsa_float_round_mode_16_64 0
		.amdhsa_float_denorm_mode_32 3
		.amdhsa_float_denorm_mode_16_64 3
		.amdhsa_dx10_clamp 1
		.amdhsa_ieee_mode 1
		.amdhsa_fp16_overflow 0
		.amdhsa_tg_split 0
		.amdhsa_exception_fp_ieee_invalid_op 0
		.amdhsa_exception_fp_denorm_src 0
		.amdhsa_exception_fp_ieee_div_zero 0
		.amdhsa_exception_fp_ieee_overflow 0
		.amdhsa_exception_fp_ieee_underflow 0
		.amdhsa_exception_fp_ieee_inexact 0
		.amdhsa_exception_int_div_zero 0
	.end_amdhsa_kernel
	.section	.text._ZN2at6native12_GLOBAL__N_135GammaBetaBackwardCUDAKernelTemplateIN3c108BFloat16EfLj32ELj32ELj256ELb0ELb0ELb0EEEvllPKT_S7_PKT0_SA_PS5_SB_,"axG",@progbits,_ZN2at6native12_GLOBAL__N_135GammaBetaBackwardCUDAKernelTemplateIN3c108BFloat16EfLj32ELj32ELj256ELb0ELb0ELb0EEEvllPKT_S7_PKT0_SA_PS5_SB_,comdat
.Lfunc_end115:
	.size	_ZN2at6native12_GLOBAL__N_135GammaBetaBackwardCUDAKernelTemplateIN3c108BFloat16EfLj32ELj32ELj256ELb0ELb0ELb0EEEvllPKT_S7_PKT0_SA_PS5_SB_, .Lfunc_end115-_ZN2at6native12_GLOBAL__N_135GammaBetaBackwardCUDAKernelTemplateIN3c108BFloat16EfLj32ELj32ELj256ELb0ELb0ELb0EEEvllPKT_S7_PKT0_SA_PS5_SB_
                                        ; -- End function
	.set _ZN2at6native12_GLOBAL__N_135GammaBetaBackwardCUDAKernelTemplateIN3c108BFloat16EfLj32ELj32ELj256ELb0ELb0ELb0EEEvllPKT_S7_PKT0_SA_PS5_SB_.num_vgpr, 105
	.set _ZN2at6native12_GLOBAL__N_135GammaBetaBackwardCUDAKernelTemplateIN3c108BFloat16EfLj32ELj32ELj256ELb0ELb0ELb0EEEvllPKT_S7_PKT0_SA_PS5_SB_.num_agpr, 0
	.set _ZN2at6native12_GLOBAL__N_135GammaBetaBackwardCUDAKernelTemplateIN3c108BFloat16EfLj32ELj32ELj256ELb0ELb0ELb0EEEvllPKT_S7_PKT0_SA_PS5_SB_.numbered_sgpr, 52
	.set _ZN2at6native12_GLOBAL__N_135GammaBetaBackwardCUDAKernelTemplateIN3c108BFloat16EfLj32ELj32ELj256ELb0ELb0ELb0EEEvllPKT_S7_PKT0_SA_PS5_SB_.num_named_barrier, 0
	.set _ZN2at6native12_GLOBAL__N_135GammaBetaBackwardCUDAKernelTemplateIN3c108BFloat16EfLj32ELj32ELj256ELb0ELb0ELb0EEEvllPKT_S7_PKT0_SA_PS5_SB_.private_seg_size, 0
	.set _ZN2at6native12_GLOBAL__N_135GammaBetaBackwardCUDAKernelTemplateIN3c108BFloat16EfLj32ELj32ELj256ELb0ELb0ELb0EEEvllPKT_S7_PKT0_SA_PS5_SB_.uses_vcc, 1
	.set _ZN2at6native12_GLOBAL__N_135GammaBetaBackwardCUDAKernelTemplateIN3c108BFloat16EfLj32ELj32ELj256ELb0ELb0ELb0EEEvllPKT_S7_PKT0_SA_PS5_SB_.uses_flat_scratch, 0
	.set _ZN2at6native12_GLOBAL__N_135GammaBetaBackwardCUDAKernelTemplateIN3c108BFloat16EfLj32ELj32ELj256ELb0ELb0ELb0EEEvllPKT_S7_PKT0_SA_PS5_SB_.has_dyn_sized_stack, 0
	.set _ZN2at6native12_GLOBAL__N_135GammaBetaBackwardCUDAKernelTemplateIN3c108BFloat16EfLj32ELj32ELj256ELb0ELb0ELb0EEEvllPKT_S7_PKT0_SA_PS5_SB_.has_recursion, 0
	.set _ZN2at6native12_GLOBAL__N_135GammaBetaBackwardCUDAKernelTemplateIN3c108BFloat16EfLj32ELj32ELj256ELb0ELb0ELb0EEEvllPKT_S7_PKT0_SA_PS5_SB_.has_indirect_call, 0
	.section	.AMDGPU.csdata,"",@progbits
; Kernel info:
; codeLenInByte = 7996
; TotalNumSgprs: 58
; NumVgprs: 105
; NumAgprs: 0
; TotalNumVgprs: 105
; ScratchSize: 0
; MemoryBound: 0
; FloatMode: 240
; IeeeMode: 1
; LDSByteSize: 0 bytes/workgroup (compile time only)
; SGPRBlocks: 7
; VGPRBlocks: 13
; NumSGPRsForWavesPerEU: 58
; NumVGPRsForWavesPerEU: 105
; AccumOffset: 108
; Occupancy: 4
; WaveLimiterHint : 0
; COMPUTE_PGM_RSRC2:SCRATCH_EN: 0
; COMPUTE_PGM_RSRC2:USER_SGPR: 2
; COMPUTE_PGM_RSRC2:TRAP_HANDLER: 0
; COMPUTE_PGM_RSRC2:TGID_X_EN: 1
; COMPUTE_PGM_RSRC2:TGID_Y_EN: 1
; COMPUTE_PGM_RSRC2:TGID_Z_EN: 0
; COMPUTE_PGM_RSRC2:TIDIG_COMP_CNT: 1
; COMPUTE_PGM_RSRC3_GFX90A:ACCUM_OFFSET: 26
; COMPUTE_PGM_RSRC3_GFX90A:TG_SPLIT: 0
	.section	.text._ZN2at6native12_GLOBAL__N_118cuComputeGradInputIddLb1EEEvPKT_S5_llPKT0_S8_S5_PS3_,"axG",@progbits,_ZN2at6native12_GLOBAL__N_118cuComputeGradInputIddLb1EEEvPKT_S5_llPKT0_S8_S5_PS3_,comdat
	.globl	_ZN2at6native12_GLOBAL__N_118cuComputeGradInputIddLb1EEEvPKT_S5_llPKT0_S8_S5_PS3_ ; -- Begin function _ZN2at6native12_GLOBAL__N_118cuComputeGradInputIddLb1EEEvPKT_S5_llPKT0_S8_S5_PS3_
	.p2align	8
	.type	_ZN2at6native12_GLOBAL__N_118cuComputeGradInputIddLb1EEEvPKT_S5_llPKT0_S8_S5_PS3_,@function
_ZN2at6native12_GLOBAL__N_118cuComputeGradInputIddLb1EEEvPKT_S5_llPKT0_S8_S5_PS3_: ; @_ZN2at6native12_GLOBAL__N_118cuComputeGradInputIddLb1EEEvPKT_S5_llPKT0_S8_S5_PS3_
; %bb.0:
	s_load_dwordx4 s[16:19], s[0:1], 0x10
	s_mov_b32 s14, s3
	s_ashr_i32 s15, s3, 31
	v_mov_b64_e32 v[2:3], s[14:15]
	s_waitcnt lgkmcnt(0)
	v_cmp_le_i64_e32 vcc, s[16:17], v[2:3]
	s_cbranch_vccnz .LBB116_49
; %bb.1:
	v_cvt_f64_i32_e32 v[2:3], s19
	v_ldexp_f64 v[2:3], v[2:3], 32
	v_cvt_f64_u32_e32 v[4:5], s18
	v_add_f64 v[2:3], v[2:3], v[4:5]
	s_load_dword s2, s[0:1], 0x4c
	s_load_dwordx4 s[20:23], s[0:1], 0x30
	s_load_dword s33, s[0:1], 0x44
	s_load_dwordx4 s[24:27], s[0:1], 0x0
	s_load_dwordx2 s[28:29], s[0:1], 0x28
	v_div_scale_f64 v[4:5], s[0:1], v[2:3], v[2:3], 1.0
	v_rcp_f64_e32 v[6:7], v[4:5]
	s_waitcnt lgkmcnt(0)
	s_lshr_b32 s46, s2, 16
	s_and_b32 s47, s2, 0xffff
	s_cmp_lg_u64 s[20:21], 0
	v_fma_f64 v[8:9], -v[4:5], v[6:7], 1.0
	v_fmac_f64_e32 v[6:7], v[6:7], v[8:9]
	v_fma_f64 v[8:9], -v[4:5], v[6:7], 1.0
	v_fmac_f64_e32 v[6:7], v[6:7], v[8:9]
	v_div_scale_f64 v[8:9], vcc, 1.0, v[2:3], 1.0
	v_and_b32_e32 v18, 0x3ff, v0
	v_bfe_u32 v19, v0, 10, 10
	s_cselect_b64 s[6:7], -1, 0
	s_cmp_gt_u32 s47, 1
	v_mul_f64 v[10:11], v[8:9], v[6:7]
	s_mul_i32 s30, s46, s47
	v_mad_u32_u24 v0, v19, s47, v18
	s_cselect_b64 s[34:35], -1, 0
	s_cmp_gt_u32 s46, 1
	v_fma_f64 v[4:5], -v[4:5], v[10:11], v[8:9]
	s_cselect_b64 s[36:37], -1, 0
	v_div_fmas_f64 v[4:5], v[4:5], v[6:7], v[10:11]
	v_add_u32_e32 v6, s30, v0
	s_ashr_i32 s31, s30, 31
	v_ashrrev_i32_e32 v7, 31, v6
	v_mov_b32_e32 v8, s31
	v_subrev_co_u32_e32 v6, vcc, s30, v6
	v_lshlrev_b32_e32 v12, 4, v0
	s_nop 0
	v_subb_co_u32_e32 v7, vcc, v7, v8, vcc
	v_cndmask_b32_e64 v8, 0, 1, s[6:7]
	v_cmp_gt_i64_e64 s[6:7], s[18:19], 0
	v_lshlrev_b32_e32 v13, 4, v18
	v_mov_b32_e32 v1, 0
	v_cndmask_b32_e64 v9, 0, 1, s[6:7]
	v_cmp_ne_u32_e64 s[6:7], 1, v8
	v_mbcnt_lo_u32_b32 v8, -1, 0
	v_cmp_eq_u32_e64 s[0:1], 0, v19
	v_cmp_ne_u32_e64 s[2:3], 0, v19
	v_div_fixup_f64 v[4:5], v[4:5], v[2:3], 1.0
	v_cmp_gt_i64_e64 s[4:5], s[18:19], v[0:1]
	v_add_u32_e32 v20, 0, v12
	v_cmp_ne_u32_e64 s[8:9], 1, v9
	v_mbcnt_hi_u32_b32 v21, -1, v8
	v_add_u32_e32 v22, 0, v13
	s_branch .LBB116_4
.LBB116_2:                              ;   in Loop: Header=BB116_4 Depth=1
	s_or_b64 exec, exec, s[12:13]
.LBB116_3:                              ;   in Loop: Header=BB116_4 Depth=1
	s_add_i32 s14, s33, s14
	s_ashr_i32 s15, s14, 31
	v_mov_b64_e32 v[8:9], s[14:15]
	v_cmp_le_i64_e32 vcc, s[16:17], v[8:9]
	s_barrier
	s_cbranch_vccnz .LBB116_49
.LBB116_4:                              ; =>This Loop Header: Depth=1
                                        ;     Child Loop BB116_8 Depth 2
                                        ;     Child Loop BB116_20 Depth 2
	;; [unrolled: 1-line block ×6, first 2 shown]
	s_mul_i32 s10, s14, s19
	s_mul_hi_u32 s11, s14, s18
	s_add_i32 s10, s11, s10
	s_mul_i32 s11, s15, s18
	s_add_i32 s11, s10, s11
	s_lshl_b64 s[12:13], s[14:15], 3
	s_add_u32 s12, s28, s12
	s_mul_i32 s10, s14, s18
	s_addc_u32 s13, s29, s13
	s_load_dwordx2 s[38:39], s[12:13], 0x0
	s_lshl_b64 s[44:45], s[10:11], 3
	s_add_u32 s40, s26, s44
	s_addc_u32 s41, s27, s45
	s_add_u32 s42, s24, s44
	s_addc_u32 s43, s25, s45
	s_and_b64 vcc, exec, s[6:7]
	s_cbranch_vccnz .LBB116_14
; %bb.5:                                ;   in Loop: Header=BB116_4 Depth=1
	s_and_b64 vcc, exec, s[8:9]
	s_cbranch_vccnz .LBB116_15
; %bb.6:                                ;   in Loop: Header=BB116_4 Depth=1
	s_mov_b32 s12, 0
	v_mov_b64_e32 v[8:9], 0
	s_branch .LBB116_8
.LBB116_7:                              ;   in Loop: Header=BB116_8 Depth=2
	s_or_b64 exec, exec, s[10:11]
	s_waitcnt vmcnt(0)
	v_mul_f64 v[10:11], v[12:13], v[16:17]
	s_add_i32 s12, s12, s30
	v_mul_f64 v[10:11], v[14:15], v[10:11]
	s_ashr_i32 s10, s12, 31
	s_waitcnt lgkmcnt(0)
	v_fmac_f64_e32 v[8:9], s[38:39], v[10:11]
	v_mov_b32_e32 v10, s12
	v_mov_b32_e32 v11, s10
	v_cmp_le_i64_e32 vcc, s[18:19], v[10:11]
	s_cbranch_vccnz .LBB116_16
.LBB116_8:                              ;   Parent Loop BB116_4 Depth=1
                                        ; =>  This Inner Loop Header: Depth=2
	v_add_u32_e32 v10, s12, v0
	v_ashrrev_i32_e32 v11, 31, v10
	v_cmp_gt_i64_e32 vcc, s[18:19], v[10:11]
	v_mov_b64_e32 v[12:13], 0
	s_and_saveexec_b64 s[10:11], vcc
	s_cbranch_execz .LBB116_10
; %bb.9:                                ;   in Loop: Header=BB116_8 Depth=2
	v_lshl_add_u64 v[12:13], v[10:11], 3, s[20:21]
	global_load_dwordx2 v[12:13], v[12:13], off
.LBB116_10:                             ;   in Loop: Header=BB116_8 Depth=2
	s_or_b64 exec, exec, s[10:11]
	v_mov_b64_e32 v[16:17], 0
	v_mov_b64_e32 v[14:15], 0
	s_and_saveexec_b64 s[10:11], vcc
	s_cbranch_execz .LBB116_12
; %bb.11:                               ;   in Loop: Header=BB116_8 Depth=2
	v_lshl_add_u64 v[14:15], v[10:11], 3, s[40:41]
	global_load_dwordx2 v[14:15], v[14:15], off
.LBB116_12:                             ;   in Loop: Header=BB116_8 Depth=2
	s_or_b64 exec, exec, s[10:11]
	s_and_saveexec_b64 s[10:11], vcc
	s_cbranch_execz .LBB116_7
; %bb.13:                               ;   in Loop: Header=BB116_8 Depth=2
	v_lshl_add_u64 v[10:11], v[10:11], 3, s[42:43]
	global_load_dwordx2 v[16:17], v[10:11], off
	s_branch .LBB116_7
.LBB116_14:                             ;   in Loop: Header=BB116_4 Depth=1
                                        ; implicit-def: $vgpr8_vgpr9
	s_branch .LBB116_17
.LBB116_15:                             ;   in Loop: Header=BB116_4 Depth=1
	v_mov_b64_e32 v[8:9], 0
.LBB116_16:                             ;   in Loop: Header=BB116_4 Depth=1
	s_cbranch_execnz .LBB116_25
.LBB116_17:                             ;   in Loop: Header=BB116_4 Depth=1
	s_and_b64 vcc, exec, s[8:9]
	s_cbranch_vccnz .LBB116_24
; %bb.18:                               ;   in Loop: Header=BB116_4 Depth=1
	s_mov_b32 s12, 0
	v_mov_b64_e32 v[8:9], 0
	s_branch .LBB116_20
.LBB116_19:                             ;   in Loop: Header=BB116_20 Depth=2
	s_or_b64 exec, exec, s[10:11]
	s_add_i32 s12, s12, s30
	s_waitcnt vmcnt(0)
	v_mul_f64 v[10:11], v[12:13], v[14:15]
	s_ashr_i32 s10, s12, 31
	s_waitcnt lgkmcnt(0)
	v_fmac_f64_e32 v[8:9], s[38:39], v[10:11]
	v_mov_b32_e32 v10, s12
	v_mov_b32_e32 v11, s10
	v_cmp_le_i64_e32 vcc, s[18:19], v[10:11]
	s_cbranch_vccnz .LBB116_25
.LBB116_20:                             ;   Parent Loop BB116_4 Depth=1
                                        ; =>  This Inner Loop Header: Depth=2
	v_add_u32_e32 v10, s12, v0
	v_ashrrev_i32_e32 v11, 31, v10
	v_cmp_gt_i64_e32 vcc, s[18:19], v[10:11]
	v_mov_b64_e32 v[12:13], 0
	s_and_saveexec_b64 s[10:11], vcc
	s_cbranch_execz .LBB116_22
; %bb.21:                               ;   in Loop: Header=BB116_20 Depth=2
	v_lshl_add_u64 v[12:13], v[10:11], 3, s[40:41]
	global_load_dwordx2 v[12:13], v[12:13], off
.LBB116_22:                             ;   in Loop: Header=BB116_20 Depth=2
	s_or_b64 exec, exec, s[10:11]
	v_mov_b64_e32 v[14:15], 0
	s_and_saveexec_b64 s[10:11], vcc
	s_cbranch_execz .LBB116_19
; %bb.23:                               ;   in Loop: Header=BB116_20 Depth=2
	v_lshl_add_u64 v[10:11], v[10:11], 3, s[42:43]
	global_load_dwordx2 v[14:15], v[10:11], off
	s_branch .LBB116_19
.LBB116_24:                             ;   in Loop: Header=BB116_4 Depth=1
	v_mov_b64_e32 v[8:9], 0
.LBB116_25:                             ;   in Loop: Header=BB116_4 Depth=1
	s_andn2_b64 vcc, exec, s[34:35]
	s_cbranch_vccnz .LBB116_28
; %bb.26:                               ;   in Loop: Header=BB116_4 Depth=1
	v_and_b32_e32 v10, 64, v21
	v_add_u32_e32 v10, 64, v10
	s_mov_b32 s10, s47
.LBB116_27:                             ;   Parent Loop BB116_4 Depth=1
                                        ; =>  This Inner Loop Header: Depth=2
	s_lshr_b32 s11, s10, 1
	v_xor_b32_e32 v11, s11, v21
	v_cmp_lt_i32_e32 vcc, v11, v10
	s_cmp_lt_u32 s10, 4
	s_mov_b32 s10, s11
	v_cndmask_b32_e32 v11, v21, v11, vcc
	v_lshlrev_b32_e32 v11, 2, v11
	ds_bpermute_b32 v12, v11, v8
	ds_bpermute_b32 v13, v11, v9
	s_waitcnt lgkmcnt(0)
	v_add_f64 v[8:9], v[8:9], v[12:13]
	s_cbranch_scc0 .LBB116_27
.LBB116_28:                             ;   in Loop: Header=BB116_4 Depth=1
	s_andn2_b64 vcc, exec, s[36:37]
	s_mov_b32 s15, s46
	s_cbranch_vccnz .LBB116_40
.LBB116_29:                             ;   Parent Loop BB116_4 Depth=1
                                        ; =>  This Inner Loop Header: Depth=2
	s_lshr_b32 s48, s15, 1
	s_and_b32 s12, s15, 0xfffe
	v_cmp_le_u32_e64 s[10:11], s48, v19
	v_cmp_gt_u32_e64 s[12:13], s12, v19
	v_cmp_gt_u32_e32 vcc, s48, v19
	s_and_b64 s[12:13], s[10:11], s[12:13]
	s_and_saveexec_b64 s[10:11], s[12:13]
; %bb.30:                               ;   in Loop: Header=BB116_29 Depth=2
	v_subrev_u32_e32 v10, s48, v19
	v_mad_u32_u24 v10, v10, s47, v18
	v_lshl_add_u32 v10, v10, 4, 0
	ds_write_b64 v10, v[8:9] offset:8
; %bb.31:                               ;   in Loop: Header=BB116_29 Depth=2
	s_or_b64 exec, exec, s[10:11]
	s_waitcnt lgkmcnt(0)
	s_barrier
	s_and_saveexec_b64 s[10:11], vcc
	s_cbranch_execz .LBB116_33
; %bb.32:                               ;   in Loop: Header=BB116_29 Depth=2
	ds_read_b64 v[10:11], v20 offset:8
	s_waitcnt lgkmcnt(0)
	v_add_f64 v[8:9], v[8:9], v[10:11]
.LBB116_33:                             ;   in Loop: Header=BB116_29 Depth=2
	s_or_b64 exec, exec, s[10:11]
	s_cmp_lt_u32 s15, 4
	s_barrier
	s_cbranch_scc1 .LBB116_35
; %bb.34:                               ;   in Loop: Header=BB116_29 Depth=2
	s_mov_b32 s15, s48
	s_branch .LBB116_29
.LBB116_35:                             ;   in Loop: Header=BB116_4 Depth=1
	s_and_saveexec_b64 s[10:11], s[0:1]
; %bb.36:                               ;   in Loop: Header=BB116_4 Depth=1
	ds_write_b64 v22, v[8:9] offset:8
; %bb.37:                               ;   in Loop: Header=BB116_4 Depth=1
	s_or_b64 exec, exec, s[10:11]
	s_waitcnt lgkmcnt(0)
	s_barrier
	s_and_saveexec_b64 s[10:11], s[2:3]
; %bb.38:                               ;   in Loop: Header=BB116_4 Depth=1
	ds_read_b64 v[8:9], v22 offset:8
; %bb.39:                               ;   in Loop: Header=BB116_4 Depth=1
	s_or_b64 exec, exec, s[10:11]
.LBB116_40:                             ;   in Loop: Header=BB116_4 Depth=1
	s_add_u32 s10, s22, s44
	s_addc_u32 s11, s23, s45
	s_and_b64 vcc, exec, s[6:7]
	s_waitcnt lgkmcnt(0)
	v_mul_f64 v[10:11], v[4:5], s[38:39]
	s_cbranch_vccnz .LBB116_45
; %bb.41:                               ;   in Loop: Header=BB116_4 Depth=1
	s_and_saveexec_b64 s[12:13], s[4:5]
	s_cbranch_execz .LBB116_44
; %bb.42:                               ;   in Loop: Header=BB116_4 Depth=1
	s_mov_b64 s[44:45], 0
	v_mov_b64_e32 v[12:13], v[6:7]
	v_mov_b64_e32 v[14:15], v[0:1]
.LBB116_43:                             ;   Parent Loop BB116_4 Depth=1
                                        ; =>  This Inner Loop Header: Depth=2
	v_lshlrev_b64 v[14:15], 3, v[14:15]
	v_lshl_add_u64 v[16:17], s[40:41], 0, v[14:15]
	v_lshl_add_u64 v[24:25], s[42:43], 0, v[14:15]
	;; [unrolled: 1-line block ×3, first 2 shown]
	global_load_dwordx2 v[28:29], v[16:17], off
	global_load_dwordx2 v[30:31], v[24:25], off
	;; [unrolled: 1-line block ×3, first 2 shown]
	v_lshl_add_u64 v[12:13], v[12:13], 0, s[30:31]
	v_cmp_le_i64_e32 vcc, s[18:19], v[12:13]
	v_lshl_add_u64 v[16:17], s[10:11], 0, v[14:15]
	v_ashrrev_i32_e32 v15, 31, v12
	v_mov_b32_e32 v14, v12
	s_or_b64 s[44:45], vcc, s[44:45]
	s_waitcnt vmcnt(2)
	v_mul_f64 v[26:27], s[38:39], v[28:29]
	s_waitcnt vmcnt(1)
	v_mul_f64 v[24:25], v[30:31], v[2:3]
	v_mul_f64 v[26:27], v[8:9], v[26:27]
	s_waitcnt vmcnt(0)
	v_fma_f64 v[24:25], v[24:25], v[32:33], -v[26:27]
	v_mul_f64 v[24:25], v[10:11], v[24:25]
	global_store_dwordx2 v[16:17], v[24:25], off
	s_andn2_b64 exec, exec, s[44:45]
	s_cbranch_execnz .LBB116_43
.LBB116_44:                             ;   in Loop: Header=BB116_4 Depth=1
	s_or_b64 exec, exec, s[12:13]
	s_cbranch_execnz .LBB116_3
	s_branch .LBB116_46
.LBB116_45:                             ;   in Loop: Header=BB116_4 Depth=1
.LBB116_46:                             ;   in Loop: Header=BB116_4 Depth=1
	s_and_saveexec_b64 s[12:13], s[4:5]
	s_cbranch_execz .LBB116_2
; %bb.47:                               ;   in Loop: Header=BB116_4 Depth=1
	s_mov_b64 s[44:45], 0
	v_mov_b64_e32 v[12:13], v[6:7]
	v_mov_b64_e32 v[14:15], v[0:1]
.LBB116_48:                             ;   Parent Loop BB116_4 Depth=1
                                        ; =>  This Inner Loop Header: Depth=2
	v_lshlrev_b64 v[14:15], 3, v[14:15]
	v_lshl_add_u64 v[16:17], s[40:41], 0, v[14:15]
	global_load_dwordx2 v[16:17], v[16:17], off
	v_lshl_add_u64 v[24:25], s[42:43], 0, v[14:15]
	global_load_dwordx2 v[24:25], v[24:25], off
	v_lshl_add_u64 v[12:13], v[12:13], 0, s[30:31]
	v_cmp_le_i64_e32 vcc, s[18:19], v[12:13]
	v_lshl_add_u64 v[26:27], s[10:11], 0, v[14:15]
	v_ashrrev_i32_e32 v15, 31, v12
	v_mov_b32_e32 v14, v12
	s_or_b64 s[44:45], vcc, s[44:45]
	s_waitcnt vmcnt(1)
	v_mul_f64 v[16:17], s[38:39], v[16:17]
	v_mul_f64 v[16:17], v[8:9], v[16:17]
	s_waitcnt vmcnt(0)
	v_fma_f64 v[16:17], v[24:25], v[2:3], -v[16:17]
	v_mul_f64 v[16:17], v[10:11], v[16:17]
	global_store_dwordx2 v[26:27], v[16:17], off
	s_andn2_b64 exec, exec, s[44:45]
	s_cbranch_execnz .LBB116_48
	s_branch .LBB116_2
.LBB116_49:
	s_endpgm
	.section	.rodata,"a",@progbits
	.p2align	6, 0x0
	.amdhsa_kernel _ZN2at6native12_GLOBAL__N_118cuComputeGradInputIddLb1EEEvPKT_S5_llPKT0_S8_S5_PS3_
		.amdhsa_group_segment_fixed_size 0
		.amdhsa_private_segment_fixed_size 0
		.amdhsa_kernarg_size 320
		.amdhsa_user_sgpr_count 2
		.amdhsa_user_sgpr_dispatch_ptr 0
		.amdhsa_user_sgpr_queue_ptr 0
		.amdhsa_user_sgpr_kernarg_segment_ptr 1
		.amdhsa_user_sgpr_dispatch_id 0
		.amdhsa_user_sgpr_kernarg_preload_length 0
		.amdhsa_user_sgpr_kernarg_preload_offset 0
		.amdhsa_user_sgpr_private_segment_size 0
		.amdhsa_uses_dynamic_stack 0
		.amdhsa_enable_private_segment 0
		.amdhsa_system_sgpr_workgroup_id_x 1
		.amdhsa_system_sgpr_workgroup_id_y 1
		.amdhsa_system_sgpr_workgroup_id_z 0
		.amdhsa_system_sgpr_workgroup_info 0
		.amdhsa_system_vgpr_workitem_id 1
		.amdhsa_next_free_vgpr 34
		.amdhsa_next_free_sgpr 49
		.amdhsa_accum_offset 36
		.amdhsa_reserve_vcc 1
		.amdhsa_float_round_mode_32 0
		.amdhsa_float_round_mode_16_64 0
		.amdhsa_float_denorm_mode_32 3
		.amdhsa_float_denorm_mode_16_64 3
		.amdhsa_dx10_clamp 1
		.amdhsa_ieee_mode 1
		.amdhsa_fp16_overflow 0
		.amdhsa_tg_split 0
		.amdhsa_exception_fp_ieee_invalid_op 0
		.amdhsa_exception_fp_denorm_src 0
		.amdhsa_exception_fp_ieee_div_zero 0
		.amdhsa_exception_fp_ieee_overflow 0
		.amdhsa_exception_fp_ieee_underflow 0
		.amdhsa_exception_fp_ieee_inexact 0
		.amdhsa_exception_int_div_zero 0
	.end_amdhsa_kernel
	.section	.text._ZN2at6native12_GLOBAL__N_118cuComputeGradInputIddLb1EEEvPKT_S5_llPKT0_S8_S5_PS3_,"axG",@progbits,_ZN2at6native12_GLOBAL__N_118cuComputeGradInputIddLb1EEEvPKT_S5_llPKT0_S8_S5_PS3_,comdat
.Lfunc_end116:
	.size	_ZN2at6native12_GLOBAL__N_118cuComputeGradInputIddLb1EEEvPKT_S5_llPKT0_S8_S5_PS3_, .Lfunc_end116-_ZN2at6native12_GLOBAL__N_118cuComputeGradInputIddLb1EEEvPKT_S5_llPKT0_S8_S5_PS3_
                                        ; -- End function
	.set _ZN2at6native12_GLOBAL__N_118cuComputeGradInputIddLb1EEEvPKT_S5_llPKT0_S8_S5_PS3_.num_vgpr, 34
	.set _ZN2at6native12_GLOBAL__N_118cuComputeGradInputIddLb1EEEvPKT_S5_llPKT0_S8_S5_PS3_.num_agpr, 0
	.set _ZN2at6native12_GLOBAL__N_118cuComputeGradInputIddLb1EEEvPKT_S5_llPKT0_S8_S5_PS3_.numbered_sgpr, 49
	.set _ZN2at6native12_GLOBAL__N_118cuComputeGradInputIddLb1EEEvPKT_S5_llPKT0_S8_S5_PS3_.num_named_barrier, 0
	.set _ZN2at6native12_GLOBAL__N_118cuComputeGradInputIddLb1EEEvPKT_S5_llPKT0_S8_S5_PS3_.private_seg_size, 0
	.set _ZN2at6native12_GLOBAL__N_118cuComputeGradInputIddLb1EEEvPKT_S5_llPKT0_S8_S5_PS3_.uses_vcc, 1
	.set _ZN2at6native12_GLOBAL__N_118cuComputeGradInputIddLb1EEEvPKT_S5_llPKT0_S8_S5_PS3_.uses_flat_scratch, 0
	.set _ZN2at6native12_GLOBAL__N_118cuComputeGradInputIddLb1EEEvPKT_S5_llPKT0_S8_S5_PS3_.has_dyn_sized_stack, 0
	.set _ZN2at6native12_GLOBAL__N_118cuComputeGradInputIddLb1EEEvPKT_S5_llPKT0_S8_S5_PS3_.has_recursion, 0
	.set _ZN2at6native12_GLOBAL__N_118cuComputeGradInputIddLb1EEEvPKT_S5_llPKT0_S8_S5_PS3_.has_indirect_call, 0
	.section	.AMDGPU.csdata,"",@progbits
; Kernel info:
; codeLenInByte = 1452
; TotalNumSgprs: 55
; NumVgprs: 34
; NumAgprs: 0
; TotalNumVgprs: 34
; ScratchSize: 0
; MemoryBound: 0
; FloatMode: 240
; IeeeMode: 1
; LDSByteSize: 0 bytes/workgroup (compile time only)
; SGPRBlocks: 6
; VGPRBlocks: 4
; NumSGPRsForWavesPerEU: 55
; NumVGPRsForWavesPerEU: 34
; AccumOffset: 36
; Occupancy: 8
; WaveLimiterHint : 0
; COMPUTE_PGM_RSRC2:SCRATCH_EN: 0
; COMPUTE_PGM_RSRC2:USER_SGPR: 2
; COMPUTE_PGM_RSRC2:TRAP_HANDLER: 0
; COMPUTE_PGM_RSRC2:TGID_X_EN: 1
; COMPUTE_PGM_RSRC2:TGID_Y_EN: 1
; COMPUTE_PGM_RSRC2:TGID_Z_EN: 0
; COMPUTE_PGM_RSRC2:TIDIG_COMP_CNT: 1
; COMPUTE_PGM_RSRC3_GFX90A:ACCUM_OFFSET: 8
; COMPUTE_PGM_RSRC3_GFX90A:TG_SPLIT: 0
	.section	.text._ZN2at6native12_GLOBAL__N_128layer_norm_grad_input_kernelIddLb1EEEvPKT_S5_PKT0_S8_S5_PS3_i,"axG",@progbits,_ZN2at6native12_GLOBAL__N_128layer_norm_grad_input_kernelIddLb1EEEvPKT_S5_PKT0_S8_S5_PS3_i,comdat
	.globl	_ZN2at6native12_GLOBAL__N_128layer_norm_grad_input_kernelIddLb1EEEvPKT_S5_PKT0_S8_S5_PS3_i ; -- Begin function _ZN2at6native12_GLOBAL__N_128layer_norm_grad_input_kernelIddLb1EEEvPKT_S5_PKT0_S8_S5_PS3_i
	.p2align	8
	.type	_ZN2at6native12_GLOBAL__N_128layer_norm_grad_input_kernelIddLb1EEEvPKT_S5_PKT0_S8_S5_PS3_i,@function
_ZN2at6native12_GLOBAL__N_128layer_norm_grad_input_kernelIddLb1EEEvPKT_S5_PKT0_S8_S5_PS3_i: ; @_ZN2at6native12_GLOBAL__N_128layer_norm_grad_input_kernelIddLb1EEEvPKT_S5_PKT0_S8_S5_PS3_i
; %bb.0:
	s_load_dword s26, s[0:1], 0x30
	s_load_dwordx4 s[8:11], s[0:1], 0x0
	s_load_dwordx4 s[4:7], s[0:1], 0x18
	s_mov_b32 s3, 0
	v_lshlrev_b32_e32 v2, 2, v0
	s_waitcnt lgkmcnt(0)
	s_ashr_i32 s12, s26, 31
	s_mul_hi_u32 s13, s26, s2
	s_mul_i32 s12, s12, s2
	s_add_i32 s19, s13, s12
	s_mul_i32 s18, s26, s2
	s_lshl_b64 s[2:3], s[2:3], 3
	s_add_u32 s2, s4, s2
	s_addc_u32 s3, s5, s3
	s_load_dwordx2 s[4:5], s[2:3], 0x0
	s_lshl_b64 s[16:17], s[18:19], 3
	s_add_u32 s12, s10, s16
	s_addc_u32 s13, s11, s17
	s_add_u32 s14, s8, s16
	v_or_b32_e32 v1, 3, v2
	s_addc_u32 s15, s9, s17
	v_cmp_gt_u32_e32 vcc, s26, v1
	v_mov_b64_e32 v[4:5], 0
	s_and_saveexec_b64 s[20:21], vcc
	s_cbranch_execz .LBB117_12
; %bb.1:
	s_load_dword s2, s[0:1], 0x44
	s_cmp_lg_u64 s[6:7], 0
	s_cselect_b64 s[24:25], -1, 0
	v_cndmask_b32_e64 v1, 0, 1, s[24:25]
	s_mov_b64 s[22:23], 0
	s_waitcnt lgkmcnt(0)
	s_and_b32 s2, s2, 0xffff
	v_mov_b64_e32 v[4:5], 0
	s_lshl_b32 s27, s2, 2
	v_mov_b32_e32 v3, 0
	v_cmp_ne_u32_e64 s[2:3], 1, v1
	s_branch .LBB117_3
.LBB117_2:                              ;   in Loop: Header=BB117_3 Depth=1
	global_load_dwordx2 v[22:23], v[20:21], off offset:24
	global_load_dwordx2 v[32:33], v[14:15], off offset:24
	s_waitcnt vmcnt(6)
	v_mul_f64 v[8:9], v[8:9], v[16:17]
	s_waitcnt vmcnt(4)
	v_mul_f64 v[6:7], v[6:7], v[24:25]
	v_mul_f64 v[8:9], v[10:11], v[8:9]
	s_waitcnt vmcnt(2)
	v_mul_f64 v[14:15], v[28:29], v[30:31]
	v_add_u32_e32 v2, s27, v2
	v_mul_f64 v[6:7], v[18:19], v[6:7]
	v_fmac_f64_e32 v[4:5], s[4:5], v[8:9]
	v_mul_f64 v[10:11], v[26:27], v[14:15]
	v_add_u32_e32 v1, 3, v2
	v_fmac_f64_e32 v[4:5], s[4:5], v[6:7]
	v_cmp_le_u32_e32 vcc, s26, v1
	v_fmac_f64_e32 v[4:5], s[4:5], v[10:11]
	s_or_b64 s[22:23], vcc, s[22:23]
	s_waitcnt vmcnt(1)
	v_mul_f64 v[6:7], v[12:13], v[22:23]
	s_waitcnt vmcnt(0)
	v_mul_f64 v[6:7], v[32:33], v[6:7]
	v_fmac_f64_e32 v[4:5], s[4:5], v[6:7]
	s_andn2_b64 exec, exec, s[22:23]
	s_cbranch_execz .LBB117_11
.LBB117_3:                              ; =>This Inner Loop Header: Depth=1
	v_mov_b64_e32 v[6:7], 1.0
	s_and_b64 vcc, exec, s[24:25]
	v_lshl_add_u64 v[22:23], v[2:3], 3, s[6:7]
	v_mov_b64_e32 v[8:9], 1.0
	s_cbranch_vccz .LBB117_5
; %bb.4:                                ;   in Loop: Header=BB117_3 Depth=1
	global_load_dwordx2 v[8:9], v[22:23], off
.LBB117_5:                              ;   in Loop: Header=BB117_3 Depth=1
	v_lshlrev_b64 v[12:13], 3, v[2:3]
	v_lshl_add_u64 v[14:15], s[12:13], 0, v[12:13]
	v_lshl_add_u64 v[20:21], s[14:15], 0, v[12:13]
	global_load_dwordx2 v[10:11], v[14:15], off
	global_load_dwordx2 v[16:17], v[20:21], off
	s_and_b64 vcc, exec, s[2:3]
	s_cbranch_vccnz .LBB117_7
; %bb.6:                                ;   in Loop: Header=BB117_3 Depth=1
	global_load_dwordx2 v[6:7], v[22:23], off offset:8
.LBB117_7:                              ;   in Loop: Header=BB117_3 Depth=1
	global_load_dwordx2 v[18:19], v[14:15], off offset:8
	global_load_dwordx2 v[24:25], v[20:21], off offset:8
	v_mov_b64_e32 v[12:13], 1.0
	s_and_b64 vcc, exec, s[2:3]
	v_mov_b64_e32 v[28:29], 1.0
	s_cbranch_vccnz .LBB117_9
; %bb.8:                                ;   in Loop: Header=BB117_3 Depth=1
	global_load_dwordx2 v[28:29], v[22:23], off offset:16
.LBB117_9:                              ;   in Loop: Header=BB117_3 Depth=1
	global_load_dwordx2 v[26:27], v[14:15], off offset:16
	global_load_dwordx2 v[30:31], v[20:21], off offset:16
	s_and_b64 vcc, exec, s[2:3]
	s_cbranch_vccnz .LBB117_2
; %bb.10:                               ;   in Loop: Header=BB117_3 Depth=1
	global_load_dwordx2 v[12:13], v[22:23], off offset:24
	s_branch .LBB117_2
.LBB117_11:
	s_or_b64 exec, exec, s[22:23]
.LBB117_12:
	s_or_b64 exec, exec, s[20:21]
	v_cmp_gt_u32_e32 vcc, s26, v2
	s_and_saveexec_b64 s[20:21], vcc
	s_cbranch_execz .LBB117_19
; %bb.13:
	s_cmp_lg_u64 s[6:7], 0
	v_mov_b32_e32 v3, 0
	v_lshlrev_b64 v[8:9], 3, v[2:3]
	s_cselect_b64 s[2:3], -1, 0
	v_lshl_add_u64 v[10:11], s[18:19], 3, v[8:9]
	v_cndmask_b32_e64 v1, 0, 1, s[2:3]
	s_mov_b64 s[22:23], 0
	v_lshl_add_u64 v[6:7], s[6:7], 0, v[8:9]
	v_lshl_add_u64 v[8:9], s[10:11], 0, v[10:11]
	;; [unrolled: 1-line block ×3, first 2 shown]
	v_cmp_ne_u32_e64 s[2:3], 1, v1
	s_branch .LBB117_16
.LBB117_14:                             ;   in Loop: Header=BB117_16 Depth=1
	global_load_dwordx2 v[12:13], v[6:7], off
.LBB117_15:                             ;   in Loop: Header=BB117_16 Depth=1
	global_load_dwordx2 v[14:15], v[10:11], off
	global_load_dwordx2 v[16:17], v[8:9], off
	v_add_u32_e32 v2, 1, v2
	v_cmp_le_u32_e32 vcc, s26, v2
	v_lshl_add_u64 v[6:7], v[6:7], 0, 8
	v_lshl_add_u64 v[8:9], v[8:9], 0, 8
	s_or_b64 s[22:23], vcc, s[22:23]
	v_lshl_add_u64 v[10:11], v[10:11], 0, 8
	s_waitcnt vmcnt(1)
	v_mul_f64 v[12:13], v[12:13], v[14:15]
	s_waitcnt vmcnt(0)
	v_mul_f64 v[12:13], v[16:17], v[12:13]
	s_waitcnt lgkmcnt(0)
	v_fmac_f64_e32 v[4:5], s[4:5], v[12:13]
	s_andn2_b64 exec, exec, s[22:23]
	s_cbranch_execz .LBB117_18
.LBB117_16:                             ; =>This Inner Loop Header: Depth=1
	s_and_b64 vcc, exec, s[2:3]
	s_cbranch_vccz .LBB117_14
; %bb.17:                               ;   in Loop: Header=BB117_16 Depth=1
	v_mov_b64_e32 v[12:13], 1.0
	s_branch .LBB117_15
.LBB117_18:
	s_or_b64 exec, exec, s[22:23]
.LBB117_19:
	s_or_b64 exec, exec, s[20:21]
	v_mbcnt_lo_u32_b32 v1, -1, 0
	v_mbcnt_hi_u32_b32 v10, -1, v1
	v_mov_b32_e32 v1, 0x80
	v_lshl_or_b32 v1, v10, 2, v1
	ds_bpermute_b32 v2, v1, v4
	ds_bpermute_b32 v3, v1, v5
	v_and_b32_e32 v12, 63, v10
	v_cmp_gt_u32_e32 vcc, 48, v12
	v_and_b32_e32 v11, 63, v0
	s_waitcnt lgkmcnt(0)
	v_add_f64 v[2:3], v[4:5], v[2:3]
	v_cndmask_b32_e64 v4, 0, 16, vcc
	v_add_lshl_u32 v6, v4, v10, 2
	ds_bpermute_b32 v4, v6, v2
	ds_bpermute_b32 v5, v6, v3
	v_cmp_gt_u32_e32 vcc, 56, v12
	s_barrier
	s_waitcnt lgkmcnt(0)
	v_add_f64 v[2:3], v[2:3], v[4:5]
	v_cndmask_b32_e64 v4, 0, 8, vcc
	v_add_lshl_u32 v7, v4, v10, 2
	ds_bpermute_b32 v4, v7, v2
	ds_bpermute_b32 v5, v7, v3
	v_cmp_gt_u32_e32 vcc, 60, v12
	s_waitcnt lgkmcnt(0)
	v_add_f64 v[2:3], v[2:3], v[4:5]
	v_cndmask_b32_e64 v4, 0, 4, vcc
	v_add_lshl_u32 v8, v4, v10, 2
	ds_bpermute_b32 v4, v8, v2
	ds_bpermute_b32 v5, v8, v3
	v_cmp_gt_u32_e32 vcc, 62, v12
	s_waitcnt lgkmcnt(0)
	v_add_f64 v[2:3], v[2:3], v[4:5]
	v_cndmask_b32_e64 v4, 0, 2, vcc
	v_add_lshl_u32 v9, v4, v10, 2
	ds_bpermute_b32 v4, v9, v2
	ds_bpermute_b32 v5, v9, v3
	v_cmp_ne_u32_e32 vcc, 63, v12
	s_waitcnt lgkmcnt(0)
	v_add_f64 v[2:3], v[2:3], v[4:5]
	v_addc_co_u32_e32 v4, vcc, 0, v10, vcc
	v_lshlrev_b32_e32 v10, 2, v4
	ds_bpermute_b32 v4, v10, v2
	ds_bpermute_b32 v5, v10, v3
	v_cmp_eq_u32_e32 vcc, 0, v11
	s_and_saveexec_b64 s[2:3], vcc
	s_cbranch_execz .LBB117_21
; %bb.20:
	v_lshrrev_b32_e32 v12, 3, v0
	v_add_u32_e32 v12, 0, v12
	s_waitcnt lgkmcnt(0)
	v_add_f64 v[2:3], v[2:3], v[4:5]
	ds_write_b64 v12, v[2:3]
.LBB117_21:
	s_or_b64 exec, exec, s[2:3]
	s_waitcnt lgkmcnt(0)
	s_barrier
	s_load_dword s8, s[0:1], 0x44
	v_mov_b64_e32 v[2:3], 0
	s_waitcnt lgkmcnt(0)
	s_bfe_u32 s2, s8, 0xa0006
	v_cmp_gt_u32_e32 vcc, s2, v0
	s_and_saveexec_b64 s[2:3], vcc
	s_cbranch_execnz .LBB117_32
; %bb.22:
	s_or_b64 exec, exec, s[2:3]
	v_cmp_gt_u32_e32 vcc, 64, v0
	s_and_saveexec_b64 s[2:3], vcc
	s_cbranch_execnz .LBB117_33
.LBB117_23:
	s_or_b64 exec, exec, s[2:3]
	v_cmp_eq_u32_e32 vcc, 0, v0
	s_and_saveexec_b64 s[2:3], vcc
	s_cbranch_execz .LBB117_25
.LBB117_24:
	v_mov_b32_e32 v1, 0
	s_waitcnt lgkmcnt(0)
	ds_write_b64 v1, v[2:3] offset:8
.LBB117_25:
	s_or_b64 exec, exec, s[2:3]
	v_cmp_gt_i32_e32 vcc, s26, v0
	s_waitcnt lgkmcnt(0)
	s_barrier
	s_and_saveexec_b64 s[2:3], vcc
	s_cbranch_execz .LBB117_31
; %bb.26:
	v_cvt_f64_i32_e32 v[2:3], s26
	v_div_scale_f64 v[6:7], s[2:3], v[2:3], v[2:3], 1.0
	v_rcp_f64_e32 v[8:9], v[6:7]
	s_load_dwordx2 s[0:1], s[0:1], 0x28
	s_and_b32 s10, 0xffff, s8
	v_mov_b32_e32 v1, 0
	v_fma_f64 v[10:11], -v[6:7], v[8:9], 1.0
	v_fmac_f64_e32 v[8:9], v[8:9], v[10:11]
	v_fma_f64 v[10:11], -v[6:7], v[8:9], 1.0
	v_fmac_f64_e32 v[8:9], v[8:9], v[10:11]
	v_div_scale_f64 v[10:11], vcc, 1.0, v[2:3], 1.0
	s_waitcnt lgkmcnt(0)
	s_add_u32 s2, s0, s16
	ds_read_b64 v[4:5], v1 offset:8
	v_mul_f64 v[12:13], v[10:11], v[8:9]
	s_addc_u32 s3, s1, s17
	v_fma_f64 v[6:7], -v[6:7], v[12:13], v[10:11]
	s_cmp_lg_u64 s[6:7], 0
	v_div_fmas_f64 v[6:7], v[6:7], v[8:9], v[12:13]
	s_cselect_b64 s[0:1], -1, 0
	v_div_fixup_f64 v[6:7], v[6:7], v[2:3], 1.0
	v_cndmask_b32_e64 v1, 0, 1, s[0:1]
	v_mul_f64 v[6:7], v[6:7], s[4:5]
	s_mov_b64 s[8:9], 0
	v_cmp_ne_u32_e64 s[0:1], 1, v1
	s_branch .LBB117_29
.LBB117_27:                             ;   in Loop: Header=BB117_29 Depth=1
	v_lshl_add_u64 v[12:13], v[0:1], 3, s[6:7]
	global_load_dwordx2 v[12:13], v[12:13], off
.LBB117_28:                             ;   in Loop: Header=BB117_29 Depth=1
	s_waitcnt vmcnt(1)
	v_mul_f64 v[8:9], s[4:5], v[8:9]
	s_waitcnt vmcnt(0)
	v_mul_f64 v[12:13], v[12:13], v[2:3]
	s_waitcnt lgkmcnt(0)
	v_mul_f64 v[8:9], v[4:5], v[8:9]
	v_fma_f64 v[8:9], v[10:11], v[12:13], -v[8:9]
	v_lshl_add_u64 v[10:11], v[0:1], 3, s[2:3]
	v_add_u32_e32 v0, s10, v0
	v_cmp_le_i32_e32 vcc, s26, v0
	v_mul_f64 v[8:9], v[6:7], v[8:9]
	s_or_b64 s[8:9], vcc, s[8:9]
	global_store_dwordx2 v[10:11], v[8:9], off
	s_andn2_b64 exec, exec, s[8:9]
	s_cbranch_execz .LBB117_31
.LBB117_29:                             ; =>This Inner Loop Header: Depth=1
	v_ashrrev_i32_e32 v1, 31, v0
	v_lshlrev_b64 v[10:11], 3, v[0:1]
	v_lshl_add_u64 v[8:9], s[12:13], 0, v[10:11]
	v_lshl_add_u64 v[10:11], s[14:15], 0, v[10:11]
	global_load_dwordx2 v[8:9], v[8:9], off
	s_and_b64 vcc, exec, s[0:1]
	global_load_dwordx2 v[10:11], v[10:11], off
	s_cbranch_vccz .LBB117_27
; %bb.30:                               ;   in Loop: Header=BB117_29 Depth=1
	v_mov_b64_e32 v[12:13], 1.0
	s_branch .LBB117_28
.LBB117_31:
	s_endpgm
.LBB117_32:
	v_lshl_add_u32 v2, v11, 3, 0
	ds_read_b64 v[2:3], v2
	s_or_b64 exec, exec, s[2:3]
	v_cmp_gt_u32_e32 vcc, 64, v0
	s_and_saveexec_b64 s[2:3], vcc
	s_cbranch_execz .LBB117_23
.LBB117_33:
	s_waitcnt lgkmcnt(0)
	ds_bpermute_b32 v4, v1, v2
	ds_bpermute_b32 v5, v1, v3
	s_waitcnt lgkmcnt(0)
	v_add_f64 v[2:3], v[2:3], v[4:5]
	ds_bpermute_b32 v4, v6, v2
	ds_bpermute_b32 v5, v6, v3
	s_waitcnt lgkmcnt(0)
	v_add_f64 v[2:3], v[2:3], v[4:5]
	;; [unrolled: 4-line block ×6, first 2 shown]
	s_or_b64 exec, exec, s[2:3]
	v_cmp_eq_u32_e32 vcc, 0, v0
	s_and_saveexec_b64 s[2:3], vcc
	s_cbranch_execnz .LBB117_24
	s_branch .LBB117_25
	.section	.rodata,"a",@progbits
	.p2align	6, 0x0
	.amdhsa_kernel _ZN2at6native12_GLOBAL__N_128layer_norm_grad_input_kernelIddLb1EEEvPKT_S5_PKT0_S8_S5_PS3_i
		.amdhsa_group_segment_fixed_size 0
		.amdhsa_private_segment_fixed_size 0
		.amdhsa_kernarg_size 312
		.amdhsa_user_sgpr_count 2
		.amdhsa_user_sgpr_dispatch_ptr 0
		.amdhsa_user_sgpr_queue_ptr 0
		.amdhsa_user_sgpr_kernarg_segment_ptr 1
		.amdhsa_user_sgpr_dispatch_id 0
		.amdhsa_user_sgpr_kernarg_preload_length 0
		.amdhsa_user_sgpr_kernarg_preload_offset 0
		.amdhsa_user_sgpr_private_segment_size 0
		.amdhsa_uses_dynamic_stack 0
		.amdhsa_enable_private_segment 0
		.amdhsa_system_sgpr_workgroup_id_x 1
		.amdhsa_system_sgpr_workgroup_id_y 0
		.amdhsa_system_sgpr_workgroup_id_z 0
		.amdhsa_system_sgpr_workgroup_info 0
		.amdhsa_system_vgpr_workitem_id 0
		.amdhsa_next_free_vgpr 34
		.amdhsa_next_free_sgpr 28
		.amdhsa_accum_offset 36
		.amdhsa_reserve_vcc 1
		.amdhsa_float_round_mode_32 0
		.amdhsa_float_round_mode_16_64 0
		.amdhsa_float_denorm_mode_32 3
		.amdhsa_float_denorm_mode_16_64 3
		.amdhsa_dx10_clamp 1
		.amdhsa_ieee_mode 1
		.amdhsa_fp16_overflow 0
		.amdhsa_tg_split 0
		.amdhsa_exception_fp_ieee_invalid_op 0
		.amdhsa_exception_fp_denorm_src 0
		.amdhsa_exception_fp_ieee_div_zero 0
		.amdhsa_exception_fp_ieee_overflow 0
		.amdhsa_exception_fp_ieee_underflow 0
		.amdhsa_exception_fp_ieee_inexact 0
		.amdhsa_exception_int_div_zero 0
	.end_amdhsa_kernel
	.section	.text._ZN2at6native12_GLOBAL__N_128layer_norm_grad_input_kernelIddLb1EEEvPKT_S5_PKT0_S8_S5_PS3_i,"axG",@progbits,_ZN2at6native12_GLOBAL__N_128layer_norm_grad_input_kernelIddLb1EEEvPKT_S5_PKT0_S8_S5_PS3_i,comdat
.Lfunc_end117:
	.size	_ZN2at6native12_GLOBAL__N_128layer_norm_grad_input_kernelIddLb1EEEvPKT_S5_PKT0_S8_S5_PS3_i, .Lfunc_end117-_ZN2at6native12_GLOBAL__N_128layer_norm_grad_input_kernelIddLb1EEEvPKT_S5_PKT0_S8_S5_PS3_i
                                        ; -- End function
	.set _ZN2at6native12_GLOBAL__N_128layer_norm_grad_input_kernelIddLb1EEEvPKT_S5_PKT0_S8_S5_PS3_i.num_vgpr, 34
	.set _ZN2at6native12_GLOBAL__N_128layer_norm_grad_input_kernelIddLb1EEEvPKT_S5_PKT0_S8_S5_PS3_i.num_agpr, 0
	.set _ZN2at6native12_GLOBAL__N_128layer_norm_grad_input_kernelIddLb1EEEvPKT_S5_PKT0_S8_S5_PS3_i.numbered_sgpr, 28
	.set _ZN2at6native12_GLOBAL__N_128layer_norm_grad_input_kernelIddLb1EEEvPKT_S5_PKT0_S8_S5_PS3_i.num_named_barrier, 0
	.set _ZN2at6native12_GLOBAL__N_128layer_norm_grad_input_kernelIddLb1EEEvPKT_S5_PKT0_S8_S5_PS3_i.private_seg_size, 0
	.set _ZN2at6native12_GLOBAL__N_128layer_norm_grad_input_kernelIddLb1EEEvPKT_S5_PKT0_S8_S5_PS3_i.uses_vcc, 1
	.set _ZN2at6native12_GLOBAL__N_128layer_norm_grad_input_kernelIddLb1EEEvPKT_S5_PKT0_S8_S5_PS3_i.uses_flat_scratch, 0
	.set _ZN2at6native12_GLOBAL__N_128layer_norm_grad_input_kernelIddLb1EEEvPKT_S5_PKT0_S8_S5_PS3_i.has_dyn_sized_stack, 0
	.set _ZN2at6native12_GLOBAL__N_128layer_norm_grad_input_kernelIddLb1EEEvPKT_S5_PKT0_S8_S5_PS3_i.has_recursion, 0
	.set _ZN2at6native12_GLOBAL__N_128layer_norm_grad_input_kernelIddLb1EEEvPKT_S5_PKT0_S8_S5_PS3_i.has_indirect_call, 0
	.section	.AMDGPU.csdata,"",@progbits
; Kernel info:
; codeLenInByte = 1708
; TotalNumSgprs: 34
; NumVgprs: 34
; NumAgprs: 0
; TotalNumVgprs: 34
; ScratchSize: 0
; MemoryBound: 0
; FloatMode: 240
; IeeeMode: 1
; LDSByteSize: 0 bytes/workgroup (compile time only)
; SGPRBlocks: 4
; VGPRBlocks: 4
; NumSGPRsForWavesPerEU: 34
; NumVGPRsForWavesPerEU: 34
; AccumOffset: 36
; Occupancy: 8
; WaveLimiterHint : 0
; COMPUTE_PGM_RSRC2:SCRATCH_EN: 0
; COMPUTE_PGM_RSRC2:USER_SGPR: 2
; COMPUTE_PGM_RSRC2:TRAP_HANDLER: 0
; COMPUTE_PGM_RSRC2:TGID_X_EN: 1
; COMPUTE_PGM_RSRC2:TGID_Y_EN: 0
; COMPUTE_PGM_RSRC2:TGID_Z_EN: 0
; COMPUTE_PGM_RSRC2:TIDIG_COMP_CNT: 0
; COMPUTE_PGM_RSRC3_GFX90A:ACCUM_OFFSET: 8
; COMPUTE_PGM_RSRC3_GFX90A:TG_SPLIT: 0
	.section	.text._ZN2at6native12_GLOBAL__N_133GammaBetaBackwardSimpleCUDAKernelIddLb1EEEvllPKT_S5_PKT0_S8_PS3_S9_,"axG",@progbits,_ZN2at6native12_GLOBAL__N_133GammaBetaBackwardSimpleCUDAKernelIddLb1EEEvllPKT_S5_PKT0_S8_PS3_S9_,comdat
	.globl	_ZN2at6native12_GLOBAL__N_133GammaBetaBackwardSimpleCUDAKernelIddLb1EEEvllPKT_S5_PKT0_S8_PS3_S9_ ; -- Begin function _ZN2at6native12_GLOBAL__N_133GammaBetaBackwardSimpleCUDAKernelIddLb1EEEvllPKT_S5_PKT0_S8_PS3_S9_
	.p2align	8
	.type	_ZN2at6native12_GLOBAL__N_133GammaBetaBackwardSimpleCUDAKernelIddLb1EEEvllPKT_S5_PKT0_S8_PS3_S9_,@function
_ZN2at6native12_GLOBAL__N_133GammaBetaBackwardSimpleCUDAKernelIddLb1EEEvllPKT_S5_PKT0_S8_PS3_S9_: ; @_ZN2at6native12_GLOBAL__N_133GammaBetaBackwardSimpleCUDAKernelIddLb1EEEvllPKT_S5_PKT0_S8_PS3_S9_
; %bb.0:
	s_load_dword s3, s[0:1], 0x4c
	s_load_dwordx8 s[4:11], s[0:1], 0x0
	v_mov_b32_e32 v1, 0
	v_mov_b32_e32 v2, s2
	s_waitcnt lgkmcnt(0)
	s_and_b32 s3, s3, 0xffff
	v_mad_u64_u32 v[0:1], s[2:3], s3, v2, v[0:1]
	v_cmp_gt_i64_e32 vcc, s[6:7], v[0:1]
	s_and_saveexec_b64 s[2:3], vcc
	s_cbranch_execz .LBB118_9
; %bb.1:
	s_load_dwordx4 s[12:15], s[0:1], 0x28
	v_cmp_lt_i64_e64 s[0:1], s[4:5], 1
	s_and_b64 vcc, exec, s[0:1]
	s_cbranch_vccnz .LBB118_6
; %bb.2:
	s_waitcnt lgkmcnt(0)
	s_cmp_lg_u64 s[14:15], 0
	s_cselect_b64 s[0:1], -1, 0
	v_cndmask_b32_e64 v6, 0, 1, s[0:1]
	v_lshlrev_b64 v[4:5], 3, v[0:1]
	s_lshl_b64 s[2:3], s[6:7], 3
	v_mov_b64_e32 v[2:3], 0
	v_cmp_ne_u32_e64 s[0:1], 1, v6
	s_branch .LBB118_4
.LBB118_3:                              ;   in Loop: Header=BB118_4 Depth=1
	s_add_u32 s4, s4, -1
	s_addc_u32 s5, s5, -1
	s_add_u32 s12, s12, 8
	s_addc_u32 s13, s13, 0
	v_add_f64 v[2:3], v[2:3], v[6:7]
	s_cmp_eq_u64 s[4:5], 0
	v_lshl_add_u64 v[4:5], v[4:5], 0, s[2:3]
	s_cbranch_scc1 .LBB118_7
.LBB118_4:                              ; =>This Inner Loop Header: Depth=1
	s_and_b64 vcc, exec, s[0:1]
	v_mov_b64_e32 v[6:7], 0
	s_cbranch_vccnz .LBB118_3
; %bb.5:                                ;   in Loop: Header=BB118_4 Depth=1
	v_lshl_add_u64 v[6:7], s[8:9], 0, v[4:5]
	v_lshl_add_u64 v[8:9], s[10:11], 0, v[4:5]
	global_load_dwordx2 v[6:7], v[6:7], off
	s_load_dwordx2 s[6:7], s[12:13], 0x0
	global_load_dwordx2 v[8:9], v[8:9], off
	s_waitcnt vmcnt(0)
	v_mul_f64 v[6:7], v[6:7], v[8:9]
	s_waitcnt lgkmcnt(0)
	v_mul_f64 v[6:7], v[6:7], s[6:7]
	s_branch .LBB118_3
.LBB118_6:
	v_mov_b64_e32 v[2:3], 0
.LBB118_7:
	s_waitcnt lgkmcnt(0)
	s_cmp_lg_u64 s[14:15], 0
	s_cbranch_scc0 .LBB118_9
; %bb.8:
	v_lshl_add_u64 v[0:1], v[0:1], 3, s[14:15]
	global_store_dwordx2 v[0:1], v[2:3], off
.LBB118_9:
	s_endpgm
	.section	.rodata,"a",@progbits
	.p2align	6, 0x0
	.amdhsa_kernel _ZN2at6native12_GLOBAL__N_133GammaBetaBackwardSimpleCUDAKernelIddLb1EEEvllPKT_S5_PKT0_S8_PS3_S9_
		.amdhsa_group_segment_fixed_size 0
		.amdhsa_private_segment_fixed_size 0
		.amdhsa_kernarg_size 320
		.amdhsa_user_sgpr_count 2
		.amdhsa_user_sgpr_dispatch_ptr 0
		.amdhsa_user_sgpr_queue_ptr 0
		.amdhsa_user_sgpr_kernarg_segment_ptr 1
		.amdhsa_user_sgpr_dispatch_id 0
		.amdhsa_user_sgpr_kernarg_preload_length 0
		.amdhsa_user_sgpr_kernarg_preload_offset 0
		.amdhsa_user_sgpr_private_segment_size 0
		.amdhsa_uses_dynamic_stack 0
		.amdhsa_enable_private_segment 0
		.amdhsa_system_sgpr_workgroup_id_x 1
		.amdhsa_system_sgpr_workgroup_id_y 0
		.amdhsa_system_sgpr_workgroup_id_z 0
		.amdhsa_system_sgpr_workgroup_info 0
		.amdhsa_system_vgpr_workitem_id 0
		.amdhsa_next_free_vgpr 10
		.amdhsa_next_free_sgpr 16
		.amdhsa_accum_offset 12
		.amdhsa_reserve_vcc 1
		.amdhsa_float_round_mode_32 0
		.amdhsa_float_round_mode_16_64 0
		.amdhsa_float_denorm_mode_32 3
		.amdhsa_float_denorm_mode_16_64 3
		.amdhsa_dx10_clamp 1
		.amdhsa_ieee_mode 1
		.amdhsa_fp16_overflow 0
		.amdhsa_tg_split 0
		.amdhsa_exception_fp_ieee_invalid_op 0
		.amdhsa_exception_fp_denorm_src 0
		.amdhsa_exception_fp_ieee_div_zero 0
		.amdhsa_exception_fp_ieee_overflow 0
		.amdhsa_exception_fp_ieee_underflow 0
		.amdhsa_exception_fp_ieee_inexact 0
		.amdhsa_exception_int_div_zero 0
	.end_amdhsa_kernel
	.section	.text._ZN2at6native12_GLOBAL__N_133GammaBetaBackwardSimpleCUDAKernelIddLb1EEEvllPKT_S5_PKT0_S8_PS3_S9_,"axG",@progbits,_ZN2at6native12_GLOBAL__N_133GammaBetaBackwardSimpleCUDAKernelIddLb1EEEvllPKT_S5_PKT0_S8_PS3_S9_,comdat
.Lfunc_end118:
	.size	_ZN2at6native12_GLOBAL__N_133GammaBetaBackwardSimpleCUDAKernelIddLb1EEEvllPKT_S5_PKT0_S8_PS3_S9_, .Lfunc_end118-_ZN2at6native12_GLOBAL__N_133GammaBetaBackwardSimpleCUDAKernelIddLb1EEEvllPKT_S5_PKT0_S8_PS3_S9_
                                        ; -- End function
	.set _ZN2at6native12_GLOBAL__N_133GammaBetaBackwardSimpleCUDAKernelIddLb1EEEvllPKT_S5_PKT0_S8_PS3_S9_.num_vgpr, 10
	.set _ZN2at6native12_GLOBAL__N_133GammaBetaBackwardSimpleCUDAKernelIddLb1EEEvllPKT_S5_PKT0_S8_PS3_S9_.num_agpr, 0
	.set _ZN2at6native12_GLOBAL__N_133GammaBetaBackwardSimpleCUDAKernelIddLb1EEEvllPKT_S5_PKT0_S8_PS3_S9_.numbered_sgpr, 16
	.set _ZN2at6native12_GLOBAL__N_133GammaBetaBackwardSimpleCUDAKernelIddLb1EEEvllPKT_S5_PKT0_S8_PS3_S9_.num_named_barrier, 0
	.set _ZN2at6native12_GLOBAL__N_133GammaBetaBackwardSimpleCUDAKernelIddLb1EEEvllPKT_S5_PKT0_S8_PS3_S9_.private_seg_size, 0
	.set _ZN2at6native12_GLOBAL__N_133GammaBetaBackwardSimpleCUDAKernelIddLb1EEEvllPKT_S5_PKT0_S8_PS3_S9_.uses_vcc, 1
	.set _ZN2at6native12_GLOBAL__N_133GammaBetaBackwardSimpleCUDAKernelIddLb1EEEvllPKT_S5_PKT0_S8_PS3_S9_.uses_flat_scratch, 0
	.set _ZN2at6native12_GLOBAL__N_133GammaBetaBackwardSimpleCUDAKernelIddLb1EEEvllPKT_S5_PKT0_S8_PS3_S9_.has_dyn_sized_stack, 0
	.set _ZN2at6native12_GLOBAL__N_133GammaBetaBackwardSimpleCUDAKernelIddLb1EEEvllPKT_S5_PKT0_S8_PS3_S9_.has_recursion, 0
	.set _ZN2at6native12_GLOBAL__N_133GammaBetaBackwardSimpleCUDAKernelIddLb1EEEvllPKT_S5_PKT0_S8_PS3_S9_.has_indirect_call, 0
	.section	.AMDGPU.csdata,"",@progbits
; Kernel info:
; codeLenInByte = 284
; TotalNumSgprs: 22
; NumVgprs: 10
; NumAgprs: 0
; TotalNumVgprs: 10
; ScratchSize: 0
; MemoryBound: 1
; FloatMode: 240
; IeeeMode: 1
; LDSByteSize: 0 bytes/workgroup (compile time only)
; SGPRBlocks: 2
; VGPRBlocks: 1
; NumSGPRsForWavesPerEU: 22
; NumVGPRsForWavesPerEU: 10
; AccumOffset: 12
; Occupancy: 8
; WaveLimiterHint : 0
; COMPUTE_PGM_RSRC2:SCRATCH_EN: 0
; COMPUTE_PGM_RSRC2:USER_SGPR: 2
; COMPUTE_PGM_RSRC2:TRAP_HANDLER: 0
; COMPUTE_PGM_RSRC2:TGID_X_EN: 1
; COMPUTE_PGM_RSRC2:TGID_Y_EN: 0
; COMPUTE_PGM_RSRC2:TGID_Z_EN: 0
; COMPUTE_PGM_RSRC2:TIDIG_COMP_CNT: 0
; COMPUTE_PGM_RSRC3_GFX90A:ACCUM_OFFSET: 2
; COMPUTE_PGM_RSRC3_GFX90A:TG_SPLIT: 0
	.section	.text._ZN2at6native12_GLOBAL__N_135GammaBetaBackwardCUDAKernelTemplateIddLj64ELj1ELj32ELb1ELb1ELb1EEEvllPKT_S5_PKT0_S8_PS3_S9_,"axG",@progbits,_ZN2at6native12_GLOBAL__N_135GammaBetaBackwardCUDAKernelTemplateIddLj64ELj1ELj32ELb1ELb1ELb1EEEvllPKT_S5_PKT0_S8_PS3_S9_,comdat
	.globl	_ZN2at6native12_GLOBAL__N_135GammaBetaBackwardCUDAKernelTemplateIddLj64ELj1ELj32ELb1ELb1ELb1EEEvllPKT_S5_PKT0_S8_PS3_S9_ ; -- Begin function _ZN2at6native12_GLOBAL__N_135GammaBetaBackwardCUDAKernelTemplateIddLj64ELj1ELj32ELb1ELb1ELb1EEEvllPKT_S5_PKT0_S8_PS3_S9_
	.p2align	8
	.type	_ZN2at6native12_GLOBAL__N_135GammaBetaBackwardCUDAKernelTemplateIddLj64ELj1ELj32ELb1ELb1ELb1EEEvllPKT_S5_PKT0_S8_PS3_S9_,@function
_ZN2at6native12_GLOBAL__N_135GammaBetaBackwardCUDAKernelTemplateIddLj64ELj1ELj32ELb1ELb1ELb1EEEvllPKT_S5_PKT0_S8_PS3_S9_: ; @_ZN2at6native12_GLOBAL__N_135GammaBetaBackwardCUDAKernelTemplateIddLj64ELj1ELj32ELb1ELb1ELb1EEEvllPKT_S5_PKT0_S8_PS3_S9_
; %bb.0:
	s_load_dwordx4 s[8:11], s[0:1], 0x0
	s_load_dwordx2 s[16:17], s[0:1], 0x30
	s_lshl_b32 s18, s3, 5
	s_mov_b32 s19, 0
	v_mov_b64_e32 v[2:3], s[18:19]
	s_waitcnt lgkmcnt(0)
	v_cmp_le_i64_e32 vcc, s[8:9], v[2:3]
	s_mov_b32 s6, s3
	v_mov_b64_e32 v[4:5], 0
	v_bfe_u32 v2, v0, 10, 10
	s_cbranch_vccnz .LBB119_7
; %bb.1:
	s_load_dword s3, s[0:1], 0x4c
	s_load_dword s7, s[0:1], 0x44
	s_load_dwordx4 s[12:15], s[0:1], 0x10
	s_load_dwordx2 s[22:23], s[0:1], 0x28
	v_and_b32_e32 v1, 0x3ff, v0
	s_waitcnt lgkmcnt(0)
	s_and_b32 s3, s3, 0xffff
	v_mad_u32_u24 v3, v2, s3, v1
	v_lshlrev_b32_e32 v6, 5, v2
	v_mov_b32_e32 v7, 0
	v_lshl_or_b32 v10, s2, 6, v1
	v_mbcnt_lo_u32_b32 v1, -1, 0
	v_and_b32_e32 v4, 63, v3
	v_mov_b32_e32 v5, v7
	v_mbcnt_hi_u32_b32 v1, -1, v1
	s_lshl_b32 s20, s7, 5
	v_lshl_add_u64 v[12:13], v[6:7], 0, s[18:19]
	v_cmp_gt_u32_e64 s[4:5], 32, v4
	v_mov_b32_e32 v11, v7
	v_lshlrev_b32_e32 v1, 2, v1
	v_lshl_add_u64 v[6:7], v[12:13], 0, v[4:5]
	v_mul_lo_u32 v44, s11, v12
	v_mul_lo_u32 v13, s10, v13
	v_mad_u64_u32 v[4:5], s[24:25], s10, v12, 0
	s_mul_i32 s3, s11, s20
	s_mul_hi_u32 s7, s10, s20
	v_and_b32_e32 v1, 0x100, v1
	s_mov_b32 s21, s19
	v_add3_u32 v5, v5, v13, v44
	v_lshlrev_b64 v[10:11], 3, v[10:11]
	s_add_i32 s25, s7, s3
	s_mul_i32 s24, s10, s20
	v_or_b32_e32 v3, 4, v1
	v_or_b32_e32 v14, 8, v1
	;; [unrolled: 1-line block ×31, first 2 shown]
	v_lshl_add_u64 v[8:9], v[6:7], 3, s[22:23]
	s_lshl_b64 s[22:23], s[20:21], 3
	v_lshl_add_u64 v[10:11], v[4:5], 3, v[10:11]
	s_lshl_b64 s[24:25], s[24:25], 3
	s_lshl_b64 s[26:27], s[10:11], 3
	v_mov_b64_e32 v[4:5], 0
	s_branch .LBB119_4
.LBB119_2:                              ;   in Loop: Header=BB119_4 Depth=1
	s_or_b64 exec, exec, s[30:31]
.LBB119_3:                              ;   in Loop: Header=BB119_4 Depth=1
	s_or_b64 exec, exec, s[28:29]
	v_lshl_add_u64 v[44:45], s[12:13], 0, v[10:11]
	v_lshl_add_u64 v[48:49], s[14:15], 0, v[10:11]
	global_load_dwordx2 v[46:47], v[44:45], off
	global_load_dwordx2 v[50:51], v[48:49], off
	v_lshl_add_u64 v[44:45], v[44:45], 0, s[26:27]
	v_lshl_add_u64 v[48:49], v[48:49], 0, s[26:27]
	global_load_dwordx2 v[52:53], v[44:45], off
	global_load_dwordx2 v[54:55], v[48:49], off
	;; [unrolled: 4-line block ×3, first 2 shown]
	s_waitcnt vmcnt(6)
	ds_bpermute_b32 v60, v1, v12
	ds_bpermute_b32 v61, v1, v13
	v_lshl_add_u64 v[44:45], v[44:45], 0, s[26:27]
	v_lshl_add_u64 v[48:49], v[48:49], 0, s[26:27]
	s_add_u32 s18, s18, s20
	s_addc_u32 s19, s19, 0
	v_lshl_add_u64 v[8:9], v[8:9], 0, s[22:23]
	v_lshl_add_u64 v[6:7], v[6:7], 0, s[20:21]
	;; [unrolled: 1-line block ×3, first 2 shown]
	s_waitcnt vmcnt(4)
	v_mul_f64 v[46:47], v[46:47], v[50:51]
	global_load_dwordx2 v[50:51], v[44:45], off
	s_waitcnt lgkmcnt(0)
	v_fmac_f64_e32 v[4:5], v[46:47], v[60:61]
	global_load_dwordx2 v[46:47], v[48:49], off
	ds_bpermute_b32 v60, v3, v12
	ds_bpermute_b32 v61, v3, v13
	v_lshl_add_u64 v[44:45], v[44:45], 0, s[26:27]
	v_lshl_add_u64 v[48:49], v[48:49], 0, s[26:27]
	s_waitcnt vmcnt(4)
	v_mul_f64 v[52:53], v[52:53], v[54:55]
	global_load_dwordx2 v[54:55], v[44:45], off
	s_waitcnt lgkmcnt(0)
	v_fmac_f64_e32 v[4:5], v[52:53], v[60:61]
	global_load_dwordx2 v[52:53], v[48:49], off
	ds_bpermute_b32 v60, v14, v12
	ds_bpermute_b32 v61, v14, v13
	v_lshl_add_u64 v[44:45], v[44:45], 0, s[26:27]
	v_lshl_add_u64 v[48:49], v[48:49], 0, s[26:27]
	;; [unrolled: 10-line block ×25, first 2 shown]
	s_waitcnt vmcnt(4)
	v_mul_f64 v[52:53], v[54:55], v[52:53]
	global_load_dwordx2 v[54:55], v[44:45], off
	s_waitcnt lgkmcnt(0)
	v_fmac_f64_e32 v[4:5], v[52:53], v[60:61]
	ds_bpermute_b32 v60, v38, v12
	ds_bpermute_b32 v61, v38, v13
	global_load_dwordx2 v[52:53], v[48:49], off
	v_lshl_add_u64 v[44:45], v[44:45], 0, s[26:27]
	v_lshl_add_u64 v[48:49], v[48:49], 0, s[26:27]
	s_waitcnt vmcnt(4)
	v_mul_f64 v[56:57], v[58:59], v[56:57]
	s_waitcnt lgkmcnt(0)
	v_fmac_f64_e32 v[4:5], v[56:57], v[60:61]
	ds_bpermute_b32 v60, v39, v12
	ds_bpermute_b32 v61, v39, v13
	global_load_dwordx2 v[58:59], v[44:45], off
	global_load_dwordx2 v[56:57], v[48:49], off
	v_lshl_add_u64 v[44:45], v[44:45], 0, s[26:27]
	v_lshl_add_u64 v[48:49], v[48:49], 0, s[26:27]
	s_waitcnt vmcnt(4)
	v_mul_f64 v[46:47], v[50:51], v[46:47]
	global_load_dwordx2 v[50:51], v[44:45], off
	s_waitcnt lgkmcnt(0)
	v_fmac_f64_e32 v[4:5], v[46:47], v[60:61]
	global_load_dwordx2 v[46:47], v[48:49], off
	v_lshl_add_u64 v[44:45], v[44:45], 0, s[26:27]
	v_lshl_add_u64 v[48:49], v[48:49], 0, s[26:27]
	global_load_dwordx2 v[44:45], v[44:45], off
	ds_bpermute_b32 v60, v40, v12
	global_load_dwordx2 v[48:49], v[48:49], off
	ds_bpermute_b32 v61, v40, v13
	s_waitcnt vmcnt(6)
	v_mul_f64 v[52:53], v[54:55], v[52:53]
	s_waitcnt lgkmcnt(0)
	v_fmac_f64_e32 v[4:5], v[52:53], v[60:61]
	ds_bpermute_b32 v52, v41, v12
	ds_bpermute_b32 v53, v41, v13
	s_waitcnt vmcnt(4)
	v_mul_f64 v[54:55], v[58:59], v[56:57]
	ds_bpermute_b32 v56, v42, v12
	ds_bpermute_b32 v57, v42, v13
	;; [unrolled: 1-line block ×4, first 2 shown]
	s_waitcnt lgkmcnt(4)
	v_fmac_f64_e32 v[4:5], v[54:55], v[52:53]
	s_waitcnt vmcnt(2)
	v_mul_f64 v[46:47], v[50:51], v[46:47]
	s_waitcnt lgkmcnt(2)
	v_fmac_f64_e32 v[4:5], v[46:47], v[56:57]
	s_waitcnt vmcnt(0)
	v_mul_f64 v[44:45], v[44:45], v[48:49]
	s_waitcnt lgkmcnt(0)
	v_fmac_f64_e32 v[4:5], v[44:45], v[12:13]
	v_mov_b64_e32 v[12:13], s[8:9]
	v_cmp_lt_i64_e32 vcc, s[18:19], v[12:13]
	s_cbranch_vccz .LBB119_7
.LBB119_4:                              ; =>This Inner Loop Header: Depth=1
	v_mov_b64_e32 v[12:13], 0
	s_and_saveexec_b64 s[28:29], s[4:5]
	s_cbranch_execz .LBB119_3
; %bb.5:                                ;   in Loop: Header=BB119_4 Depth=1
	v_cmp_gt_i64_e32 vcc, s[8:9], v[6:7]
	v_mov_b64_e32 v[12:13], 0
	s_and_saveexec_b64 s[30:31], vcc
	s_cbranch_execz .LBB119_2
; %bb.6:                                ;   in Loop: Header=BB119_4 Depth=1
	global_load_dwordx2 v[12:13], v[8:9], off
	s_branch .LBB119_2
.LBB119_7:
	s_cmp_eq_u64 s[16:17], 0
	s_cbranch_scc1 .LBB119_9
; %bb.8:
	s_load_dword s0, s[0:1], 0x4c
	v_mov_b32_e32 v3, 0
	v_mov_b32_e32 v1, s6
	s_mov_b32 s3, 0
	v_and_b32_e32 v0, 0x3ff, v0
	s_waitcnt lgkmcnt(0)
	s_lshr_b32 s0, s0, 16
	v_mad_u64_u32 v[6:7], s[0:1], s0, v1, v[2:3]
	v_mul_lo_u32 v1, v7, s10
	v_mul_lo_u32 v2, v6, s11
	v_mad_u64_u32 v[6:7], s[0:1], v6, s10, 0
	v_add3_u32 v7, v7, v2, v1
	v_lshl_add_u64 v[6:7], v[6:7], 3, s[16:17]
	s_lshl_b64 s[0:1], s[2:3], 9
	v_lshl_add_u64 v[6:7], v[6:7], 0, s[0:1]
	v_lshlrev_b32_e32 v2, 3, v0
	v_lshl_add_u64 v[0:1], v[6:7], 0, v[2:3]
	global_store_dwordx2 v[0:1], v[4:5], off
.LBB119_9:
	s_endpgm
	.section	.rodata,"a",@progbits
	.p2align	6, 0x0
	.amdhsa_kernel _ZN2at6native12_GLOBAL__N_135GammaBetaBackwardCUDAKernelTemplateIddLj64ELj1ELj32ELb1ELb1ELb1EEEvllPKT_S5_PKT0_S8_PS3_S9_
		.amdhsa_group_segment_fixed_size 0
		.amdhsa_private_segment_fixed_size 0
		.amdhsa_kernarg_size 320
		.amdhsa_user_sgpr_count 2
		.amdhsa_user_sgpr_dispatch_ptr 0
		.amdhsa_user_sgpr_queue_ptr 0
		.amdhsa_user_sgpr_kernarg_segment_ptr 1
		.amdhsa_user_sgpr_dispatch_id 0
		.amdhsa_user_sgpr_kernarg_preload_length 0
		.amdhsa_user_sgpr_kernarg_preload_offset 0
		.amdhsa_user_sgpr_private_segment_size 0
		.amdhsa_uses_dynamic_stack 0
		.amdhsa_enable_private_segment 0
		.amdhsa_system_sgpr_workgroup_id_x 1
		.amdhsa_system_sgpr_workgroup_id_y 1
		.amdhsa_system_sgpr_workgroup_id_z 0
		.amdhsa_system_sgpr_workgroup_info 0
		.amdhsa_system_vgpr_workitem_id 1
		.amdhsa_next_free_vgpr 62
		.amdhsa_next_free_sgpr 32
		.amdhsa_accum_offset 64
		.amdhsa_reserve_vcc 1
		.amdhsa_float_round_mode_32 0
		.amdhsa_float_round_mode_16_64 0
		.amdhsa_float_denorm_mode_32 3
		.amdhsa_float_denorm_mode_16_64 3
		.amdhsa_dx10_clamp 1
		.amdhsa_ieee_mode 1
		.amdhsa_fp16_overflow 0
		.amdhsa_tg_split 0
		.amdhsa_exception_fp_ieee_invalid_op 0
		.amdhsa_exception_fp_denorm_src 0
		.amdhsa_exception_fp_ieee_div_zero 0
		.amdhsa_exception_fp_ieee_overflow 0
		.amdhsa_exception_fp_ieee_underflow 0
		.amdhsa_exception_fp_ieee_inexact 0
		.amdhsa_exception_int_div_zero 0
	.end_amdhsa_kernel
	.section	.text._ZN2at6native12_GLOBAL__N_135GammaBetaBackwardCUDAKernelTemplateIddLj64ELj1ELj32ELb1ELb1ELb1EEEvllPKT_S5_PKT0_S8_PS3_S9_,"axG",@progbits,_ZN2at6native12_GLOBAL__N_135GammaBetaBackwardCUDAKernelTemplateIddLj64ELj1ELj32ELb1ELb1ELb1EEEvllPKT_S5_PKT0_S8_PS3_S9_,comdat
.Lfunc_end119:
	.size	_ZN2at6native12_GLOBAL__N_135GammaBetaBackwardCUDAKernelTemplateIddLj64ELj1ELj32ELb1ELb1ELb1EEEvllPKT_S5_PKT0_S8_PS3_S9_, .Lfunc_end119-_ZN2at6native12_GLOBAL__N_135GammaBetaBackwardCUDAKernelTemplateIddLj64ELj1ELj32ELb1ELb1ELb1EEEvllPKT_S5_PKT0_S8_PS3_S9_
                                        ; -- End function
	.set _ZN2at6native12_GLOBAL__N_135GammaBetaBackwardCUDAKernelTemplateIddLj64ELj1ELj32ELb1ELb1ELb1EEEvllPKT_S5_PKT0_S8_PS3_S9_.num_vgpr, 62
	.set _ZN2at6native12_GLOBAL__N_135GammaBetaBackwardCUDAKernelTemplateIddLj64ELj1ELj32ELb1ELb1ELb1EEEvllPKT_S5_PKT0_S8_PS3_S9_.num_agpr, 0
	.set _ZN2at6native12_GLOBAL__N_135GammaBetaBackwardCUDAKernelTemplateIddLj64ELj1ELj32ELb1ELb1ELb1EEEvllPKT_S5_PKT0_S8_PS3_S9_.numbered_sgpr, 32
	.set _ZN2at6native12_GLOBAL__N_135GammaBetaBackwardCUDAKernelTemplateIddLj64ELj1ELj32ELb1ELb1ELb1EEEvllPKT_S5_PKT0_S8_PS3_S9_.num_named_barrier, 0
	.set _ZN2at6native12_GLOBAL__N_135GammaBetaBackwardCUDAKernelTemplateIddLj64ELj1ELj32ELb1ELb1ELb1EEEvllPKT_S5_PKT0_S8_PS3_S9_.private_seg_size, 0
	.set _ZN2at6native12_GLOBAL__N_135GammaBetaBackwardCUDAKernelTemplateIddLj64ELj1ELj32ELb1ELb1ELb1EEEvllPKT_S5_PKT0_S8_PS3_S9_.uses_vcc, 1
	.set _ZN2at6native12_GLOBAL__N_135GammaBetaBackwardCUDAKernelTemplateIddLj64ELj1ELj32ELb1ELb1ELb1EEEvllPKT_S5_PKT0_S8_PS3_S9_.uses_flat_scratch, 0
	.set _ZN2at6native12_GLOBAL__N_135GammaBetaBackwardCUDAKernelTemplateIddLj64ELj1ELj32ELb1ELb1ELb1EEEvllPKT_S5_PKT0_S8_PS3_S9_.has_dyn_sized_stack, 0
	.set _ZN2at6native12_GLOBAL__N_135GammaBetaBackwardCUDAKernelTemplateIddLj64ELj1ELj32ELb1ELb1ELb1EEEvllPKT_S5_PKT0_S8_PS3_S9_.has_recursion, 0
	.set _ZN2at6native12_GLOBAL__N_135GammaBetaBackwardCUDAKernelTemplateIddLj64ELj1ELj32ELb1ELb1ELb1EEEvllPKT_S5_PKT0_S8_PS3_S9_.has_indirect_call, 0
	.section	.AMDGPU.csdata,"",@progbits
; Kernel info:
; codeLenInByte = 2880
; TotalNumSgprs: 38
; NumVgprs: 62
; NumAgprs: 0
; TotalNumVgprs: 62
; ScratchSize: 0
; MemoryBound: 0
; FloatMode: 240
; IeeeMode: 1
; LDSByteSize: 0 bytes/workgroup (compile time only)
; SGPRBlocks: 4
; VGPRBlocks: 7
; NumSGPRsForWavesPerEU: 38
; NumVGPRsForWavesPerEU: 62
; AccumOffset: 64
; Occupancy: 8
; WaveLimiterHint : 0
; COMPUTE_PGM_RSRC2:SCRATCH_EN: 0
; COMPUTE_PGM_RSRC2:USER_SGPR: 2
; COMPUTE_PGM_RSRC2:TRAP_HANDLER: 0
; COMPUTE_PGM_RSRC2:TGID_X_EN: 1
; COMPUTE_PGM_RSRC2:TGID_Y_EN: 1
; COMPUTE_PGM_RSRC2:TGID_Z_EN: 0
; COMPUTE_PGM_RSRC2:TIDIG_COMP_CNT: 1
; COMPUTE_PGM_RSRC3_GFX90A:ACCUM_OFFSET: 15
; COMPUTE_PGM_RSRC3_GFX90A:TG_SPLIT: 0
	.section	.text._ZN2at6native12_GLOBAL__N_135GammaBetaBackwardCUDAKernelTemplateIddLj64ELj1ELj32ELb1ELb0ELb1EEEvllPKT_S5_PKT0_S8_PS3_S9_,"axG",@progbits,_ZN2at6native12_GLOBAL__N_135GammaBetaBackwardCUDAKernelTemplateIddLj64ELj1ELj32ELb1ELb0ELb1EEEvllPKT_S5_PKT0_S8_PS3_S9_,comdat
	.globl	_ZN2at6native12_GLOBAL__N_135GammaBetaBackwardCUDAKernelTemplateIddLj64ELj1ELj32ELb1ELb0ELb1EEEvllPKT_S5_PKT0_S8_PS3_S9_ ; -- Begin function _ZN2at6native12_GLOBAL__N_135GammaBetaBackwardCUDAKernelTemplateIddLj64ELj1ELj32ELb1ELb0ELb1EEEvllPKT_S5_PKT0_S8_PS3_S9_
	.p2align	8
	.type	_ZN2at6native12_GLOBAL__N_135GammaBetaBackwardCUDAKernelTemplateIddLj64ELj1ELj32ELb1ELb0ELb1EEEvllPKT_S5_PKT0_S8_PS3_S9_,@function
_ZN2at6native12_GLOBAL__N_135GammaBetaBackwardCUDAKernelTemplateIddLj64ELj1ELj32ELb1ELb0ELb1EEEvllPKT_S5_PKT0_S8_PS3_S9_: ; @_ZN2at6native12_GLOBAL__N_135GammaBetaBackwardCUDAKernelTemplateIddLj64ELj1ELj32ELb1ELb0ELb1EEEvllPKT_S5_PKT0_S8_PS3_S9_
; %bb.0:
	s_load_dwordx8 s[12:19], s[0:1], 0x0
	s_load_dwordx2 s[10:11], s[0:1], 0x28
	s_mov_b32 s8, s3
	s_lshl_b32 s3, s2, 6
	s_or_b32 s4, s3, 63
	v_mov_b32_e32 v69, v0
	s_mov_b32 s21, 0
	v_mov_b32_e32 v0, s4
	v_mov_b32_e32 v1, 0
	s_lshl_b32 s20, s8, 5
	s_waitcnt lgkmcnt(0)
	v_cmp_le_i64_e32 vcc, s[14:15], v[0:1]
	v_mov_b64_e32 v[0:1], s[20:21]
	v_cmp_gt_i64_e64 s[4:5], s[12:13], v[0:1]
	s_nop 1
	v_cndmask_b32_e64 v0, 0, 1, s[4:5]
	v_cmp_ne_u32_e64 s[4:5], 1, v0
	s_cbranch_vccz .LBB120_145
; %bb.1:
	s_and_b64 vcc, exec, s[4:5]
	v_mov_b64_e32 v[6:7], 0
	s_cbranch_vccnz .LBB120_147
; %bb.2:
	v_mov_b32_e32 v1, 0
	v_bfe_u32 v2, v69, 10, 10
	v_lshlrev_b32_e32 v4, 5, v2
	v_mov_b32_e32 v5, v1
	v_accvgpr_write_b32 a1, v2
	v_lshl_add_u64 v[2:3], v[4:5], 0, s[20:21]
	v_mul_lo_u32 v132, s15, v2
	v_mul_lo_u32 v133, s14, v3
	v_mad_u64_u32 v[6:7], s[26:27], s14, v2, 0
	v_add3_u32 v7, v7, v133, v132
	v_lshlrev_b64 v[6:7], 3, v[6:7]
	v_lshl_add_u64 v[8:9], s[16:17], 0, v[6:7]
	v_lshl_add_u64 v[10:11], s[18:19], 0, v[6:7]
	v_lshl_add_u64 v[6:7], v[2:3], 0, 31
	v_mul_lo_u32 v12, s15, v6
	v_mul_lo_u32 v13, s14, v7
	v_mad_u64_u32 v[6:7], s[30:31], s14, v6, 0
	v_add3_u32 v7, v7, v13, v12
	v_lshlrev_b64 v[6:7], 3, v[6:7]
	v_lshl_add_u64 v[12:13], s[16:17], 0, v[6:7]
	v_lshl_add_u64 v[14:15], s[18:19], 0, v[6:7]
	;; [unrolled: 8-line block ×15, first 2 shown]
	v_lshl_add_u64 v[6:7], v[2:3], 0, 17
	v_and_b32_e32 v0, 0x3ff, v69
	v_mov_b32_e32 v153, v69
	v_mul_lo_u32 v68, s15, v6
	v_mul_lo_u32 v69, s14, v7
	v_mad_u64_u32 v[6:7], s[30:31], s14, v6, 0
	v_add3_u32 v7, v7, v69, v68
	v_lshlrev_b64 v[6:7], 3, v[6:7]
	v_lshl_add_u64 v[68:69], s[16:17], 0, v[6:7]
	v_lshl_add_u64 v[70:71], s[18:19], 0, v[6:7]
	v_lshl_add_u64 v[6:7], v[2:3], 0, 16
	v_mul_lo_u32 v72, s15, v6
	v_mul_lo_u32 v73, s14, v7
	v_mad_u64_u32 v[6:7], s[30:31], s14, v6, 0
	v_add3_u32 v7, v7, v73, v72
	v_lshlrev_b64 v[6:7], 3, v[6:7]
	v_lshl_add_u64 v[72:73], s[16:17], 0, v[6:7]
	v_lshl_add_u64 v[74:75], s[18:19], 0, v[6:7]
	v_lshl_add_u64 v[6:7], v[2:3], 0, 15
	;; [unrolled: 8-line block ×15, first 2 shown]
	v_mul_lo_u32 v3, s15, v6
	v_mul_lo_u32 v128, s14, v7
	v_mad_u64_u32 v[6:7], s[30:31], s14, v6, 0
	v_add3_u32 v7, v7, v128, v3
	s_load_dword s9, s[0:1], 0x44
	v_lshlrev_b64 v[6:7], 3, v[6:7]
	v_lshl_add_u64 v[128:129], s[16:17], 0, v[6:7]
	v_lshl_add_u64 v[130:131], s[18:19], 0, v[6:7]
	v_mov_b64_e32 v[6:7], s[14:15]
	v_mad_u64_u32 v[2:3], s[30:31], s14, v2, v[6:7]
	v_add3_u32 v3, v132, v3, v133
	s_add_u32 s24, s0, 64
	v_lshlrev_b64 v[2:3], 3, v[2:3]
	s_addc_u32 s25, s1, 0
	s_waitcnt lgkmcnt(0)
	s_lshl_b32 s22, s9, 5
	v_lshl_add_u64 v[132:133], s[16:17], 0, v[2:3]
	v_lshl_add_u64 v[134:135], s[18:19], 0, v[2:3]
	v_mbcnt_lo_u32_b32 v2, -1, 0
	s_mul_i32 s9, s15, s22
	s_mul_hi_u32 s26, s14, s22
	v_mbcnt_hi_u32_b32 v2, -1, v2
	v_accvgpr_write_b32 a0, v0
	v_add_u32_e32 v0, s3, v0
	s_add_i32 s27, s26, s9
	s_mul_i32 s26, s14, s22
	v_lshlrev_b32_e32 v2, 2, v2
	s_mov_b32 s23, 0
	v_cmp_gt_i64_e64 s[6:7], s[14:15], v[0:1]
	v_accvgpr_write_b32 a3, v1
	v_lshlrev_b64 v[0:1], 3, v[0:1]
	s_lshl_b64 s[26:27], s[26:27], 3
	s_mov_b64 s[28:29], 31
	v_mov_b64_e32 v[136:137], 0
	v_and_b32_e32 v152, 0x100, v2
	s_mov_b64 s[30:31], s[20:21]
.LBB120_3:                              ; =>This Inner Loop Header: Depth=1
	s_add_u32 s34, s20, s28
	s_addc_u32 s35, 0, s29
	v_mov_b64_e32 v[2:3], s[12:13]
	v_cmp_ge_i64_e32 vcc, s[34:35], v[2:3]
	v_lshl_add_u64 v[138:139], s[20:21], 0, v[4:5]
	s_mov_b64 s[34:35], -1
                                        ; implicit-def: $vgpr6_vgpr7
                                        ; implicit-def: $vgpr142_vgpr143
                                        ; implicit-def: $vgpr2
	s_cbranch_vccz .LBB120_73
; %bb.4:                                ;   in Loop: Header=BB120_3 Depth=1
	s_load_dword s9, s[24:25], 0xc
	v_accvgpr_read_b32 v2, a0
	v_accvgpr_read_b32 v3, a1
	v_mov_b64_e32 v[154:155], 0
	v_mov_b64_e32 v[140:141], 0
	s_waitcnt lgkmcnt(0)
	s_and_b32 s9, s9, 0xffff
	v_mad_u32_u24 v2, v3, s9, v2
	v_and_b32_e32 v2, 63, v2
	v_accvgpr_read_b32 v3, a3
	v_accvgpr_write_b32 a2, v2
	v_accvgpr_write_b32 a3, v3
	v_cmp_gt_u32_e32 vcc, 32, v2
	s_and_saveexec_b64 s[34:35], vcc
	s_cbranch_execz .LBB120_8
; %bb.5:                                ;   in Loop: Header=BB120_3 Depth=1
	v_accvgpr_read_b32 v2, a2
	v_accvgpr_read_b32 v3, a3
	v_lshl_add_u64 v[2:3], v[138:139], 0, v[2:3]
	v_cmp_gt_i64_e32 vcc, s[12:13], v[2:3]
	v_mov_b64_e32 v[140:141], 0
	s_and_saveexec_b64 s[36:37], vcc
	s_cbranch_execz .LBB120_7
; %bb.6:                                ;   in Loop: Header=BB120_3 Depth=1
	v_lshl_add_u64 v[2:3], v[2:3], 3, s[10:11]
	global_load_dwordx2 v[140:141], v[2:3], off
.LBB120_7:                              ;   in Loop: Header=BB120_3 Depth=1
	s_or_b64 exec, exec, s[36:37]
.LBB120_8:                              ;   in Loop: Header=BB120_3 Depth=1
	s_or_b64 exec, exec, s[34:35]
	v_cmp_gt_i64_e32 vcc, s[12:13], v[138:139]
	v_accvgpr_write_b32 a6, 0
	s_and_b64 s[36:37], s[6:7], vcc
	v_accvgpr_write_b32 a7, 0
	s_and_saveexec_b64 s[34:35], s[36:37]
	s_cbranch_execz .LBB120_10
; %bb.9:                                ;   in Loop: Header=BB120_3 Depth=1
	v_lshl_add_u64 v[2:3], v[8:9], 0, v[0:1]
	global_load_dwordx2 v[154:155], v[2:3], off
	v_lshl_add_u64 v[2:3], v[10:11], 0, v[0:1]
	global_load_dwordx2 a[6:7], v[2:3], off
.LBB120_10:                             ;   in Loop: Header=BB120_3 Depth=1
	s_or_b64 exec, exec, s[34:35]
	v_lshl_add_u64 v[2:3], v[138:139], 0, 1
	v_cmp_gt_i64_e32 vcc, s[12:13], v[2:3]
	v_accvgpr_write_b32 a12, 0
	s_and_b64 s[36:37], s[6:7], vcc
	v_mov_b64_e32 v[6:7], 0
	v_mov_b64_e32 v[156:157], 0
	v_accvgpr_write_b32 a13, 0
	s_and_saveexec_b64 s[34:35], s[36:37]
	s_cbranch_execz .LBB120_12
; %bb.11:                               ;   in Loop: Header=BB120_3 Depth=1
	v_lshl_add_u64 v[2:3], v[132:133], 0, v[0:1]
	global_load_dwordx2 v[156:157], v[2:3], off
	v_lshl_add_u64 v[2:3], v[134:135], 0, v[0:1]
	global_load_dwordx2 a[12:13], v[2:3], off
.LBB120_12:                             ;   in Loop: Header=BB120_3 Depth=1
	s_or_b64 exec, exec, s[34:35]
	v_lshl_add_u64 v[2:3], v[138:139], 0, 2
	v_cmp_gt_i64_e32 vcc, s[12:13], v[2:3]
	v_accvgpr_write_b32 a16, 0
	s_and_b64 s[36:37], s[6:7], vcc
	v_accvgpr_write_b32 a17, 0
	s_and_saveexec_b64 s[34:35], s[36:37]
	s_cbranch_execz .LBB120_14
; %bb.13:                               ;   in Loop: Header=BB120_3 Depth=1
	v_lshl_add_u64 v[2:3], v[128:129], 0, v[0:1]
	global_load_dwordx2 v[6:7], v[2:3], off
	v_lshl_add_u64 v[2:3], v[130:131], 0, v[0:1]
	global_load_dwordx2 a[16:17], v[2:3], off
.LBB120_14:                             ;   in Loop: Header=BB120_3 Depth=1
	s_or_b64 exec, exec, s[34:35]
	v_lshl_add_u64 v[2:3], v[138:139], 0, 3
	v_cmp_gt_i64_e32 vcc, s[12:13], v[2:3]
	v_accvgpr_write_b32 a18, 0
	s_and_b64 s[36:37], s[6:7], vcc
	v_mov_b64_e32 v[158:159], 0
	v_accvgpr_write_b32 a19, 0
	v_mov_b64_e32 v[160:161], 0
	s_and_saveexec_b64 s[34:35], s[36:37]
	s_cbranch_execz .LBB120_16
; %bb.15:                               ;   in Loop: Header=BB120_3 Depth=1
	v_lshl_add_u64 v[2:3], v[124:125], 0, v[0:1]
	global_load_dwordx2 a[18:19], v[2:3], off
	v_lshl_add_u64 v[2:3], v[126:127], 0, v[0:1]
	global_load_dwordx2 v[160:161], v[2:3], off
.LBB120_16:                             ;   in Loop: Header=BB120_3 Depth=1
	s_or_b64 exec, exec, s[34:35]
	v_lshl_add_u64 v[2:3], v[138:139], 0, 4
	v_cmp_gt_i64_e32 vcc, s[12:13], v[2:3]
	v_accvgpr_write_b32 a20, 0
	s_and_b64 s[36:37], s[6:7], vcc
	v_accvgpr_write_b32 a21, 0
	s_and_saveexec_b64 s[34:35], s[36:37]
	s_cbranch_execz .LBB120_18
; %bb.17:                               ;   in Loop: Header=BB120_3 Depth=1
	v_lshl_add_u64 v[2:3], v[120:121], 0, v[0:1]
	global_load_dwordx2 v[158:159], v[2:3], off
	v_lshl_add_u64 v[2:3], v[122:123], 0, v[0:1]
	global_load_dwordx2 a[20:21], v[2:3], off
.LBB120_18:                             ;   in Loop: Header=BB120_3 Depth=1
	s_or_b64 exec, exec, s[34:35]
	v_lshl_add_u64 v[2:3], v[138:139], 0, 5
	v_cmp_gt_i64_e32 vcc, s[12:13], v[2:3]
	s_and_b64 s[36:37], s[6:7], vcc
	v_mov_b64_e32 v[162:163], 0
	v_mov_b64_e32 v[164:165], 0
	v_mov_b64_e32 v[166:167], 0
	s_and_saveexec_b64 s[34:35], s[36:37]
	s_cbranch_execz .LBB120_20
; %bb.19:                               ;   in Loop: Header=BB120_3 Depth=1
	v_lshl_add_u64 v[2:3], v[116:117], 0, v[0:1]
	global_load_dwordx2 v[164:165], v[2:3], off
	v_lshl_add_u64 v[2:3], v[118:119], 0, v[0:1]
	global_load_dwordx2 v[166:167], v[2:3], off
.LBB120_20:                             ;   in Loop: Header=BB120_3 Depth=1
	s_or_b64 exec, exec, s[34:35]
	v_lshl_add_u64 v[2:3], v[138:139], 0, 6
	v_cmp_gt_i64_e32 vcc, s[12:13], v[2:3]
	s_and_b64 s[36:37], s[6:7], vcc
	v_mov_b64_e32 v[176:177], 0
	s_and_saveexec_b64 s[34:35], s[36:37]
	s_cbranch_execz .LBB120_22
; %bb.21:                               ;   in Loop: Header=BB120_3 Depth=1
	v_lshl_add_u64 v[2:3], v[112:113], 0, v[0:1]
	global_load_dwordx2 v[162:163], v[2:3], off
	v_lshl_add_u64 v[2:3], v[114:115], 0, v[0:1]
	global_load_dwordx2 v[176:177], v[2:3], off
.LBB120_22:                             ;   in Loop: Header=BB120_3 Depth=1
	s_or_b64 exec, exec, s[34:35]
	v_lshl_add_u64 v[2:3], v[138:139], 0, 7
	v_cmp_gt_i64_e32 vcc, s[12:13], v[2:3]
	s_and_b64 s[36:37], s[6:7], vcc
	v_mov_b64_e32 v[168:169], 0
	v_mov_b64_e32 v[170:171], 0
	v_mov_b64_e32 v[172:173], 0
	s_and_saveexec_b64 s[34:35], s[36:37]
	s_cbranch_execz .LBB120_24
; %bb.23:                               ;   in Loop: Header=BB120_3 Depth=1
	v_lshl_add_u64 v[2:3], v[108:109], 0, v[0:1]
	global_load_dwordx2 v[170:171], v[2:3], off
	v_lshl_add_u64 v[2:3], v[110:111], 0, v[0:1]
	global_load_dwordx2 v[172:173], v[2:3], off
.LBB120_24:                             ;   in Loop: Header=BB120_3 Depth=1
	s_or_b64 exec, exec, s[34:35]
	v_lshl_add_u64 v[2:3], v[138:139], 0, 8
	v_cmp_gt_i64_e32 vcc, s[12:13], v[2:3]
	s_and_b64 s[36:37], s[6:7], vcc
	v_mov_b64_e32 v[178:179], 0
	;; [unrolled: 28-line block ×13, first 2 shown]
	s_and_saveexec_b64 s[34:35], s[36:37]
	s_cbranch_execz .LBB120_70
; %bb.69:                               ;   in Loop: Header=BB120_3 Depth=1
	v_lshl_add_u64 v[142:143], v[16:17], 0, v[0:1]
	global_load_dwordx2 v[144:145], v[142:143], off
	v_lshl_add_u64 v[142:143], v[18:19], 0, v[0:1]
	global_load_dwordx2 v[150:151], v[142:143], off
.LBB120_70:                             ;   in Loop: Header=BB120_3 Depth=1
	s_or_b64 exec, exec, s[34:35]
	v_lshl_add_u64 v[142:143], v[138:139], 0, 31
	s_waitcnt vmcnt(1)
	v_accvgpr_write_b32 a14, v158
	v_accvgpr_write_b32 a10, v156
	;; [unrolled: 1-line block ×3, first 2 shown]
	v_cmp_gt_i64_e32 vcc, s[12:13], v[142:143]
	v_accvgpr_write_b32 a15, v159
	v_accvgpr_write_b32 a11, v157
	v_mov_b64_e32 v[156:157], v[154:155]
	v_accvgpr_write_b32 a5, v7
	s_and_b64 s[36:37], s[6:7], vcc
	v_mov_b64_e32 v[142:143], 0
	s_and_saveexec_b64 s[34:35], s[36:37]
	s_cbranch_execz .LBB120_72
; %bb.71:                               ;   in Loop: Header=BB120_3 Depth=1
	v_lshl_add_u64 v[142:143], v[12:13], 0, v[0:1]
	v_lshl_add_u64 v[6:7], v[14:15], 0, v[0:1]
	global_load_dwordx2 v[142:143], v[142:143], off
	s_nop 0
	global_load_dwordx2 v[6:7], v[6:7], off
	s_waitcnt vmcnt(0)
	v_mul_f64 v[142:143], v[142:143], v[6:7]
.LBB120_72:                             ;   in Loop: Header=BB120_3 Depth=1
	s_or_b64 exec, exec, s[34:35]
	s_waitcnt vmcnt(0)
	ds_bpermute_b32 v6, v152, v140
	ds_bpermute_b32 v7, v152, v141
	v_accvgpr_read_b32 v155, a7
	v_accvgpr_read_b32 v154, a6
	v_mul_f64 v[154:155], v[156:157], v[154:155]
	v_accvgpr_read_b32 v157, a11
	s_waitcnt lgkmcnt(0)
	v_fma_f64 v[6:7], v[154:155], v[6:7], v[136:137]
	ds_bpermute_b32 v154, v152, v140 offset:4
	ds_bpermute_b32 v155, v152, v141 offset:4
	v_accvgpr_read_b32 v159, a13
	v_accvgpr_read_b32 v156, a10
	;; [unrolled: 1-line block ×3, first 2 shown]
	v_mul_f64 v[156:157], v[156:157], v[158:159]
	s_waitcnt lgkmcnt(0)
	v_fmac_f64_e32 v[6:7], v[156:157], v[154:155]
	ds_bpermute_b32 v154, v152, v140 offset:8
	ds_bpermute_b32 v155, v152, v141 offset:8
	v_accvgpr_read_b32 v157, a5
	v_accvgpr_read_b32 v159, a17
	;; [unrolled: 1-line block ×4, first 2 shown]
	v_mul_f64 v[156:157], v[156:157], v[158:159]
	s_waitcnt lgkmcnt(0)
	v_fmac_f64_e32 v[6:7], v[156:157], v[154:155]
	ds_bpermute_b32 v154, v152, v140 offset:12
	ds_bpermute_b32 v155, v152, v141 offset:12
	v_accvgpr_read_b32 v157, a19
	v_accvgpr_read_b32 v156, a18
	v_mul_f64 v[156:157], v[156:157], v[160:161]
	v_accvgpr_read_b32 v159, a21
	s_waitcnt lgkmcnt(0)
	v_fmac_f64_e32 v[6:7], v[156:157], v[154:155]
	ds_bpermute_b32 v154, v152, v140 offset:16
	ds_bpermute_b32 v155, v152, v141 offset:16
	v_accvgpr_read_b32 v157, a15
	v_accvgpr_read_b32 v156, a14
	;; [unrolled: 1-line block ×3, first 2 shown]
	v_mul_f64 v[156:157], v[156:157], v[158:159]
	s_waitcnt lgkmcnt(0)
	v_fmac_f64_e32 v[6:7], v[156:157], v[154:155]
	ds_bpermute_b32 v154, v152, v140 offset:20
	ds_bpermute_b32 v155, v152, v141 offset:20
	v_mul_f64 v[156:157], v[164:165], v[166:167]
	v_mul_f64 v[2:3], v[252:253], v[2:3]
	;; [unrolled: 1-line block ×4, first 2 shown]
	s_waitcnt lgkmcnt(0)
	v_fmac_f64_e32 v[6:7], v[156:157], v[154:155]
	ds_bpermute_b32 v154, v152, v140 offset:24
	ds_bpermute_b32 v155, v152, v141 offset:24
	v_mul_f64 v[156:157], v[162:163], v[176:177]
	s_mov_b64 s[34:35], 0
	s_waitcnt lgkmcnt(0)
	v_fmac_f64_e32 v[6:7], v[156:157], v[154:155]
	ds_bpermute_b32 v154, v152, v140 offset:28
	ds_bpermute_b32 v155, v152, v141 offset:28
	v_mul_f64 v[156:157], v[170:171], v[172:173]
	s_waitcnt lgkmcnt(0)
	v_fmac_f64_e32 v[6:7], v[156:157], v[154:155]
	ds_bpermute_b32 v154, v152, v140 offset:32
	ds_bpermute_b32 v155, v152, v141 offset:32
	v_mul_f64 v[156:157], v[168:169], v[178:179]
	;; [unrolled: 5-line block ×20, first 2 shown]
	s_waitcnt lgkmcnt(0)
	v_fmac_f64_e32 v[6:7], v[156:157], v[154:155]
	ds_bpermute_b32 v154, v152, v140 offset:108
	ds_bpermute_b32 v155, v152, v141 offset:108
	s_waitcnt lgkmcnt(0)
	v_fmac_f64_e32 v[6:7], v[2:3], v[154:155]
	ds_bpermute_b32 v2, v152, v140 offset:112
	ds_bpermute_b32 v3, v152, v141 offset:112
	v_mul_f64 v[154:155], v[246:247], v[254:255]
	s_waitcnt lgkmcnt(0)
	v_fmac_f64_e32 v[6:7], v[154:155], v[2:3]
	ds_bpermute_b32 v2, v152, v140 offset:116
	ds_bpermute_b32 v3, v152, v141 offset:116
	s_waitcnt lgkmcnt(0)
	v_fmac_f64_e32 v[6:7], v[146:147], v[2:3]
	ds_bpermute_b32 v2, v152, v140 offset:120
	ds_bpermute_b32 v3, v152, v141 offset:120
	;; [unrolled: 4-line block ×3, first 2 shown]
.LBB120_73:                             ;   in Loop: Header=BB120_3 Depth=1
	s_and_b64 vcc, exec, s[34:35]
	s_cbranch_vccz .LBB120_143
; %bb.74:                               ;   in Loop: Header=BB120_3 Depth=1
	s_load_dword s9, s[24:25], 0x0
	v_accvgpr_read_b32 v7, a3
	s_waitcnt lgkmcnt(0)
	v_accvgpr_read_b32 v3, a0
	v_accvgpr_read_b32 v6, a1
	v_mov_b64_e32 v[148:149], 0
	s_cmp_lt_u32 s2, s9
	s_cselect_b32 s9, 12, 18
	s_add_u32 s34, s24, s9
	s_addc_u32 s35, s25, 0
	global_load_ushort v2, v7, s[34:35]
	s_waitcnt vmcnt(0)
	v_mad_u32_u24 v2, v6, v2, v3
	v_and_b32_e32 v6, 63, v2
	v_accvgpr_write_b32 a2, v6
	v_accvgpr_write_b32 a3, v7
	v_cmp_gt_u32_e32 vcc, 32, v6
	v_mov_b64_e32 v[6:7], 0
	s_and_saveexec_b64 s[34:35], vcc
	s_cbranch_execz .LBB120_78
; %bb.75:                               ;   in Loop: Header=BB120_3 Depth=1
	v_accvgpr_read_b32 v2, a2
	v_accvgpr_read_b32 v3, a3
	v_lshl_add_u64 v[2:3], v[138:139], 0, v[2:3]
	v_cmp_gt_i64_e32 vcc, s[12:13], v[2:3]
	v_mov_b64_e32 v[6:7], 0
	s_and_saveexec_b64 s[36:37], vcc
	s_cbranch_execz .LBB120_77
; %bb.76:                               ;   in Loop: Header=BB120_3 Depth=1
	v_lshl_add_u64 v[2:3], v[2:3], 3, s[10:11]
	global_load_dwordx2 v[6:7], v[2:3], off
.LBB120_77:                             ;   in Loop: Header=BB120_3 Depth=1
	s_or_b64 exec, exec, s[36:37]
.LBB120_78:                             ;   in Loop: Header=BB120_3 Depth=1
	s_or_b64 exec, exec, s[34:35]
	v_mov_b64_e32 v[146:147], 0
	s_and_saveexec_b64 s[34:35], s[6:7]
	s_cbranch_execz .LBB120_80
; %bb.79:                               ;   in Loop: Header=BB120_3 Depth=1
	v_lshl_add_u64 v[2:3], v[8:9], 0, v[0:1]
	global_load_dwordx2 v[148:149], v[2:3], off
	v_lshl_add_u64 v[2:3], v[10:11], 0, v[0:1]
	global_load_dwordx2 v[146:147], v[2:3], off
.LBB120_80:                             ;   in Loop: Header=BB120_3 Depth=1
	s_or_b64 exec, exec, s[34:35]
	v_accvgpr_write_b32 a10, 0
	v_accvgpr_write_b32 a12, 0
	v_mov_b64_e32 v[150:151], 0
	v_accvgpr_write_b32 a11, 0
	v_accvgpr_write_b32 a13, 0
	s_and_saveexec_b64 s[34:35], s[6:7]
	s_cbranch_execz .LBB120_82
; %bb.81:                               ;   in Loop: Header=BB120_3 Depth=1
	v_lshl_add_u64 v[2:3], v[132:133], 0, v[0:1]
	global_load_dwordx2 a[10:11], v[2:3], off
	v_lshl_add_u64 v[2:3], v[134:135], 0, v[0:1]
	global_load_dwordx2 a[12:13], v[2:3], off
.LBB120_82:                             ;   in Loop: Header=BB120_3 Depth=1
	s_or_b64 exec, exec, s[34:35]
	v_accvgpr_write_b32 a14, 0
	v_accvgpr_write_b32 a15, 0
	s_and_saveexec_b64 s[34:35], s[6:7]
	s_cbranch_execz .LBB120_84
; %bb.83:                               ;   in Loop: Header=BB120_3 Depth=1
	v_lshl_add_u64 v[2:3], v[128:129], 0, v[0:1]
	global_load_dwordx2 v[150:151], v[2:3], off
	v_lshl_add_u64 v[2:3], v[130:131], 0, v[0:1]
	global_load_dwordx2 a[14:15], v[2:3], off
.LBB120_84:                             ;   in Loop: Header=BB120_3 Depth=1
	s_or_b64 exec, exec, s[34:35]
	v_accvgpr_write_b32 a8, 0
	v_accvgpr_write_b32 a9, 0
	v_mov_b64_e32 v[158:159], 0
	v_mov_b64_e32 v[160:161], 0
	s_and_saveexec_b64 s[34:35], s[6:7]
	s_cbranch_execz .LBB120_86
; %bb.85:                               ;   in Loop: Header=BB120_3 Depth=1
	v_lshl_add_u64 v[2:3], v[124:125], 0, v[0:1]
	global_load_dwordx2 v[158:159], v[2:3], off
	v_lshl_add_u64 v[2:3], v[126:127], 0, v[0:1]
	global_load_dwordx2 v[160:161], v[2:3], off
.LBB120_86:                             ;   in Loop: Header=BB120_3 Depth=1
	s_or_b64 exec, exec, s[34:35]
	v_mov_b64_e32 v[154:155], 0
	s_and_saveexec_b64 s[34:35], s[6:7]
	s_cbranch_execz .LBB120_88
; %bb.87:                               ;   in Loop: Header=BB120_3 Depth=1
	v_lshl_add_u64 v[2:3], v[120:121], 0, v[0:1]
	global_load_dwordx2 a[8:9], v[2:3], off
	v_lshl_add_u64 v[2:3], v[122:123], 0, v[0:1]
	global_load_dwordx2 v[154:155], v[2:3], off
.LBB120_88:                             ;   in Loop: Header=BB120_3 Depth=1
	s_or_b64 exec, exec, s[34:35]
	v_mov_b64_e32 v[156:157], 0
	v_mov_b64_e32 v[164:165], 0
	v_mov_b64_e32 v[168:169], 0
	s_and_saveexec_b64 s[34:35], s[6:7]
	s_cbranch_execz .LBB120_90
; %bb.89:                               ;   in Loop: Header=BB120_3 Depth=1
	v_lshl_add_u64 v[2:3], v[116:117], 0, v[0:1]
	global_load_dwordx2 v[164:165], v[2:3], off
	v_lshl_add_u64 v[2:3], v[118:119], 0, v[0:1]
	global_load_dwordx2 v[168:169], v[2:3], off
.LBB120_90:                             ;   in Loop: Header=BB120_3 Depth=1
	s_or_b64 exec, exec, s[34:35]
	v_mov_b64_e32 v[174:175], 0
	s_and_saveexec_b64 s[34:35], s[6:7]
	s_cbranch_execz .LBB120_92
; %bb.91:                               ;   in Loop: Header=BB120_3 Depth=1
	v_lshl_add_u64 v[2:3], v[112:113], 0, v[0:1]
	global_load_dwordx2 v[156:157], v[2:3], off
	v_lshl_add_u64 v[2:3], v[114:115], 0, v[0:1]
	global_load_dwordx2 v[174:175], v[2:3], off
.LBB120_92:                             ;   in Loop: Header=BB120_3 Depth=1
	s_or_b64 exec, exec, s[34:35]
	v_mov_b64_e32 v[162:163], 0
	;; [unrolled: 22-line block ×3, first 2 shown]
	v_mov_b64_e32 v[182:183], 0
	v_mov_b64_e32 v[184:185], 0
	s_and_saveexec_b64 s[34:35], s[6:7]
	s_cbranch_execz .LBB120_98
; %bb.97:                               ;   in Loop: Header=BB120_3 Depth=1
	v_lshl_add_u64 v[2:3], v[100:101], 0, v[0:1]
	global_load_dwordx2 v[182:183], v[2:3], off
	v_lshl_add_u64 v[2:3], v[102:103], 0, v[0:1]
	global_load_dwordx2 v[184:185], v[2:3], off
.LBB120_98:                             ;   in Loop: Header=BB120_3 Depth=1
	s_or_b64 exec, exec, s[34:35]
	v_mov_b64_e32 v[178:179], 0
	s_and_saveexec_b64 s[34:35], s[6:7]
	s_cbranch_execz .LBB120_100
; %bb.99:                               ;   in Loop: Header=BB120_3 Depth=1
	v_lshl_add_u64 v[2:3], v[96:97], 0, v[0:1]
	global_load_dwordx2 v[166:167], v[2:3], off
	v_lshl_add_u64 v[2:3], v[98:99], 0, v[0:1]
	global_load_dwordx2 v[178:179], v[2:3], off
.LBB120_100:                            ;   in Loop: Header=BB120_3 Depth=1
	s_or_b64 exec, exec, s[34:35]
	v_mov_b64_e32 v[180:181], 0
	v_mov_b64_e32 v[188:189], 0
	v_mov_b64_e32 v[192:193], 0
	s_and_saveexec_b64 s[34:35], s[6:7]
	s_cbranch_execz .LBB120_102
; %bb.101:                              ;   in Loop: Header=BB120_3 Depth=1
	v_lshl_add_u64 v[2:3], v[92:93], 0, v[0:1]
	global_load_dwordx2 v[188:189], v[2:3], off
	v_lshl_add_u64 v[2:3], v[94:95], 0, v[0:1]
	global_load_dwordx2 v[192:193], v[2:3], off
.LBB120_102:                            ;   in Loop: Header=BB120_3 Depth=1
	s_or_b64 exec, exec, s[34:35]
	v_mov_b64_e32 v[198:199], 0
	s_and_saveexec_b64 s[34:35], s[6:7]
	s_cbranch_execz .LBB120_104
; %bb.103:                              ;   in Loop: Header=BB120_3 Depth=1
	v_lshl_add_u64 v[2:3], v[88:89], 0, v[0:1]
	global_load_dwordx2 v[180:181], v[2:3], off
	v_lshl_add_u64 v[2:3], v[90:91], 0, v[0:1]
	global_load_dwordx2 v[198:199], v[2:3], off
.LBB120_104:                            ;   in Loop: Header=BB120_3 Depth=1
	s_or_b64 exec, exec, s[34:35]
	v_mov_b64_e32 v[186:187], 0
	v_mov_b64_e32 v[194:195], 0
	v_mov_b64_e32 v[196:197], 0
	s_and_saveexec_b64 s[34:35], s[6:7]
	s_cbranch_execz .LBB120_106
; %bb.105:                              ;   in Loop: Header=BB120_3 Depth=1
	v_lshl_add_u64 v[2:3], v[84:85], 0, v[0:1]
	global_load_dwordx2 v[194:195], v[2:3], off
	v_lshl_add_u64 v[2:3], v[86:87], 0, v[0:1]
	global_load_dwordx2 v[196:197], v[2:3], off
.LBB120_106:                            ;   in Loop: Header=BB120_3 Depth=1
	s_or_b64 exec, exec, s[34:35]
	v_mov_b64_e32 v[200:201], 0
	s_and_saveexec_b64 s[34:35], s[6:7]
	s_cbranch_execz .LBB120_108
; %bb.107:                              ;   in Loop: Header=BB120_3 Depth=1
	v_lshl_add_u64 v[2:3], v[80:81], 0, v[0:1]
	global_load_dwordx2 v[186:187], v[2:3], off
	v_lshl_add_u64 v[2:3], v[82:83], 0, v[0:1]
	global_load_dwordx2 v[200:201], v[2:3], off
.LBB120_108:                            ;   in Loop: Header=BB120_3 Depth=1
	;; [unrolled: 22-line block ×10, first 2 shown]
	s_or_b64 exec, exec, s[34:35]
	s_waitcnt vmcnt(1)
	v_accvgpr_write_b32 a6, v150
	v_accvgpr_write_b32 a7, v151
	v_mov_b64_e32 v[150:151], v[148:149]
	v_mov_b64_e32 v[142:143], 0
	s_and_saveexec_b64 s[34:35], s[6:7]
	s_cbranch_execz .LBB120_142
; %bb.141:                              ;   in Loop: Header=BB120_3 Depth=1
	v_lshl_add_u64 v[142:143], v[12:13], 0, v[0:1]
	v_lshl_add_u64 v[148:149], v[14:15], 0, v[0:1]
	global_load_dwordx2 v[142:143], v[142:143], off
	s_nop 0
	global_load_dwordx2 v[148:149], v[148:149], off
	s_waitcnt vmcnt(0)
	v_mul_f64 v[142:143], v[142:143], v[148:149]
.LBB120_142:                            ;   in Loop: Header=BB120_3 Depth=1
	s_or_b64 exec, exec, s[34:35]
	s_waitcnt vmcnt(0)
	ds_bpermute_b32 v148, v152, v6
	ds_bpermute_b32 v149, v152, v7
	v_mul_f64 v[150:151], v[150:151], v[146:147]
	v_accvgpr_read_b32 v147, a13
	v_accvgpr_read_b32 v146, a12
	v_mul_f64 v[2:3], v[238:239], v[2:3]
	s_waitcnt lgkmcnt(0)
	v_fmac_f64_e32 v[136:137], v[150:151], v[148:149]
	ds_bpermute_b32 v148, v152, v6 offset:4
	ds_bpermute_b32 v149, v152, v7 offset:4
	v_accvgpr_read_b32 v151, a11
	v_accvgpr_read_b32 v150, a10
	v_mul_f64 v[150:151], v[150:151], v[146:147]
	v_accvgpr_read_b32 v147, a15
	s_waitcnt lgkmcnt(0)
	v_fmac_f64_e32 v[136:137], v[150:151], v[148:149]
	ds_bpermute_b32 v148, v152, v6 offset:8
	ds_bpermute_b32 v149, v152, v7 offset:8
	v_accvgpr_read_b32 v151, a7
	v_accvgpr_read_b32 v150, a6
	v_accvgpr_read_b32 v146, a14
	v_mul_f64 v[146:147], v[150:151], v[146:147]
	s_waitcnt lgkmcnt(0)
	v_fmac_f64_e32 v[136:137], v[146:147], v[148:149]
	ds_bpermute_b32 v146, v152, v6 offset:12
	ds_bpermute_b32 v147, v152, v7 offset:12
	v_mul_f64 v[148:149], v[158:159], v[160:161]
	v_mul_f64 v[138:139], v[140:141], v[138:139]
	s_waitcnt lgkmcnt(0)
	v_fmac_f64_e32 v[136:137], v[148:149], v[146:147]
	ds_bpermute_b32 v146, v152, v6 offset:16
	ds_bpermute_b32 v147, v152, v7 offset:16
	v_accvgpr_read_b32 v149, a9
	v_accvgpr_read_b32 v148, a8
	v_mul_f64 v[148:149], v[148:149], v[154:155]
	s_waitcnt lgkmcnt(0)
	v_fmac_f64_e32 v[136:137], v[148:149], v[146:147]
	ds_bpermute_b32 v146, v152, v6 offset:20
	ds_bpermute_b32 v147, v152, v7 offset:20
	v_mul_f64 v[148:149], v[164:165], v[168:169]
	s_waitcnt lgkmcnt(0)
	v_fmac_f64_e32 v[136:137], v[148:149], v[146:147]
	ds_bpermute_b32 v146, v152, v6 offset:24
	ds_bpermute_b32 v147, v152, v7 offset:24
	;; [unrolled: 5-line block ×24, first 2 shown]
	s_waitcnt lgkmcnt(0)
	v_fmac_f64_e32 v[136:137], v[2:3], v[146:147]
	ds_bpermute_b32 v2, v152, v6 offset:116
	ds_bpermute_b32 v3, v152, v7 offset:116
	s_waitcnt lgkmcnt(0)
	v_fmac_f64_e32 v[136:137], v[138:139], v[2:3]
	ds_bpermute_b32 v2, v152, v6 offset:120
	ds_bpermute_b32 v3, v152, v7 offset:120
	v_mul_f64 v[138:139], v[250:251], v[144:145]
	s_waitcnt lgkmcnt(0)
	v_fmac_f64_e32 v[136:137], v[138:139], v[2:3]
	ds_bpermute_b32 v2, v152, v6 offset:124
	ds_bpermute_b32 v3, v152, v7 offset:124
	v_mov_b64_e32 v[6:7], v[136:137]
.LBB120_143:                            ;   in Loop: Header=BB120_3 Depth=1
	s_add_u32 s30, s30, s22
	s_waitcnt lgkmcnt(0)
	v_fmac_f64_e32 v[6:7], v[142:143], v[2:3]
	s_addc_u32 s31, s31, 0
	v_mov_b64_e32 v[2:3], s[12:13]
	s_add_u32 s28, s28, s22
	v_cmp_lt_i64_e32 vcc, s[30:31], v[2:3]
	v_lshl_add_u64 v[8:9], v[8:9], 0, s[26:27]
	v_lshl_add_u64 v[10:11], v[10:11], 0, s[26:27]
	;; [unrolled: 1-line block ×65, first 2 shown]
	s_addc_u32 s29, 0, s29
	s_cbranch_vccz .LBB120_146
; %bb.144:                              ;   in Loop: Header=BB120_3 Depth=1
	v_mov_b64_e32 v[136:137], v[6:7]
	s_branch .LBB120_3
.LBB120_145:
                                        ; implicit-def: $vgpr6_vgpr7
	s_load_dwordx2 s[6:7], s[0:1], 0x30
	s_branch .LBB120_148
.LBB120_146:
	v_mov_b32_e32 v69, v153
.LBB120_147:
	s_load_dwordx2 s[6:7], s[0:1], 0x30
	s_cbranch_execnz .LBB120_228
.LBB120_148:
	s_and_b64 vcc, exec, s[4:5]
	v_mov_b64_e32 v[6:7], 0
	s_cbranch_vccnz .LBB120_228
; %bb.149:
	v_and_b32_e32 v0, 0x3ff, v69
	v_add_u32_e32 v130, s3, v0
	v_mov_b32_e32 v131, 0
	v_bfe_u32 v31, v69, 10, 10
	v_lshlrev_b64 v[4:5], 3, v[130:131]
	v_lshlrev_b32_e32 v130, 8, v31
	v_accvgpr_write_b32 a0, v0
	v_lshl_add_u64 v[0:1], s[20:21], 3, v[130:131]
	v_lshl_add_u64 v[8:9], v[0:1], 0, 8
	v_mov_b64_e32 v[2:3], s[16:17]
	v_lshl_add_u64 v[10:11], v[0:1], 0, 16
	v_lshl_add_u64 v[12:13], v[0:1], 0, 24
	;; [unrolled: 1-line block ×7, first 2 shown]
	v_mov_b64_e32 v[6:7], s[18:19]
	v_mad_u64_u32 v[74:75], s[4:5], s14, v8, v[2:3]
	v_mad_u64_u32 v[76:77], s[4:5], s14, v10, v[2:3]
	;; [unrolled: 1-line block ×9, first 2 shown]
	v_mul_lo_u32 v9, s14, v9
	v_mul_lo_u32 v24, s15, v8
	s_mov_b64 s[4:5], 0x48
	v_add3_u32 v75, v24, v75, v9
	v_add3_u32 v91, v24, v91, v9
	v_lshl_add_u64 v[8:9], v[0:1], 0, s[4:5]
	v_mad_u64_u32 v[94:95], s[4:5], s14, v12, v[6:7]
	v_mad_u64_u32 v[96:97], s[4:5], s14, v8, v[2:3]
	;; [unrolled: 1-line block ×3, first 2 shown]
	v_mul_lo_u32 v11, s14, v11
	v_mul_lo_u32 v25, s15, v10
	v_mad_u64_u32 v[92:93], s[22:23], s14, v10, v[6:7]
	s_mov_b64 s[4:5], 0x50
	v_add3_u32 v77, v25, v77, v11
	v_add3_u32 v93, v25, v93, v11
	v_lshl_add_u64 v[10:11], v[0:1], 0, s[4:5]
	v_mad_u64_u32 v[102:103], s[4:5], s14, v18, v[6:7]
	v_mad_u64_u32 v[104:105], s[4:5], s14, v10, v[2:3]
	;; [unrolled: 1-line block ×3, first 2 shown]
	v_mul_lo_u32 v13, s14, v13
	v_mul_lo_u32 v26, s15, v12
	s_mov_b64 s[4:5], 0x58
	v_add3_u32 v79, v26, v79, v13
	v_add3_u32 v95, v26, v95, v13
	v_lshl_add_u64 v[12:13], v[0:1], 0, s[4:5]
	v_mul_lo_u32 v27, s15, v14
	v_mul_lo_u32 v9, s14, v9
	;; [unrolled: 1-line block ×3, first 2 shown]
	v_mad_u64_u32 v[110:111], s[4:5], s14, v8, v[6:7]
	v_mad_u64_u32 v[112:113], s[4:5], s14, v12, v[2:3]
	;; [unrolled: 1-line block ×3, first 2 shown]
	v_add3_u32 v97, v14, v97, v9
	v_add3_u32 v111, v14, v111, v9
	v_mul_lo_u32 v8, s14, v13
	v_mul_lo_u32 v9, s15, v12
	s_mov_b64 s[4:5], 0x60
	v_mad_u64_u32 v[116:117], s[22:23], s14, v12, v[6:7]
	v_add3_u32 v113, v9, v113, v8
	v_add3_u32 v117, v9, v117, v8
	v_lshl_add_u64 v[8:9], v[0:1], 0, s[4:5]
	v_mul_lo_u32 v15, s14, v15
	v_mad_u64_u32 v[118:119], s[4:5], s14, v8, v[2:3]
	v_mad_u64_u32 v[120:121], s[4:5], s14, v8, v[6:7]
	v_add3_u32 v81, v27, v81, v15
	v_add3_u32 v99, v27, v99, v15
	v_mul_lo_u32 v15, s15, v10
	v_mul_lo_u32 v9, s14, v9
	;; [unrolled: 1-line block ×3, first 2 shown]
	s_mov_b64 s[4:5], 0x68
	v_add3_u32 v119, v10, v119, v9
	v_add3_u32 v121, v10, v121, v9
	v_lshl_add_u64 v[8:9], v[0:1], 0, s[4:5]
	v_mul_lo_u32 v9, s14, v9
	v_mul_lo_u32 v10, s15, v8
	v_mad_u64_u32 v[12:13], s[4:5], s14, v8, v[2:3]
	v_add3_u32 v13, v10, v13, v9
	v_accvgpr_write_b32 a53, v13
	v_accvgpr_write_b32 a52, v12
	v_mad_u64_u32 v[12:13], s[4:5], s14, v8, v[6:7]
	v_add3_u32 v13, v10, v13, v9
	s_mov_b64 s[4:5], 0x70
	v_accvgpr_write_b32 a55, v13
	v_lshl_add_u64 v[8:9], v[0:1], 0, s[4:5]
	v_accvgpr_write_b32 a54, v12
	v_mul_lo_u32 v9, s14, v9
	v_mul_lo_u32 v10, s15, v8
	v_mad_u64_u32 v[12:13], s[4:5], s14, v8, v[2:3]
	v_add3_u32 v13, v10, v13, v9
	v_accvgpr_write_b32 a57, v13
	v_accvgpr_write_b32 a56, v12
	v_mad_u64_u32 v[12:13], s[4:5], s14, v8, v[6:7]
	v_add3_u32 v13, v10, v13, v9
	s_mov_b64 s[4:5], 0x78
	v_accvgpr_write_b32 a59, v13
	v_lshl_add_u64 v[8:9], v[0:1], 0, s[4:5]
	v_accvgpr_write_b32 a58, v12
	;; [unrolled: 12-line block ×16, first 2 shown]
	v_mul_lo_u32 v9, s14, v9
	v_mul_lo_u32 v10, s15, v8
	v_mad_u64_u32 v[12:13], s[4:5], s14, v8, v[2:3]
	v_add3_u32 v13, v10, v13, v9
	v_accvgpr_write_b32 a117, v13
	v_accvgpr_write_b32 a116, v12
	v_mad_u64_u32 v[12:13], s[4:5], s14, v8, v[6:7]
	s_mov_b64 s[4:5], 0xf0
	v_add3_u32 v13, v10, v13, v9
	v_lshl_add_u64 v[8:9], v[0:1], 0, s[4:5]
	v_mad_u64_u32 v[122:123], s[4:5], s14, v8, v[2:3]
	v_mad_u64_u32 v[124:125], s[4:5], s14, v8, v[6:7]
	s_mov_b64 s[4:5], 0xf8
	s_nop 0
	v_lshl_add_u64 v[0:1], v[0:1], 0, s[4:5]
	v_lshlrev_b32_e32 v130, 5, v31
	v_mad_u64_u32 v[100:101], s[22:23], s14, v16, v[6:7]
	v_mad_u64_u32 v[108:109], s[22:23], s14, v22, v[6:7]
	;; [unrolled: 1-line block ×4, first 2 shown]
	v_mul_lo_u32 v1, s14, v1
	v_mul_lo_u32 v0, s15, v0
	v_lshl_add_u64 v[6:7], v[130:131], 0, s[20:21]
	v_add3_u32 v127, v0, v127, v1
	v_add3_u32 v129, v0, v129, v1
	v_lshl_add_u64 v[0:1], v[6:7], 0, 31
	v_mul_lo_u32 v2, s15, v0
	v_mul_lo_u32 v3, s14, v1
	v_mad_u64_u32 v[0:1], s[4:5], s14, v0, 0
	v_mul_lo_u32 v9, s14, v9
	v_mul_lo_u32 v10, s15, v8
	v_add3_u32 v1, v1, v3, v2
	v_lshl_add_u64 v[2:3], v[6:7], 0, 30
	v_add3_u32 v123, v10, v123, v9
	v_add3_u32 v125, v10, v125, v9
	v_mul_lo_u32 v8, s15, v2
	v_mul_lo_u32 v9, s14, v3
	v_mad_u64_u32 v[2:3], s[4:5], s14, v2, 0
	v_mul_lo_u32 v11, s14, v11
	v_add3_u32 v3, v3, v9, v8
	v_lshl_add_u64 v[8:9], v[6:7], 0, 29
	v_add3_u32 v105, v15, v105, v11
	v_add3_u32 v115, v15, v115, v11
	v_mul_lo_u32 v10, s15, v8
	v_mul_lo_u32 v11, s14, v9
	v_mad_u64_u32 v[8:9], s[4:5], s14, v8, 0
	v_accvgpr_write_b32 a119, v13
	v_add3_u32 v9, v9, v11, v10
	v_lshl_add_u64 v[10:11], v[6:7], 0, 28
	v_accvgpr_write_b32 a118, v12
	v_mul_lo_u32 v12, s15, v10
	v_mul_lo_u32 v13, s14, v11
	v_mad_u64_u32 v[10:11], s[4:5], s14, v10, 0
	v_add3_u32 v11, v11, v13, v12
	v_lshl_add_u64 v[12:13], v[6:7], 0, 27
	v_mul_lo_u32 v14, s15, v12
	v_mul_lo_u32 v15, s14, v13
	v_mad_u64_u32 v[12:13], s[4:5], s14, v12, 0
	v_mul_lo_u32 v17, s14, v17
	v_mul_lo_u32 v28, s15, v16
	v_add3_u32 v13, v13, v15, v14
	v_lshl_add_u64 v[14:15], v[6:7], 0, 26
	v_add3_u32 v83, v28, v83, v17
	v_add3_u32 v101, v28, v101, v17
	v_mul_lo_u32 v16, s15, v14
	v_mul_lo_u32 v17, s14, v15
	v_mad_u64_u32 v[14:15], s[4:5], s14, v14, 0
	v_mul_lo_u32 v19, s14, v19
	v_mul_lo_u32 v29, s15, v18
	v_add3_u32 v15, v15, v17, v16
	v_lshl_add_u64 v[16:17], v[6:7], 0, 25
	v_add3_u32 v85, v29, v85, v19
	v_add3_u32 v103, v29, v103, v19
	;; [unrolled: 9-line block ×4, first 2 shown]
	v_mul_lo_u32 v22, s15, v20
	v_mul_lo_u32 v23, s14, v21
	v_mad_u64_u32 v[20:21], s[4:5], s14, v20, 0
	v_add3_u32 v21, v21, v23, v22
	v_lshl_add_u64 v[22:23], v[6:7], 0, 22
	v_mul_lo_u32 v24, s15, v22
	v_mul_lo_u32 v25, s14, v23
	v_mad_u64_u32 v[22:23], s[4:5], s14, v22, 0
	v_add3_u32 v23, v23, v25, v24
	v_lshl_add_u64 v[24:25], v[6:7], 0, 21
	;; [unrolled: 5-line block ×4, first 2 shown]
	v_accvgpr_write_b32 a1, v31
	v_mul_lo_u32 v30, s15, v28
	v_mul_lo_u32 v31, s14, v29
	v_mad_u64_u32 v[28:29], s[4:5], s14, v28, 0
	v_add3_u32 v29, v29, v31, v30
	v_lshl_add_u64 v[30:31], v[6:7], 0, 18
	v_mul_lo_u32 v32, s15, v30
	v_mul_lo_u32 v33, s14, v31
	v_mad_u64_u32 v[30:31], s[4:5], s14, v30, 0
	v_add3_u32 v31, v31, v33, v32
	v_lshl_add_u64 v[32:33], v[6:7], 0, 17
	;; [unrolled: 5-line block ×6, first 2 shown]
	v_lshlrev_b64 v[0:1], 3, v[0:1]
	v_mul_lo_u32 v42, s15, v40
	v_mul_lo_u32 v43, s14, v41
	v_mad_u64_u32 v[40:41], s[4:5], s14, v40, 0
	v_lshl_add_u64 v[136:137], s[16:17], 0, v[0:1]
	v_lshl_add_u64 v[138:139], s[18:19], 0, v[0:1]
	v_lshlrev_b64 v[0:1], 3, v[2:3]
	v_add3_u32 v41, v41, v43, v42
	v_lshl_add_u64 v[42:43], v[6:7], 0, 12
	v_lshl_add_u64 v[140:141], s[16:17], 0, v[0:1]
	v_lshl_add_u64 v[142:143], s[18:19], 0, v[0:1]
	v_lshlrev_b64 v[0:1], 3, v[8:9]
	v_mul_lo_u32 v44, s15, v42
	v_mul_lo_u32 v45, s14, v43
	v_mad_u64_u32 v[42:43], s[4:5], s14, v42, 0
	v_lshl_add_u64 v[144:145], s[16:17], 0, v[0:1]
	v_lshl_add_u64 v[146:147], s[18:19], 0, v[0:1]
	v_lshlrev_b64 v[0:1], 3, v[10:11]
	v_add3_u32 v43, v43, v45, v44
	v_lshl_add_u64 v[44:45], v[6:7], 0, 11
	v_lshl_add_u64 v[148:149], s[16:17], 0, v[0:1]
	v_lshl_add_u64 v[150:151], s[18:19], 0, v[0:1]
	;; [unrolled: 11-line block ×11, first 2 shown]
	v_lshlrev_b64 v[0:1], 3, v[48:49]
	v_mul_lo_u32 v64, s15, v62
	v_mul_lo_u32 v65, s14, v63
	v_mad_u64_u32 v[62:63], s[4:5], s14, v62, 0
	s_load_dword s3, s[0:1], 0x44
	v_lshl_add_u64 v[224:225], s[16:17], 0, v[0:1]
	v_lshl_add_u64 v[226:227], s[18:19], 0, v[0:1]
	v_lshlrev_b64 v[0:1], 3, v[50:51]
	v_add3_u32 v63, v63, v65, v64
	v_mov_b64_e32 v[64:65], s[14:15]
	v_lshl_add_u64 v[228:229], s[16:17], 0, v[0:1]
	v_lshl_add_u64 v[230:231], s[18:19], 0, v[0:1]
	v_lshlrev_b64 v[0:1], 3, v[52:53]
	v_mad_u64_u32 v[64:65], s[4:5], s14, v6, v[64:65]
	v_mul_lo_u32 v66, s15, v6
	v_mul_lo_u32 v67, s14, v7
	v_mad_u64_u32 v[6:7], s[4:5], s14, v6, 0
	v_lshl_add_u64 v[232:233], s[16:17], 0, v[0:1]
	v_lshl_add_u64 v[234:235], s[18:19], 0, v[0:1]
	v_lshlrev_b64 v[0:1], 3, v[54:55]
	v_add3_u32 v7, v7, v67, v66
	v_lshl_add_u64 v[236:237], s[16:17], 0, v[0:1]
	v_lshl_add_u64 v[238:239], s[18:19], 0, v[0:1]
	v_lshlrev_b64 v[0:1], 3, v[56:57]
	s_add_u32 s22, s0, 64
	v_lshlrev_b64 v[6:7], 3, v[6:7]
	v_lshl_add_u64 v[240:241], s[16:17], 0, v[0:1]
	v_lshl_add_u64 v[242:243], s[18:19], 0, v[0:1]
	v_lshlrev_b64 v[0:1], 3, v[58:59]
	s_addc_u32 s23, s1, 0
	s_waitcnt lgkmcnt(0)
	s_lshl_b32 s4, s3, 5
	v_lshl_add_u64 v[132:133], s[16:17], 0, v[6:7]
	v_lshl_add_u64 v[134:135], s[18:19], 0, v[6:7]
	;; [unrolled: 1-line block ×4, first 2 shown]
	v_lshlrev_b64 v[0:1], 3, v[60:61]
	v_mbcnt_lo_u32_b32 v6, -1, 0
	v_add3_u32 v65, v66, v65, v67
	s_mul_i32 s3, s15, s4
	s_mul_hi_u32 s9, s14, s4
	v_lshl_add_u64 v[248:249], s[16:17], 0, v[0:1]
	v_lshl_add_u64 v[250:251], s[18:19], 0, v[0:1]
	v_lshlrev_b64 v[0:1], 3, v[62:63]
	v_mbcnt_hi_u32_b32 v6, -1, v6
	s_add_i32 s25, s9, s3
	s_mul_i32 s24, s14, s4
	v_lshl_add_u64 v[252:253], s[16:17], 0, v[0:1]
	v_lshl_add_u64 v[254:255], s[18:19], 0, v[0:1]
	v_lshlrev_b64 v[0:1], 3, v[64:65]
	v_lshlrev_b32_e32 v6, 2, v6
	v_accvgpr_write_b32 a3, v131
	s_mov_b32 s5, 0
	s_lshl_b64 s[24:25], s[24:25], 3
	s_mov_b64 s[26:27], 31
	v_lshl_add_u64 v[2:3], s[16:17], 0, v[0:1]
	v_lshl_add_u64 v[0:1], s[18:19], 0, v[0:1]
	v_and_b32_e32 v68, 0x100, v6
	s_mov_b64 s[16:17], s[20:21]
	v_mov_b64_e32 v[8:9], 0
.LBB120_150:                            ; =>This Inner Loop Header: Depth=1
	s_add_u32 s18, s20, s26
	s_addc_u32 s19, 0, s27
	v_mov_b64_e32 v[6:7], s[12:13]
	v_cmp_ge_i64_e32 vcc, s[18:19], v[6:7]
	v_lshl_add_u64 v[10:11], s[20:21], 0, v[130:131]
	s_mov_b64 s[18:19], -1
                                        ; implicit-def: $vgpr6_vgpr7
	s_cbranch_vccz .LBB120_220
; %bb.151:                              ;   in Loop: Header=BB120_150 Depth=1
	s_load_dword s3, s[22:23], 0xc
	v_accvgpr_read_b32 v6, a0
	v_accvgpr_read_b32 v7, a1
	v_mov_b64_e32 v[72:73], 0
	v_mov_b64_e32 v[12:13], 0
	s_waitcnt lgkmcnt(0)
	s_and_b32 s3, s3, 0xffff
	v_mad_u32_u24 v6, v7, s3, v6
	v_and_b32_e32 v6, 63, v6
	v_accvgpr_read_b32 v7, a3
	v_accvgpr_write_b32 a2, v6
	v_accvgpr_write_b32 a3, v7
	v_cmp_gt_u32_e32 vcc, 32, v6
	s_and_saveexec_b64 s[18:19], vcc
	s_cbranch_execz .LBB120_155
; %bb.152:                              ;   in Loop: Header=BB120_150 Depth=1
	v_accvgpr_read_b32 v7, a3
	v_accvgpr_read_b32 v6, a2
	v_lshl_add_u64 v[6:7], v[10:11], 0, v[6:7]
	v_cmp_gt_i64_e32 vcc, s[12:13], v[6:7]
	v_mov_b64_e32 v[12:13], 0
	s_and_saveexec_b64 s[28:29], vcc
	s_cbranch_execz .LBB120_154
; %bb.153:                              ;   in Loop: Header=BB120_150 Depth=1
	v_lshl_add_u64 v[6:7], v[6:7], 3, s[10:11]
	global_load_dwordx2 v[12:13], v[6:7], off
.LBB120_154:                            ;   in Loop: Header=BB120_150 Depth=1
	s_or_b64 exec, exec, s[28:29]
.LBB120_155:                            ;   in Loop: Header=BB120_150 Depth=1
	s_or_b64 exec, exec, s[18:19]
	v_cmp_gt_i64_e32 vcc, s[12:13], v[10:11]
	v_mov_b64_e32 v[6:7], 0
	s_and_saveexec_b64 s[18:19], vcc
	s_cbranch_execz .LBB120_157
; %bb.156:                              ;   in Loop: Header=BB120_150 Depth=1
	v_lshl_add_u64 v[6:7], v[132:133], 0, v[4:5]
	global_load_dwordx2 v[72:73], v[6:7], off
	v_lshl_add_u64 v[6:7], v[134:135], 0, v[4:5]
	global_load_dwordx2 v[6:7], v[6:7], off
.LBB120_157:                            ;   in Loop: Header=BB120_150 Depth=1
	s_or_b64 exec, exec, s[18:19]
	v_lshl_add_u64 v[14:15], v[10:11], 0, 1
	v_accvgpr_write_b32 a10, 0
	v_cmp_gt_i64_e32 vcc, s[12:13], v[14:15]
	v_mov_b64_e32 v[64:65], 0
	v_mov_b64_e32 v[70:71], 0
	v_accvgpr_write_b32 a11, 0
	s_and_saveexec_b64 s[18:19], vcc
	s_cbranch_execz .LBB120_159
; %bb.158:                              ;   in Loop: Header=BB120_150 Depth=1
	v_lshl_add_u64 v[14:15], v[2:3], 0, v[4:5]
	global_load_dwordx2 v[70:71], v[14:15], off
	v_lshl_add_u64 v[14:15], v[0:1], 0, v[4:5]
	global_load_dwordx2 a[10:11], v[14:15], off
.LBB120_159:                            ;   in Loop: Header=BB120_150 Depth=1
	s_or_b64 exec, exec, s[18:19]
	v_lshl_add_u64 v[14:15], v[10:11], 0, 2
	v_cmp_gt_i64_e32 vcc, s[12:13], v[14:15]
	v_mov_b64_e32 v[26:27], 0
	s_and_saveexec_b64 s[18:19], vcc
	s_cbranch_execz .LBB120_161
; %bb.160:                              ;   in Loop: Header=BB120_150 Depth=1
	v_lshl_add_u64 v[14:15], v[252:253], 0, v[4:5]
	global_load_dwordx2 v[64:65], v[14:15], off
	v_lshl_add_u64 v[14:15], v[254:255], 0, v[4:5]
	global_load_dwordx2 v[26:27], v[14:15], off
.LBB120_161:                            ;   in Loop: Header=BB120_150 Depth=1
	s_or_b64 exec, exec, s[18:19]
	v_lshl_add_u64 v[14:15], v[10:11], 0, 3
	v_accvgpr_write_b32 a8, 0
	v_accvgpr_write_b32 a16, 0
	v_accvgpr_write_b32 a20, 0
	v_cmp_gt_i64_e32 vcc, s[12:13], v[14:15]
	v_accvgpr_write_b32 a9, 0
	v_accvgpr_write_b32 a17, 0
	v_accvgpr_write_b32 a21, 0
	s_and_saveexec_b64 s[18:19], vcc
	s_cbranch_execz .LBB120_163
; %bb.162:                              ;   in Loop: Header=BB120_150 Depth=1
	v_lshl_add_u64 v[14:15], v[248:249], 0, v[4:5]
	global_load_dwordx2 a[16:17], v[14:15], off
	v_lshl_add_u64 v[14:15], v[250:251], 0, v[4:5]
	global_load_dwordx2 a[20:21], v[14:15], off
.LBB120_163:                            ;   in Loop: Header=BB120_150 Depth=1
	s_or_b64 exec, exec, s[18:19]
	v_lshl_add_u64 v[14:15], v[10:11], 0, 4
	v_accvgpr_write_b32 a14, 0
	v_cmp_gt_i64_e32 vcc, s[12:13], v[14:15]
	v_accvgpr_write_b32 a15, 0
	s_and_saveexec_b64 s[18:19], vcc
	s_cbranch_execz .LBB120_165
; %bb.164:                              ;   in Loop: Header=BB120_150 Depth=1
	v_lshl_add_u64 v[14:15], v[244:245], 0, v[4:5]
	global_load_dwordx2 a[8:9], v[14:15], off
	v_lshl_add_u64 v[14:15], v[246:247], 0, v[4:5]
	global_load_dwordx2 a[14:15], v[14:15], off
.LBB120_165:                            ;   in Loop: Header=BB120_150 Depth=1
	s_or_b64 exec, exec, s[18:19]
	v_lshl_add_u64 v[14:15], v[10:11], 0, 5
	v_accvgpr_write_b32 a18, 0
	v_accvgpr_write_b32 a22, 0
	v_accvgpr_write_b32 a26, 0
	v_cmp_gt_i64_e32 vcc, s[12:13], v[14:15]
	v_accvgpr_write_b32 a19, 0
	v_accvgpr_write_b32 a23, 0
	v_accvgpr_write_b32 a27, 0
	s_and_saveexec_b64 s[18:19], vcc
	s_cbranch_execz .LBB120_167
; %bb.166:                              ;   in Loop: Header=BB120_150 Depth=1
	v_lshl_add_u64 v[14:15], v[240:241], 0, v[4:5]
	global_load_dwordx2 a[22:23], v[14:15], off
	v_lshl_add_u64 v[14:15], v[242:243], 0, v[4:5]
	global_load_dwordx2 a[26:27], v[14:15], off
.LBB120_167:                            ;   in Loop: Header=BB120_150 Depth=1
	s_or_b64 exec, exec, s[18:19]
	v_lshl_add_u64 v[14:15], v[10:11], 0, 6
	v_accvgpr_write_b32 a34, 0
	v_cmp_gt_i64_e32 vcc, s[12:13], v[14:15]
	v_accvgpr_write_b32 a35, 0
	;; [unrolled: 30-line block ×7, first 2 shown]
	s_and_saveexec_b64 s[18:19], vcc
	s_cbranch_execz .LBB120_189
; %bb.188:                              ;   in Loop: Header=BB120_150 Depth=1
	v_lshl_add_u64 v[14:15], v[196:197], 0, v[4:5]
	global_load_dwordx2 a[122:123], v[14:15], off
	v_lshl_add_u64 v[14:15], v[198:199], 0, v[4:5]
	global_load_dwordx2 a[130:131], v[14:15], off
.LBB120_189:                            ;   in Loop: Header=BB120_150 Depth=1
	s_or_b64 exec, exec, s[18:19]
	v_lshl_add_u64 v[14:15], v[10:11], 0, 17
	v_accvgpr_write_b32 a134, 0
	v_accvgpr_write_b32 a138, 0
	v_cmp_gt_i64_e32 vcc, s[12:13], v[14:15]
	v_accvgpr_write_b32 a135, 0
	v_accvgpr_write_b32 a139, 0
	v_mov_b64_e32 v[20:21], 0
	s_and_saveexec_b64 s[18:19], vcc
	s_cbranch_execz .LBB120_191
; %bb.190:                              ;   in Loop: Header=BB120_150 Depth=1
	v_lshl_add_u64 v[14:15], v[192:193], 0, v[4:5]
	global_load_dwordx2 a[138:139], v[14:15], off
	v_lshl_add_u64 v[14:15], v[194:195], 0, v[4:5]
	global_load_dwordx2 v[20:21], v[14:15], off
.LBB120_191:                            ;   in Loop: Header=BB120_150 Depth=1
	s_or_b64 exec, exec, s[18:19]
	v_lshl_add_u64 v[14:15], v[10:11], 0, 18
	v_cmp_gt_i64_e32 vcc, s[12:13], v[14:15]
	v_mov_b64_e32 v[34:35], 0
	s_and_saveexec_b64 s[18:19], vcc
	s_cbranch_execz .LBB120_193
; %bb.192:                              ;   in Loop: Header=BB120_150 Depth=1
	v_lshl_add_u64 v[14:15], v[188:189], 0, v[4:5]
	global_load_dwordx2 a[134:135], v[14:15], off
	v_lshl_add_u64 v[14:15], v[190:191], 0, v[4:5]
	global_load_dwordx2 v[34:35], v[14:15], off
.LBB120_193:                            ;   in Loop: Header=BB120_150 Depth=1
	s_or_b64 exec, exec, s[18:19]
	v_lshl_add_u64 v[14:15], v[10:11], 0, 19
	v_accvgpr_write_b32 a140, 0
	v_cmp_gt_i64_e32 vcc, s[12:13], v[14:15]
	v_accvgpr_write_b32 a141, 0
	v_mov_b64_e32 v[28:29], 0
	v_mov_b64_e32 v[32:33], 0
	s_and_saveexec_b64 s[18:19], vcc
	s_cbranch_execz .LBB120_195
; %bb.194:                              ;   in Loop: Header=BB120_150 Depth=1
	v_lshl_add_u64 v[14:15], v[184:185], 0, v[4:5]
	global_load_dwordx2 v[28:29], v[14:15], off
	v_lshl_add_u64 v[14:15], v[186:187], 0, v[4:5]
	global_load_dwordx2 v[32:33], v[14:15], off
.LBB120_195:                            ;   in Loop: Header=BB120_150 Depth=1
	s_or_b64 exec, exec, s[18:19]
	v_lshl_add_u64 v[14:15], v[10:11], 0, 20
	v_cmp_gt_i64_e32 vcc, s[12:13], v[14:15]
	v_mov_b64_e32 v[36:37], 0
	s_and_saveexec_b64 s[18:19], vcc
	s_cbranch_execz .LBB120_197
; %bb.196:                              ;   in Loop: Header=BB120_150 Depth=1
	v_lshl_add_u64 v[14:15], v[180:181], 0, v[4:5]
	global_load_dwordx2 a[140:141], v[14:15], off
	v_lshl_add_u64 v[14:15], v[182:183], 0, v[4:5]
	global_load_dwordx2 v[36:37], v[14:15], off
.LBB120_197:                            ;   in Loop: Header=BB120_150 Depth=1
	s_or_b64 exec, exec, s[18:19]
	v_lshl_add_u64 v[14:15], v[10:11], 0, 21
	v_cmp_gt_i64_e32 vcc, s[12:13], v[14:15]
	v_mov_b64_e32 v[30:31], 0
	v_mov_b64_e32 v[40:41], 0
	v_mov_b64_e32 v[44:45], 0
	s_and_saveexec_b64 s[18:19], vcc
	s_cbranch_execz .LBB120_199
; %bb.198:                              ;   in Loop: Header=BB120_150 Depth=1
	v_lshl_add_u64 v[14:15], v[176:177], 0, v[4:5]
	global_load_dwordx2 v[40:41], v[14:15], off
	v_lshl_add_u64 v[14:15], v[178:179], 0, v[4:5]
	global_load_dwordx2 v[44:45], v[14:15], off
.LBB120_199:                            ;   in Loop: Header=BB120_150 Depth=1
	s_or_b64 exec, exec, s[18:19]
	v_lshl_add_u64 v[14:15], v[10:11], 0, 22
	v_cmp_gt_i64_e32 vcc, s[12:13], v[14:15]
	v_mov_b64_e32 v[38:39], 0
	s_and_saveexec_b64 s[18:19], vcc
	s_cbranch_execz .LBB120_201
; %bb.200:                              ;   in Loop: Header=BB120_150 Depth=1
	v_lshl_add_u64 v[14:15], v[172:173], 0, v[4:5]
	global_load_dwordx2 v[30:31], v[14:15], off
	v_lshl_add_u64 v[14:15], v[174:175], 0, v[4:5]
	global_load_dwordx2 v[38:39], v[14:15], off
.LBB120_201:                            ;   in Loop: Header=BB120_150 Depth=1
	s_or_b64 exec, exec, s[18:19]
	v_lshl_add_u64 v[14:15], v[10:11], 0, 23
	v_cmp_gt_i64_e32 vcc, s[12:13], v[14:15]
	v_mov_b64_e32 v[42:43], 0
	;; [unrolled: 26-line block ×4, first 2 shown]
	v_mov_b64_e32 v[58:59], 0
	v_mov_b64_e32 v[60:61], 0
	s_and_saveexec_b64 s[18:19], vcc
	s_cbranch_execz .LBB120_211
; %bb.210:                              ;   in Loop: Header=BB120_150 Depth=1
	v_lshl_add_u64 v[24:25], v[152:153], 0, v[4:5]
	global_load_dwordx2 v[58:59], v[24:25], off
	v_lshl_add_u64 v[24:25], v[154:155], 0, v[4:5]
	global_load_dwordx2 v[60:61], v[24:25], off
.LBB120_211:                            ;   in Loop: Header=BB120_150 Depth=1
	s_or_b64 exec, exec, s[18:19]
	v_lshl_add_u64 v[24:25], v[10:11], 0, 28
	v_cmp_gt_i64_e32 vcc, s[12:13], v[24:25]
	v_mov_b64_e32 v[56:57], 0
	s_and_saveexec_b64 s[18:19], vcc
	s_cbranch_execz .LBB120_213
; %bb.212:                              ;   in Loop: Header=BB120_150 Depth=1
	v_lshl_add_u64 v[14:15], v[148:149], 0, v[4:5]
	v_lshl_add_u64 v[24:25], v[150:151], 0, v[4:5]
	global_load_dwordx2 v[14:15], v[14:15], off
	s_nop 0
	global_load_dwordx2 v[56:57], v[24:25], off
.LBB120_213:                            ;   in Loop: Header=BB120_150 Depth=1
	s_or_b64 exec, exec, s[18:19]
	v_lshl_add_u64 v[24:25], v[10:11], 0, 29
	v_cmp_gt_i64_e32 vcc, s[12:13], v[24:25]
	v_mov_b64_e32 v[54:55], 0
	v_mov_b64_e32 v[62:63], 0
	;; [unrolled: 1-line block ×3, first 2 shown]
	s_and_saveexec_b64 s[18:19], vcc
	s_cbranch_execz .LBB120_215
; %bb.214:                              ;   in Loop: Header=BB120_150 Depth=1
	v_lshl_add_u64 v[24:25], v[144:145], 0, v[4:5]
	global_load_dwordx2 v[62:63], v[24:25], off
	v_lshl_add_u64 v[24:25], v[146:147], 0, v[4:5]
	global_load_dwordx2 v[66:67], v[24:25], off
.LBB120_215:                            ;   in Loop: Header=BB120_150 Depth=1
	s_or_b64 exec, exec, s[18:19]
	v_lshl_add_u64 v[24:25], v[10:11], 0, 30
	v_cmp_gt_i64_e32 vcc, s[12:13], v[24:25]
	v_mov_b64_e32 v[24:25], 0
	s_and_saveexec_b64 s[18:19], vcc
	s_cbranch_execz .LBB120_217
; %bb.216:                              ;   in Loop: Header=BB120_150 Depth=1
	v_lshl_add_u64 v[24:25], v[140:141], 0, v[4:5]
	global_load_dwordx2 v[54:55], v[24:25], off
	v_lshl_add_u64 v[24:25], v[142:143], 0, v[4:5]
	global_load_dwordx2 v[24:25], v[24:25], off
.LBB120_217:                            ;   in Loop: Header=BB120_150 Depth=1
	s_or_b64 exec, exec, s[18:19]
	s_waitcnt vmcnt(1)
	v_accvgpr_write_b32 a4, v64
	s_waitcnt vmcnt(0)
	v_accvgpr_write_b32 a12, v26
	v_accvgpr_write_b32 a6, v70
	;; [unrolled: 1-line block ×3, first 2 shown]
	v_lshl_add_u64 v[64:65], v[10:11], 0, 31
	v_accvgpr_write_b32 a13, v27
	v_accvgpr_write_b32 a7, v71
	v_cmp_gt_i64_e32 vcc, s[12:13], v[64:65]
	v_mov_b64_e32 v[64:65], 0
	s_and_saveexec_b64 s[18:19], vcc
	s_cbranch_execz .LBB120_219
; %bb.218:                              ;   in Loop: Header=BB120_150 Depth=1
	v_lshl_add_u64 v[64:65], v[136:137], 0, v[4:5]
	v_lshl_add_u64 v[70:71], v[138:139], 0, v[4:5]
	global_load_dwordx2 v[64:65], v[64:65], off
	s_nop 0
	global_load_dwordx2 v[70:71], v[70:71], off
	s_waitcnt vmcnt(0)
	v_mul_f64 v[64:65], v[64:65], v[70:71]
.LBB120_219:                            ;   in Loop: Header=BB120_150 Depth=1
	s_or_b64 exec, exec, s[18:19]
	ds_bpermute_b32 v70, v68, v12
	ds_bpermute_b32 v71, v68, v13
	v_mul_f64 v[6:7], v[72:73], v[6:7]
	v_accvgpr_read_b32 v73, a7
	v_accvgpr_read_b32 v27, a11
	;; [unrolled: 1-line block ×3, first 2 shown]
	s_waitcnt lgkmcnt(0)
	v_fma_f64 v[6:7], v[6:7], v[70:71], v[8:9]
	ds_bpermute_b32 v70, v68, v12 offset:4
	ds_bpermute_b32 v71, v68, v13 offset:4
	v_accvgpr_read_b32 v26, a10
	v_mul_f64 v[72:73], v[72:73], v[26:27]
	v_accvgpr_read_b32 v27, a13
	v_accvgpr_read_b32 v26, a12
	s_waitcnt lgkmcnt(0)
	v_fmac_f64_e32 v[6:7], v[72:73], v[70:71]
	ds_bpermute_b32 v70, v68, v12 offset:8
	ds_bpermute_b32 v71, v68, v13 offset:8
	v_accvgpr_read_b32 v73, a5
	v_accvgpr_read_b32 v72, a4
	v_mul_f64 v[72:73], v[72:73], v[26:27]
	v_accvgpr_read_b32 v27, a17
	s_waitcnt lgkmcnt(0)
	v_fmac_f64_e32 v[6:7], v[72:73], v[70:71]
	ds_bpermute_b32 v70, v68, v12 offset:12
	ds_bpermute_b32 v71, v68, v13 offset:12
	v_accvgpr_read_b32 v73, a21
	v_accvgpr_read_b32 v26, a16
	v_accvgpr_read_b32 v72, a20
	v_mul_f64 v[72:73], v[26:27], v[72:73]
	s_waitcnt lgkmcnt(0)
	v_fmac_f64_e32 v[6:7], v[72:73], v[70:71]
	ds_bpermute_b32 v70, v68, v12 offset:16
	ds_bpermute_b32 v71, v68, v13 offset:16
	v_accvgpr_read_b32 v73, a9
	v_accvgpr_read_b32 v27, a15
	v_accvgpr_read_b32 v72, a8
	v_accvgpr_read_b32 v26, a14
	v_mul_f64 v[72:73], v[72:73], v[26:27]
	s_waitcnt lgkmcnt(0)
	v_fmac_f64_e32 v[6:7], v[72:73], v[70:71]
	ds_bpermute_b32 v70, v68, v12 offset:20
	ds_bpermute_b32 v71, v68, v13 offset:20
	v_accvgpr_read_b32 v27, a23
	;; [unrolled: 9-line block ×14, first 2 shown]
	v_accvgpr_read_b32 v27, a139
	v_mul_f64 v[20:21], v[26:27], v[20:21]
	v_accvgpr_read_b32 v26, a134
	s_waitcnt lgkmcnt(0)
	v_fmac_f64_e32 v[6:7], v[20:21], v[70:71]
	ds_bpermute_b32 v20, v68, v12 offset:72
	ds_bpermute_b32 v21, v68, v13 offset:72
	v_accvgpr_read_b32 v27, a135
	v_mul_f64 v[34:35], v[26:27], v[34:35]
	v_mul_f64 v[28:29], v[28:29], v[32:33]
	v_accvgpr_read_b32 v26, a140
	s_waitcnt lgkmcnt(0)
	v_fmac_f64_e32 v[6:7], v[34:35], v[20:21]
	ds_bpermute_b32 v20, v68, v12 offset:76
	ds_bpermute_b32 v21, v68, v13 offset:76
	v_accvgpr_read_b32 v27, a141
	v_mul_f64 v[26:27], v[26:27], v[36:37]
	v_mul_f64 v[18:19], v[46:47], v[18:19]
	;; [unrolled: 1-line block ×3, first 2 shown]
	s_waitcnt lgkmcnt(0)
	v_fmac_f64_e32 v[6:7], v[28:29], v[20:21]
	ds_bpermute_b32 v20, v68, v12 offset:80
	ds_bpermute_b32 v21, v68, v13 offset:80
	v_mul_f64 v[14:15], v[14:15], v[56:57]
	s_mov_b64 s[18:19], 0
	s_waitcnt lgkmcnt(0)
	v_fmac_f64_e32 v[6:7], v[26:27], v[20:21]
	ds_bpermute_b32 v20, v68, v12 offset:84
	ds_bpermute_b32 v21, v68, v13 offset:84
	v_mul_f64 v[26:27], v[40:41], v[44:45]
	s_waitcnt lgkmcnt(0)
	v_fmac_f64_e32 v[6:7], v[26:27], v[20:21]
	ds_bpermute_b32 v20, v68, v12 offset:88
	ds_bpermute_b32 v21, v68, v13 offset:88
	v_mul_f64 v[26:27], v[30:31], v[38:39]
	s_waitcnt lgkmcnt(0)
	v_fmac_f64_e32 v[6:7], v[26:27], v[20:21]
	ds_bpermute_b32 v20, v68, v12 offset:92
	ds_bpermute_b32 v21, v68, v13 offset:92
	s_waitcnt lgkmcnt(0)
	v_fmac_f64_e32 v[6:7], v[18:19], v[20:21]
	ds_bpermute_b32 v18, v68, v12 offset:96
	ds_bpermute_b32 v19, v68, v13 offset:96
	v_mul_f64 v[20:21], v[42:43], v[52:53]
	s_waitcnt lgkmcnt(0)
	v_fmac_f64_e32 v[6:7], v[20:21], v[18:19]
	ds_bpermute_b32 v18, v68, v12 offset:100
	ds_bpermute_b32 v19, v68, v13 offset:100
	v_mul_f64 v[20:21], v[48:49], v[50:51]
	s_waitcnt lgkmcnt(0)
	v_fmac_f64_e32 v[6:7], v[20:21], v[18:19]
	ds_bpermute_b32 v18, v68, v12 offset:104
	ds_bpermute_b32 v19, v68, v13 offset:104
	s_waitcnt lgkmcnt(0)
	v_fmac_f64_e32 v[6:7], v[16:17], v[18:19]
	ds_bpermute_b32 v16, v68, v12 offset:108
	ds_bpermute_b32 v17, v68, v13 offset:108
	v_mul_f64 v[18:19], v[58:59], v[60:61]
	s_waitcnt lgkmcnt(0)
	v_fmac_f64_e32 v[6:7], v[18:19], v[16:17]
	ds_bpermute_b32 v16, v68, v12 offset:112
	ds_bpermute_b32 v17, v68, v13 offset:112
	;; [unrolled: 9-line block ×3, first 2 shown]
	ds_bpermute_b32 v12, v68, v12 offset:124
	ds_bpermute_b32 v13, v68, v13 offset:124
	v_mul_f64 v[16:17], v[54:55], v[24:25]
	s_waitcnt lgkmcnt(2)
	v_fmac_f64_e32 v[6:7], v[16:17], v[14:15]
	s_waitcnt lgkmcnt(0)
	v_fmac_f64_e32 v[6:7], v[64:65], v[12:13]
.LBB120_220:                            ;   in Loop: Header=BB120_150 Depth=1
	s_and_b64 vcc, exec, s[18:19]
	s_cbranch_vccz .LBB120_226
; %bb.221:                              ;   in Loop: Header=BB120_150 Depth=1
	s_load_dword s3, s[22:23], 0x0
	v_accvgpr_read_b32 v13, a3
	v_accvgpr_read_b32 v7, a0
	;; [unrolled: 1-line block ×3, first 2 shown]
	s_waitcnt lgkmcnt(0)
	s_cmp_lt_u32 s2, s3
	s_cselect_b32 s3, 12, 18
	s_add_u32 s18, s22, s3
	s_addc_u32 s19, s23, 0
	global_load_ushort v6, v13, s[18:19]
	s_waitcnt vmcnt(0)
	v_mad_u32_u24 v6, v12, v6, v7
	v_and_b32_e32 v12, 63, v6
	v_accvgpr_write_b32 a2, v12
	v_accvgpr_write_b32 a3, v13
	v_cmp_gt_u32_e32 vcc, 32, v12
	v_mov_b64_e32 v[6:7], 0
	s_and_saveexec_b64 s[18:19], vcc
	s_cbranch_execz .LBB120_225
; %bb.222:                              ;   in Loop: Header=BB120_150 Depth=1
	v_accvgpr_read_b32 v7, a3
	v_accvgpr_read_b32 v6, a2
	v_lshl_add_u64 v[10:11], v[10:11], 0, v[6:7]
	v_cmp_gt_i64_e32 vcc, s[12:13], v[10:11]
	v_mov_b64_e32 v[6:7], 0
	s_and_saveexec_b64 s[28:29], vcc
	s_cbranch_execz .LBB120_224
; %bb.223:                              ;   in Loop: Header=BB120_150 Depth=1
	v_lshl_add_u64 v[6:7], v[10:11], 3, s[10:11]
	global_load_dwordx2 v[6:7], v[6:7], off
.LBB120_224:                            ;   in Loop: Header=BB120_150 Depth=1
	s_or_b64 exec, exec, s[28:29]
.LBB120_225:                            ;   in Loop: Header=BB120_150 Depth=1
	s_or_b64 exec, exec, s[18:19]
	v_lshl_add_u64 v[10:11], v[132:133], 0, v[4:5]
	global_load_dwordx2 v[24:25], v[10:11], off
	v_lshl_add_u64 v[10:11], v[134:135], 0, v[4:5]
	global_load_dwordx2 v[26:27], v[10:11], off
	;; [unrolled: 2-line block ×24, first 2 shown]
	v_lshl_add_u64 v[10:11], v[118:119], 0, v[4:5]
	v_accvgpr_write_b32 a4, v74
	v_accvgpr_write_b32 a5, v75
	global_load_dwordx2 v[74:75], v[10:11], off
	v_lshl_add_u64 v[10:11], v[120:121], 0, v[4:5]
	v_accvgpr_write_b32 a6, v76
	v_accvgpr_write_b32 a7, v77
	global_load_dwordx2 v[76:77], v[10:11], off
	v_accvgpr_read_b32 v10, a52
	v_accvgpr_read_b32 v11, a53
	v_lshl_add_u64 v[10:11], v[10:11], 0, v[4:5]
	v_accvgpr_write_b32 a8, v78
	v_accvgpr_write_b32 a9, v79
	global_load_dwordx2 v[78:79], v[10:11], off
	v_accvgpr_read_b32 v10, a54
	v_accvgpr_read_b32 v11, a55
	;; [unrolled: 6-line block ×21, first 2 shown]
	v_accvgpr_write_b32 a50, v120
	v_lshl_add_u64 v[10:11], v[10:11], 0, v[4:5]
	v_accvgpr_write_b32 a51, v121
	s_waitcnt vmcnt(46)
	ds_bpermute_b32 v120, v68, v6
	ds_bpermute_b32 v121, v68, v7
	global_load_dwordx2 v[20:21], v[10:11], off
	v_accvgpr_read_b32 v10, a94
	v_accvgpr_read_b32 v11, a95
	v_lshl_add_u64 v[10:11], v[10:11], 0, v[4:5]
	global_load_dwordx2 v[22:23], v[10:11], off
	v_accvgpr_read_b32 v10, a96
	s_waitcnt vmcnt(46)
	v_mul_f64 v[24:25], v[24:25], v[26:27]
	v_accvgpr_read_b32 v11, a97
	s_waitcnt lgkmcnt(0)
	v_fmac_f64_e32 v[8:9], v[24:25], v[120:121]
	ds_bpermute_b32 v120, v68, v6 offset:4
	ds_bpermute_b32 v121, v68, v7 offset:4
	v_lshl_add_u64 v[10:11], v[10:11], 0, v[4:5]
	global_load_dwordx2 v[12:13], v[10:11], off
	v_accvgpr_read_b32 v10, a98
	v_accvgpr_read_b32 v11, a99
	v_lshl_add_u64 v[10:11], v[10:11], 0, v[4:5]
	s_waitcnt vmcnt(45)
	v_mul_f64 v[28:29], v[28:29], v[30:31]
	global_load_dwordx2 v[16:17], v[10:11], off
	v_accvgpr_read_b32 v10, a100
	s_waitcnt lgkmcnt(0)
	v_fmac_f64_e32 v[8:9], v[28:29], v[120:121]
	ds_bpermute_b32 v120, v68, v6 offset:8
	ds_bpermute_b32 v121, v68, v7 offset:8
	v_accvgpr_read_b32 v11, a101
	v_lshl_add_u64 v[10:11], v[10:11], 0, v[4:5]
	global_load_dwordx2 v[14:15], v[10:11], off
	v_accvgpr_read_b32 v10, a102
	v_accvgpr_read_b32 v11, a103
	s_waitcnt vmcnt(45)
	v_mul_f64 v[32:33], v[32:33], v[34:35]
	v_lshl_add_u64 v[10:11], v[10:11], 0, v[4:5]
	s_waitcnt lgkmcnt(0)
	v_fmac_f64_e32 v[8:9], v[32:33], v[120:121]
	ds_bpermute_b32 v120, v68, v6 offset:12
	ds_bpermute_b32 v121, v68, v7 offset:12
	global_load_dwordx2 v[18:19], v[10:11], off
	v_accvgpr_write_b32 a48, v118
	v_accvgpr_read_b32 v10, a104
	v_accvgpr_write_b32 a49, v119
	v_accvgpr_read_b32 v119, a107
	v_accvgpr_read_b32 v11, a105
	;; [unrolled: 1-line block ×5, first 2 shown]
	s_waitcnt vmcnt(44)
	v_mul_f64 v[36:37], v[36:37], v[38:39]
	v_lshl_add_u64 v[10:11], v[10:11], 0, v[4:5]
	v_lshl_add_u64 v[118:119], v[118:119], 0, v[4:5]
	v_accvgpr_read_b32 v27, a109
	v_accvgpr_read_b32 v25, a111
	;; [unrolled: 1-line block ×4, first 2 shown]
	s_waitcnt lgkmcnt(0)
	v_fmac_f64_e32 v[8:9], v[36:37], v[120:121]
	ds_bpermute_b32 v120, v68, v6 offset:16
	ds_bpermute_b32 v121, v68, v7 offset:16
	global_load_dwordx2 v[10:11], v[10:11], off
	v_lshl_add_u64 v[26:27], v[26:27], 0, v[4:5]
	global_load_dwordx2 v[118:119], v[118:119], off
	v_lshl_add_u64 v[24:25], v[24:25], 0, v[4:5]
	v_accvgpr_read_b32 v31, a113
	v_accvgpr_read_b32 v29, a115
	global_load_dwordx2 v[26:27], v[26:27], off
	v_lshl_add_u64 v[30:31], v[30:31], 0, v[4:5]
	global_load_dwordx2 v[24:25], v[24:25], off
	v_lshl_add_u64 v[28:29], v[28:29], 0, v[4:5]
	global_load_dwordx2 v[30:31], v[30:31], off
	s_waitcnt vmcnt(47)
	v_mul_f64 v[40:41], v[40:41], v[42:43]
	global_load_dwordx2 v[28:29], v[28:29], off
	v_accvgpr_read_b32 v34, a116
	v_accvgpr_read_b32 v32, a118
	s_waitcnt lgkmcnt(0)
	v_fmac_f64_e32 v[8:9], v[40:41], v[120:121]
	ds_bpermute_b32 v40, v68, v6 offset:20
	ds_bpermute_b32 v41, v68, v7 offset:20
	v_accvgpr_read_b32 v35, a117
	v_accvgpr_read_b32 v33, a119
	v_lshl_add_u64 v[34:35], v[34:35], 0, v[4:5]
	v_lshl_add_u64 v[32:33], v[32:33], 0, v[4:5]
	global_load_dwordx2 v[34:35], v[34:35], off
	v_lshl_add_u64 v[38:39], v[122:123], 0, v[4:5]
	global_load_dwordx2 v[32:33], v[32:33], off
	;; [unrolled: 2-line block ×4, first 2 shown]
	v_lshl_add_u64 v[120:121], v[128:129], 0, v[4:5]
	s_waitcnt vmcnt(50)
	v_mul_f64 v[44:45], v[44:45], v[46:47]
	global_load_dwordx2 v[42:43], v[42:43], off
	s_waitcnt lgkmcnt(0)
	v_fmac_f64_e32 v[8:9], v[44:45], v[40:41]
	global_load_dwordx2 v[44:45], v[120:121], off
	ds_bpermute_b32 v46, v68, v6 offset:24
	ds_bpermute_b32 v47, v68, v7 offset:24
	;; [unrolled: 1-line block ×4, first 2 shown]
	s_waitcnt vmcnt(50)
	v_mul_f64 v[48:49], v[48:49], v[50:51]
	ds_bpermute_b32 v50, v68, v6 offset:40
	s_waitcnt lgkmcnt(3)
	v_fmac_f64_e32 v[8:9], v[48:49], v[46:47]
	s_waitcnt vmcnt(48)
	v_mul_f64 v[46:47], v[52:53], v[54:55]
	s_waitcnt lgkmcnt(1)
	v_fmac_f64_e32 v[8:9], v[46:47], v[40:41]
	ds_bpermute_b32 v40, v68, v6 offset:32
	ds_bpermute_b32 v41, v68, v7 offset:32
	ds_bpermute_b32 v48, v68, v6 offset:36
	ds_bpermute_b32 v49, v68, v7 offset:36
	ds_bpermute_b32 v51, v68, v7 offset:40
	s_waitcnt vmcnt(46)
	v_mul_f64 v[46:47], v[56:57], v[58:59]
	s_waitcnt lgkmcnt(3)
	v_fmac_f64_e32 v[8:9], v[46:47], v[40:41]
	s_waitcnt vmcnt(44)
	v_mul_f64 v[40:41], v[60:61], v[62:63]
	s_waitcnt lgkmcnt(1)
	v_fmac_f64_e32 v[8:9], v[40:41], v[48:49]
	s_waitcnt vmcnt(42)
	v_mul_f64 v[40:41], v[64:65], v[66:67]
	s_waitcnt lgkmcnt(0)
	v_fmac_f64_e32 v[8:9], v[40:41], v[50:51]
	ds_bpermute_b32 v40, v68, v6 offset:44
	ds_bpermute_b32 v41, v68, v7 offset:44
	ds_bpermute_b32 v48, v68, v6 offset:48
	ds_bpermute_b32 v49, v68, v7 offset:48
	ds_bpermute_b32 v50, v68, v6 offset:52
	ds_bpermute_b32 v51, v68, v7 offset:52
	s_waitcnt vmcnt(40)
	v_mul_f64 v[46:47], v[70:71], v[72:73]
	s_waitcnt lgkmcnt(4)
	v_fmac_f64_e32 v[8:9], v[46:47], v[40:41]
	s_waitcnt vmcnt(38)
	v_mul_f64 v[40:41], v[74:75], v[76:77]
	s_waitcnt lgkmcnt(2)
	v_fmac_f64_e32 v[8:9], v[40:41], v[48:49]
	s_waitcnt vmcnt(36)
	v_mul_f64 v[40:41], v[78:79], v[80:81]
	s_waitcnt lgkmcnt(0)
	v_fmac_f64_e32 v[8:9], v[40:41], v[50:51]
	ds_bpermute_b32 v40, v68, v6 offset:56
	;; [unrolled: 18-line block ×5, first 2 shown]
	ds_bpermute_b32 v41, v68, v7 offset:92
	s_waitcnt vmcnt(16)
	v_mul_f64 v[20:21], v[20:21], v[22:23]
	ds_bpermute_b32 v22, v68, v6 offset:96
	ds_bpermute_b32 v23, v68, v7 offset:96
	;; [unrolled: 1-line block ×4, first 2 shown]
	s_waitcnt lgkmcnt(4)
	v_fmac_f64_e32 v[8:9], v[20:21], v[40:41]
	s_waitcnt vmcnt(14)
	v_mul_f64 v[12:13], v[12:13], v[16:17]
	s_waitcnt lgkmcnt(2)
	v_fmac_f64_e32 v[8:9], v[12:13], v[22:23]
	s_waitcnt vmcnt(12)
	v_mul_f64 v[12:13], v[14:15], v[18:19]
	s_waitcnt lgkmcnt(0)
	v_fmac_f64_e32 v[8:9], v[12:13], v[46:47]
	ds_bpermute_b32 v12, v68, v6 offset:104
	ds_bpermute_b32 v13, v68, v7 offset:104
	;; [unrolled: 1-line block ×6, first 2 shown]
	s_waitcnt vmcnt(10)
	v_mul_f64 v[10:11], v[10:11], v[118:119]
	s_waitcnt lgkmcnt(4)
	v_fmac_f64_e32 v[8:9], v[10:11], v[12:13]
	s_waitcnt vmcnt(8)
	v_mul_f64 v[10:11], v[26:27], v[24:25]
	s_waitcnt lgkmcnt(2)
	v_fmac_f64_e32 v[8:9], v[10:11], v[14:15]
	s_waitcnt vmcnt(6)
	v_mul_f64 v[10:11], v[30:31], v[28:29]
	s_waitcnt lgkmcnt(0)
	v_fmac_f64_e32 v[8:9], v[10:11], v[16:17]
	ds_bpermute_b32 v10, v68, v6 offset:116
	ds_bpermute_b32 v11, v68, v7 offset:116
	;; [unrolled: 1-line block ×6, first 2 shown]
	s_waitcnt vmcnt(4)
	v_mul_f64 v[12:13], v[34:35], v[32:33]
	s_waitcnt lgkmcnt(4)
	v_fmac_f64_e32 v[8:9], v[12:13], v[10:11]
	s_waitcnt vmcnt(2)
	v_mul_f64 v[10:11], v[38:39], v[36:37]
	s_waitcnt lgkmcnt(2)
	v_fmac_f64_e32 v[8:9], v[10:11], v[14:15]
	s_waitcnt vmcnt(0)
	v_mul_f64 v[10:11], v[42:43], v[44:45]
	v_accvgpr_read_b32 v121, a51
	v_accvgpr_read_b32 v77, a7
	;; [unrolled: 1-line block ×24, first 2 shown]
	s_waitcnt lgkmcnt(0)
	v_fmac_f64_e32 v[8:9], v[10:11], v[6:7]
	v_accvgpr_read_b32 v120, a50
	v_accvgpr_read_b32 v76, a6
	;; [unrolled: 1-line block ×24, first 2 shown]
	v_mov_b64_e32 v[6:7], v[8:9]
.LBB120_226:                            ;   in Loop: Header=BB120_150 Depth=1
	s_add_u32 s16, s16, s4
	s_addc_u32 s17, s17, 0
	v_mov_b64_e32 v[8:9], s[12:13]
	v_cmp_ge_i64_e32 vcc, s[16:17], v[8:9]
	v_accvgpr_read_b32 v8, a52
	v_accvgpr_read_b32 v9, a53
	v_lshl_add_u64 v[8:9], v[8:9], 0, s[24:25]
	v_accvgpr_write_b32 a53, v9
	v_accvgpr_write_b32 a52, v8
	v_accvgpr_read_b32 v8, a56
	v_accvgpr_read_b32 v9, a57
	v_lshl_add_u64 v[8:9], v[8:9], 0, s[24:25]
	v_accvgpr_write_b32 a57, v9
	v_accvgpr_write_b32 a56, v8
	;; [unrolled: 5-line block ×33, first 2 shown]
	v_accvgpr_read_b32 v8, a118
	v_accvgpr_read_b32 v9, a119
	s_add_u32 s26, s26, s4
	v_lshl_add_u64 v[132:133], v[132:133], 0, s[24:25]
	v_lshl_add_u64 v[134:135], v[134:135], 0, s[24:25]
	;; [unrolled: 1-line block ×94, first 2 shown]
	s_addc_u32 s27, 0, s27
	s_cbranch_vccnz .LBB120_228
; %bb.227:                              ;   in Loop: Header=BB120_150 Depth=1
	v_accvgpr_write_b32 a119, v9
	v_accvgpr_write_b32 a118, v8
	v_mov_b64_e32 v[8:9], v[6:7]
	s_branch .LBB120_150
.LBB120_228:
	s_mov_b32 s3, 0
	s_lshl_b64 s[2:3], s[2:3], 6
	v_and_b32_e32 v0, 0x3ff, v69
	v_or_b32_e32 v0, s2, v0
	v_mov_b32_e32 v1, s3
	s_waitcnt lgkmcnt(0)
	s_cmp_lg_u64 s[6:7], 0
	v_cmp_gt_i64_e32 vcc, s[14:15], v[0:1]
	s_cselect_b64 s[2:3], -1, 0
	s_and_b64 s[2:3], vcc, s[2:3]
	s_and_saveexec_b64 s[4:5], s[2:3]
	s_cbranch_execz .LBB120_230
; %bb.229:
	s_load_dword s0, s[0:1], 0x4c
	v_bfe_u32 v2, v69, 10, 10
	v_mov_b32_e32 v3, 0
	v_mov_b32_e32 v4, s8
	s_waitcnt lgkmcnt(0)
	s_lshr_b32 s0, s0, 16
	v_mad_u64_u32 v[2:3], s[0:1], s0, v4, v[2:3]
	v_mul_lo_u32 v4, v3, s14
	v_mul_lo_u32 v5, v2, s15
	v_mad_u64_u32 v[2:3], s[0:1], v2, s14, 0
	v_add3_u32 v3, v3, v5, v4
	v_lshl_add_u64 v[2:3], v[2:3], 3, s[6:7]
	v_lshl_add_u64 v[0:1], v[0:1], 3, v[2:3]
	global_store_dwordx2 v[0:1], v[6:7], off
.LBB120_230:
	s_endpgm
	.section	.rodata,"a",@progbits
	.p2align	6, 0x0
	.amdhsa_kernel _ZN2at6native12_GLOBAL__N_135GammaBetaBackwardCUDAKernelTemplateIddLj64ELj1ELj32ELb1ELb0ELb1EEEvllPKT_S5_PKT0_S8_PS3_S9_
		.amdhsa_group_segment_fixed_size 0
		.amdhsa_private_segment_fixed_size 0
		.amdhsa_kernarg_size 320
		.amdhsa_user_sgpr_count 2
		.amdhsa_user_sgpr_dispatch_ptr 0
		.amdhsa_user_sgpr_queue_ptr 0
		.amdhsa_user_sgpr_kernarg_segment_ptr 1
		.amdhsa_user_sgpr_dispatch_id 0
		.amdhsa_user_sgpr_kernarg_preload_length 0
		.amdhsa_user_sgpr_kernarg_preload_offset 0
		.amdhsa_user_sgpr_private_segment_size 0
		.amdhsa_uses_dynamic_stack 0
		.amdhsa_enable_private_segment 0
		.amdhsa_system_sgpr_workgroup_id_x 1
		.amdhsa_system_sgpr_workgroup_id_y 1
		.amdhsa_system_sgpr_workgroup_id_z 0
		.amdhsa_system_sgpr_workgroup_info 0
		.amdhsa_system_vgpr_workitem_id 1
		.amdhsa_next_free_vgpr 398
		.amdhsa_next_free_sgpr 38
		.amdhsa_accum_offset 256
		.amdhsa_reserve_vcc 1
		.amdhsa_float_round_mode_32 0
		.amdhsa_float_round_mode_16_64 0
		.amdhsa_float_denorm_mode_32 3
		.amdhsa_float_denorm_mode_16_64 3
		.amdhsa_dx10_clamp 1
		.amdhsa_ieee_mode 1
		.amdhsa_fp16_overflow 0
		.amdhsa_tg_split 0
		.amdhsa_exception_fp_ieee_invalid_op 0
		.amdhsa_exception_fp_denorm_src 0
		.amdhsa_exception_fp_ieee_div_zero 0
		.amdhsa_exception_fp_ieee_overflow 0
		.amdhsa_exception_fp_ieee_underflow 0
		.amdhsa_exception_fp_ieee_inexact 0
		.amdhsa_exception_int_div_zero 0
	.end_amdhsa_kernel
	.section	.text._ZN2at6native12_GLOBAL__N_135GammaBetaBackwardCUDAKernelTemplateIddLj64ELj1ELj32ELb1ELb0ELb1EEEvllPKT_S5_PKT0_S8_PS3_S9_,"axG",@progbits,_ZN2at6native12_GLOBAL__N_135GammaBetaBackwardCUDAKernelTemplateIddLj64ELj1ELj32ELb1ELb0ELb1EEEvllPKT_S5_PKT0_S8_PS3_S9_,comdat
.Lfunc_end120:
	.size	_ZN2at6native12_GLOBAL__N_135GammaBetaBackwardCUDAKernelTemplateIddLj64ELj1ELj32ELb1ELb0ELb1EEEvllPKT_S5_PKT0_S8_PS3_S9_, .Lfunc_end120-_ZN2at6native12_GLOBAL__N_135GammaBetaBackwardCUDAKernelTemplateIddLj64ELj1ELj32ELb1ELb0ELb1EEEvllPKT_S5_PKT0_S8_PS3_S9_
                                        ; -- End function
	.set _ZN2at6native12_GLOBAL__N_135GammaBetaBackwardCUDAKernelTemplateIddLj64ELj1ELj32ELb1ELb0ELb1EEEvllPKT_S5_PKT0_S8_PS3_S9_.num_vgpr, 256
	.set _ZN2at6native12_GLOBAL__N_135GammaBetaBackwardCUDAKernelTemplateIddLj64ELj1ELj32ELb1ELb0ELb1EEEvllPKT_S5_PKT0_S8_PS3_S9_.num_agpr, 142
	.set _ZN2at6native12_GLOBAL__N_135GammaBetaBackwardCUDAKernelTemplateIddLj64ELj1ELj32ELb1ELb0ELb1EEEvllPKT_S5_PKT0_S8_PS3_S9_.numbered_sgpr, 38
	.set _ZN2at6native12_GLOBAL__N_135GammaBetaBackwardCUDAKernelTemplateIddLj64ELj1ELj32ELb1ELb0ELb1EEEvllPKT_S5_PKT0_S8_PS3_S9_.num_named_barrier, 0
	.set _ZN2at6native12_GLOBAL__N_135GammaBetaBackwardCUDAKernelTemplateIddLj64ELj1ELj32ELb1ELb0ELb1EEEvllPKT_S5_PKT0_S8_PS3_S9_.private_seg_size, 0
	.set _ZN2at6native12_GLOBAL__N_135GammaBetaBackwardCUDAKernelTemplateIddLj64ELj1ELj32ELb1ELb0ELb1EEEvllPKT_S5_PKT0_S8_PS3_S9_.uses_vcc, 1
	.set _ZN2at6native12_GLOBAL__N_135GammaBetaBackwardCUDAKernelTemplateIddLj64ELj1ELj32ELb1ELb0ELb1EEEvllPKT_S5_PKT0_S8_PS3_S9_.uses_flat_scratch, 0
	.set _ZN2at6native12_GLOBAL__N_135GammaBetaBackwardCUDAKernelTemplateIddLj64ELj1ELj32ELb1ELb0ELb1EEEvllPKT_S5_PKT0_S8_PS3_S9_.has_dyn_sized_stack, 0
	.set _ZN2at6native12_GLOBAL__N_135GammaBetaBackwardCUDAKernelTemplateIddLj64ELj1ELj32ELb1ELb0ELb1EEEvllPKT_S5_PKT0_S8_PS3_S9_.has_recursion, 0
	.set _ZN2at6native12_GLOBAL__N_135GammaBetaBackwardCUDAKernelTemplateIddLj64ELj1ELj32ELb1ELb0ELb1EEEvllPKT_S5_PKT0_S8_PS3_S9_.has_indirect_call, 0
	.section	.AMDGPU.csdata,"",@progbits
; Kernel info:
; codeLenInByte = 24448
; TotalNumSgprs: 44
; NumVgprs: 256
; NumAgprs: 142
; TotalNumVgprs: 398
; ScratchSize: 0
; MemoryBound: 1
; FloatMode: 240
; IeeeMode: 1
; LDSByteSize: 0 bytes/workgroup (compile time only)
; SGPRBlocks: 5
; VGPRBlocks: 49
; NumSGPRsForWavesPerEU: 44
; NumVGPRsForWavesPerEU: 398
; AccumOffset: 256
; Occupancy: 1
; WaveLimiterHint : 0
; COMPUTE_PGM_RSRC2:SCRATCH_EN: 0
; COMPUTE_PGM_RSRC2:USER_SGPR: 2
; COMPUTE_PGM_RSRC2:TRAP_HANDLER: 0
; COMPUTE_PGM_RSRC2:TGID_X_EN: 1
; COMPUTE_PGM_RSRC2:TGID_Y_EN: 1
; COMPUTE_PGM_RSRC2:TGID_Z_EN: 0
; COMPUTE_PGM_RSRC2:TIDIG_COMP_CNT: 1
; COMPUTE_PGM_RSRC3_GFX90A:ACCUM_OFFSET: 63
; COMPUTE_PGM_RSRC3_GFX90A:TG_SPLIT: 0
	.section	.text._ZN2at6native12_GLOBAL__N_135GammaBetaBackwardCUDAKernelTemplateIddLj64ELj1ELj8ELb1ELb1ELb1EEEvllPKT_S5_PKT0_S8_PS3_S9_,"axG",@progbits,_ZN2at6native12_GLOBAL__N_135GammaBetaBackwardCUDAKernelTemplateIddLj64ELj1ELj8ELb1ELb1ELb1EEEvllPKT_S5_PKT0_S8_PS3_S9_,comdat
	.globl	_ZN2at6native12_GLOBAL__N_135GammaBetaBackwardCUDAKernelTemplateIddLj64ELj1ELj8ELb1ELb1ELb1EEEvllPKT_S5_PKT0_S8_PS3_S9_ ; -- Begin function _ZN2at6native12_GLOBAL__N_135GammaBetaBackwardCUDAKernelTemplateIddLj64ELj1ELj8ELb1ELb1ELb1EEEvllPKT_S5_PKT0_S8_PS3_S9_
	.p2align	8
	.type	_ZN2at6native12_GLOBAL__N_135GammaBetaBackwardCUDAKernelTemplateIddLj64ELj1ELj8ELb1ELb1ELb1EEEvllPKT_S5_PKT0_S8_PS3_S9_,@function
_ZN2at6native12_GLOBAL__N_135GammaBetaBackwardCUDAKernelTemplateIddLj64ELj1ELj8ELb1ELb1ELb1EEEvllPKT_S5_PKT0_S8_PS3_S9_: ; @_ZN2at6native12_GLOBAL__N_135GammaBetaBackwardCUDAKernelTemplateIddLj64ELj1ELj8ELb1ELb1ELb1EEEvllPKT_S5_PKT0_S8_PS3_S9_
; %bb.0:
	s_load_dwordx4 s[8:11], s[0:1], 0x0
	s_load_dwordx2 s[16:17], s[0:1], 0x30
	s_lshl_b32 s18, s3, 3
	s_mov_b32 s19, 0
	v_mov_b64_e32 v[2:3], s[18:19]
	s_waitcnt lgkmcnt(0)
	v_cmp_le_i64_e32 vcc, s[8:9], v[2:3]
	s_mov_b32 s6, s3
	v_mov_b64_e32 v[4:5], 0
	v_bfe_u32 v2, v0, 10, 10
	s_cbranch_vccnz .LBB121_7
; %bb.1:
	s_load_dword s3, s[0:1], 0x4c
	s_load_dword s7, s[0:1], 0x44
	s_load_dwordx4 s[12:15], s[0:1], 0x10
	s_load_dwordx2 s[22:23], s[0:1], 0x28
	v_and_b32_e32 v1, 0x3ff, v0
	s_waitcnt lgkmcnt(0)
	s_and_b32 s3, s3, 0xffff
	v_mad_u32_u24 v3, v2, s3, v1
	v_lshlrev_b32_e32 v6, 3, v2
	v_mov_b32_e32 v7, 0
	v_lshl_or_b32 v10, s2, 6, v1
	v_mbcnt_lo_u32_b32 v1, -1, 0
	v_and_b32_e32 v4, 63, v3
	v_mov_b32_e32 v5, v7
	v_mbcnt_hi_u32_b32 v1, -1, v1
	s_lshl_b32 s20, s7, 3
	v_lshl_add_u64 v[12:13], v[6:7], 0, s[18:19]
	v_cmp_gt_u32_e64 s[4:5], 8, v4
	v_mov_b32_e32 v11, v7
	v_lshlrev_b32_e32 v1, 2, v1
	v_lshl_add_u64 v[6:7], v[12:13], 0, v[4:5]
	v_mul_lo_u32 v14, s11, v12
	v_mul_lo_u32 v13, s10, v13
	v_mad_u64_u32 v[4:5], s[24:25], s10, v12, 0
	s_mul_i32 s3, s11, s20
	s_mul_hi_u32 s7, s10, s20
	v_and_b32_e32 v1, 0x100, v1
	s_mov_b32 s21, s19
	v_add3_u32 v5, v5, v13, v14
	v_lshlrev_b64 v[10:11], 3, v[10:11]
	s_add_i32 s25, s7, s3
	s_mul_i32 s24, s10, s20
	v_or_b32_e32 v3, 4, v1
	v_or_b32_e32 v16, 8, v1
	;; [unrolled: 1-line block ×7, first 2 shown]
	v_lshl_add_u64 v[8:9], v[6:7], 3, s[22:23]
	s_lshl_b64 s[22:23], s[20:21], 3
	v_lshl_add_u64 v[10:11], v[4:5], 3, v[10:11]
	s_lshl_b64 s[24:25], s[24:25], 3
	s_lshl_b64 s[26:27], s[10:11], 3
	v_mov_b64_e32 v[4:5], 0
	v_mov_b64_e32 v[12:13], s[8:9]
	s_branch .LBB121_4
.LBB121_2:                              ;   in Loop: Header=BB121_4 Depth=1
	s_or_b64 exec, exec, s[30:31]
.LBB121_3:                              ;   in Loop: Header=BB121_4 Depth=1
	s_or_b64 exec, exec, s[28:29]
	v_lshl_add_u64 v[22:23], s[12:13], 0, v[10:11]
	v_lshl_add_u64 v[26:27], s[14:15], 0, v[10:11]
	global_load_dwordx2 v[24:25], v[22:23], off
	global_load_dwordx2 v[28:29], v[26:27], off
	v_lshl_add_u64 v[22:23], v[22:23], 0, s[26:27]
	v_lshl_add_u64 v[26:27], v[26:27], 0, s[26:27]
	s_waitcnt vmcnt(2)
	ds_bpermute_b32 v30, v1, v14
	ds_bpermute_b32 v31, v1, v15
	global_load_dwordx2 v[44:45], v[22:23], off
	global_load_dwordx2 v[46:47], v[26:27], off
	v_lshl_add_u64 v[22:23], v[22:23], 0, s[26:27]
	v_lshl_add_u64 v[26:27], v[26:27], 0, s[26:27]
	global_load_dwordx2 v[48:49], v[22:23], off
	global_load_dwordx2 v[50:51], v[26:27], off
	v_lshl_add_u64 v[22:23], v[22:23], 0, s[26:27]
	v_lshl_add_u64 v[26:27], v[26:27], 0, s[26:27]
	;; [unrolled: 4-line block ×4, first 2 shown]
	global_load_dwordx2 v[60:61], v[22:23], off
	v_lshl_add_u64 v[22:23], v[22:23], 0, s[26:27]
	ds_bpermute_b32 v32, v3, v14
	ds_bpermute_b32 v33, v3, v15
	;; [unrolled: 1-line block ×14, first 2 shown]
	s_add_u32 s18, s18, s20
	s_addc_u32 s19, s19, 0
	v_cmp_lt_i64_e32 vcc, s[18:19], v[12:13]
	v_lshl_add_u64 v[8:9], v[8:9], 0, s[22:23]
	v_lshl_add_u64 v[6:7], v[6:7], 0, s[20:21]
	;; [unrolled: 1-line block ×3, first 2 shown]
	s_and_b64 vcc, exec, vcc
	s_waitcnt vmcnt(9)
	v_mul_f64 v[24:25], v[24:25], v[28:29]
	global_load_dwordx2 v[28:29], v[26:27], off
	v_lshl_add_u64 v[26:27], v[26:27], 0, s[26:27]
	s_waitcnt lgkmcnt(14)
	v_fmac_f64_e32 v[4:5], v[24:25], v[30:31]
	global_load_dwordx2 v[24:25], v[22:23], off
	global_load_dwordx2 v[30:31], v[26:27], off
	v_lshl_add_u64 v[22:23], v[22:23], 0, s[26:27]
	v_lshl_add_u64 v[26:27], v[26:27], 0, s[26:27]
	global_load_dwordx2 v[22:23], v[22:23], off
	s_nop 0
	global_load_dwordx2 v[26:27], v[26:27], off
	s_waitcnt vmcnt(12)
	v_mul_f64 v[44:45], v[44:45], v[46:47]
	s_waitcnt lgkmcnt(12)
	v_fmac_f64_e32 v[4:5], v[44:45], v[32:33]
	s_waitcnt vmcnt(10)
	v_mul_f64 v[32:33], v[48:49], v[50:51]
	s_waitcnt lgkmcnt(10)
	v_fmac_f64_e32 v[4:5], v[32:33], v[34:35]
	s_waitcnt vmcnt(8)
	v_mul_f64 v[32:33], v[52:53], v[54:55]
	s_waitcnt lgkmcnt(8)
	v_fmac_f64_e32 v[4:5], v[32:33], v[36:37]
	s_waitcnt vmcnt(6)
	v_mul_f64 v[32:33], v[56:57], v[58:59]
	s_waitcnt lgkmcnt(6)
	v_fmac_f64_e32 v[4:5], v[32:33], v[38:39]
	s_waitcnt vmcnt(4)
	v_mul_f64 v[28:29], v[60:61], v[28:29]
	s_waitcnt lgkmcnt(4)
	v_fmac_f64_e32 v[4:5], v[28:29], v[40:41]
	s_waitcnt vmcnt(2)
	v_mul_f64 v[24:25], v[24:25], v[30:31]
	s_waitcnt lgkmcnt(2)
	v_fmac_f64_e32 v[4:5], v[24:25], v[42:43]
	s_waitcnt vmcnt(0)
	v_mul_f64 v[22:23], v[22:23], v[26:27]
	s_waitcnt lgkmcnt(0)
	v_fmac_f64_e32 v[4:5], v[22:23], v[14:15]
	s_cbranch_vccz .LBB121_7
.LBB121_4:                              ; =>This Inner Loop Header: Depth=1
	v_mov_b64_e32 v[14:15], 0
	s_and_saveexec_b64 s[28:29], s[4:5]
	s_cbranch_execz .LBB121_3
; %bb.5:                                ;   in Loop: Header=BB121_4 Depth=1
	v_cmp_gt_i64_e32 vcc, s[8:9], v[6:7]
	v_mov_b64_e32 v[14:15], 0
	s_and_saveexec_b64 s[30:31], vcc
	s_cbranch_execz .LBB121_2
; %bb.6:                                ;   in Loop: Header=BB121_4 Depth=1
	global_load_dwordx2 v[14:15], v[8:9], off
	s_branch .LBB121_2
.LBB121_7:
	s_cmp_eq_u64 s[16:17], 0
	s_cbranch_scc1 .LBB121_9
; %bb.8:
	s_load_dword s0, s[0:1], 0x4c
	v_mov_b32_e32 v3, 0
	v_mov_b32_e32 v1, s6
	s_mov_b32 s3, 0
	v_and_b32_e32 v0, 0x3ff, v0
	s_waitcnt lgkmcnt(0)
	s_lshr_b32 s0, s0, 16
	v_mad_u64_u32 v[6:7], s[0:1], s0, v1, v[2:3]
	v_mul_lo_u32 v1, v7, s10
	v_mul_lo_u32 v2, v6, s11
	v_mad_u64_u32 v[6:7], s[0:1], v6, s10, 0
	v_add3_u32 v7, v7, v2, v1
	v_lshl_add_u64 v[6:7], v[6:7], 3, s[16:17]
	s_lshl_b64 s[0:1], s[2:3], 9
	v_lshl_add_u64 v[6:7], v[6:7], 0, s[0:1]
	v_lshlrev_b32_e32 v2, 3, v0
	v_lshl_add_u64 v[0:1], v[6:7], 0, v[2:3]
	global_store_dwordx2 v[0:1], v[4:5], off
.LBB121_9:
	s_endpgm
	.section	.rodata,"a",@progbits
	.p2align	6, 0x0
	.amdhsa_kernel _ZN2at6native12_GLOBAL__N_135GammaBetaBackwardCUDAKernelTemplateIddLj64ELj1ELj8ELb1ELb1ELb1EEEvllPKT_S5_PKT0_S8_PS3_S9_
		.amdhsa_group_segment_fixed_size 0
		.amdhsa_private_segment_fixed_size 0
		.amdhsa_kernarg_size 320
		.amdhsa_user_sgpr_count 2
		.amdhsa_user_sgpr_dispatch_ptr 0
		.amdhsa_user_sgpr_queue_ptr 0
		.amdhsa_user_sgpr_kernarg_segment_ptr 1
		.amdhsa_user_sgpr_dispatch_id 0
		.amdhsa_user_sgpr_kernarg_preload_length 0
		.amdhsa_user_sgpr_kernarg_preload_offset 0
		.amdhsa_user_sgpr_private_segment_size 0
		.amdhsa_uses_dynamic_stack 0
		.amdhsa_enable_private_segment 0
		.amdhsa_system_sgpr_workgroup_id_x 1
		.amdhsa_system_sgpr_workgroup_id_y 1
		.amdhsa_system_sgpr_workgroup_id_z 0
		.amdhsa_system_sgpr_workgroup_info 0
		.amdhsa_system_vgpr_workitem_id 1
		.amdhsa_next_free_vgpr 62
		.amdhsa_next_free_sgpr 32
		.amdhsa_accum_offset 64
		.amdhsa_reserve_vcc 1
		.amdhsa_float_round_mode_32 0
		.amdhsa_float_round_mode_16_64 0
		.amdhsa_float_denorm_mode_32 3
		.amdhsa_float_denorm_mode_16_64 3
		.amdhsa_dx10_clamp 1
		.amdhsa_ieee_mode 1
		.amdhsa_fp16_overflow 0
		.amdhsa_tg_split 0
		.amdhsa_exception_fp_ieee_invalid_op 0
		.amdhsa_exception_fp_denorm_src 0
		.amdhsa_exception_fp_ieee_div_zero 0
		.amdhsa_exception_fp_ieee_overflow 0
		.amdhsa_exception_fp_ieee_underflow 0
		.amdhsa_exception_fp_ieee_inexact 0
		.amdhsa_exception_int_div_zero 0
	.end_amdhsa_kernel
	.section	.text._ZN2at6native12_GLOBAL__N_135GammaBetaBackwardCUDAKernelTemplateIddLj64ELj1ELj8ELb1ELb1ELb1EEEvllPKT_S5_PKT0_S8_PS3_S9_,"axG",@progbits,_ZN2at6native12_GLOBAL__N_135GammaBetaBackwardCUDAKernelTemplateIddLj64ELj1ELj8ELb1ELb1ELb1EEEvllPKT_S5_PKT0_S8_PS3_S9_,comdat
.Lfunc_end121:
	.size	_ZN2at6native12_GLOBAL__N_135GammaBetaBackwardCUDAKernelTemplateIddLj64ELj1ELj8ELb1ELb1ELb1EEEvllPKT_S5_PKT0_S8_PS3_S9_, .Lfunc_end121-_ZN2at6native12_GLOBAL__N_135GammaBetaBackwardCUDAKernelTemplateIddLj64ELj1ELj8ELb1ELb1ELb1EEEvllPKT_S5_PKT0_S8_PS3_S9_
                                        ; -- End function
	.set _ZN2at6native12_GLOBAL__N_135GammaBetaBackwardCUDAKernelTemplateIddLj64ELj1ELj8ELb1ELb1ELb1EEEvllPKT_S5_PKT0_S8_PS3_S9_.num_vgpr, 62
	.set _ZN2at6native12_GLOBAL__N_135GammaBetaBackwardCUDAKernelTemplateIddLj64ELj1ELj8ELb1ELb1ELb1EEEvllPKT_S5_PKT0_S8_PS3_S9_.num_agpr, 0
	.set _ZN2at6native12_GLOBAL__N_135GammaBetaBackwardCUDAKernelTemplateIddLj64ELj1ELj8ELb1ELb1ELb1EEEvllPKT_S5_PKT0_S8_PS3_S9_.numbered_sgpr, 32
	.set _ZN2at6native12_GLOBAL__N_135GammaBetaBackwardCUDAKernelTemplateIddLj64ELj1ELj8ELb1ELb1ELb1EEEvllPKT_S5_PKT0_S8_PS3_S9_.num_named_barrier, 0
	.set _ZN2at6native12_GLOBAL__N_135GammaBetaBackwardCUDAKernelTemplateIddLj64ELj1ELj8ELb1ELb1ELb1EEEvllPKT_S5_PKT0_S8_PS3_S9_.private_seg_size, 0
	.set _ZN2at6native12_GLOBAL__N_135GammaBetaBackwardCUDAKernelTemplateIddLj64ELj1ELj8ELb1ELb1ELb1EEEvllPKT_S5_PKT0_S8_PS3_S9_.uses_vcc, 1
	.set _ZN2at6native12_GLOBAL__N_135GammaBetaBackwardCUDAKernelTemplateIddLj64ELj1ELj8ELb1ELb1ELb1EEEvllPKT_S5_PKT0_S8_PS3_S9_.uses_flat_scratch, 0
	.set _ZN2at6native12_GLOBAL__N_135GammaBetaBackwardCUDAKernelTemplateIddLj64ELj1ELj8ELb1ELb1ELb1EEEvllPKT_S5_PKT0_S8_PS3_S9_.has_dyn_sized_stack, 0
	.set _ZN2at6native12_GLOBAL__N_135GammaBetaBackwardCUDAKernelTemplateIddLj64ELj1ELj8ELb1ELb1ELb1EEEvllPKT_S5_PKT0_S8_PS3_S9_.has_recursion, 0
	.set _ZN2at6native12_GLOBAL__N_135GammaBetaBackwardCUDAKernelTemplateIddLj64ELj1ELj8ELb1ELb1ELb1EEEvllPKT_S5_PKT0_S8_PS3_S9_.has_indirect_call, 0
	.section	.AMDGPU.csdata,"",@progbits
; Kernel info:
; codeLenInByte = 1100
; TotalNumSgprs: 38
; NumVgprs: 62
; NumAgprs: 0
; TotalNumVgprs: 62
; ScratchSize: 0
; MemoryBound: 0
; FloatMode: 240
; IeeeMode: 1
; LDSByteSize: 0 bytes/workgroup (compile time only)
; SGPRBlocks: 4
; VGPRBlocks: 7
; NumSGPRsForWavesPerEU: 38
; NumVGPRsForWavesPerEU: 62
; AccumOffset: 64
; Occupancy: 8
; WaveLimiterHint : 0
; COMPUTE_PGM_RSRC2:SCRATCH_EN: 0
; COMPUTE_PGM_RSRC2:USER_SGPR: 2
; COMPUTE_PGM_RSRC2:TRAP_HANDLER: 0
; COMPUTE_PGM_RSRC2:TGID_X_EN: 1
; COMPUTE_PGM_RSRC2:TGID_Y_EN: 1
; COMPUTE_PGM_RSRC2:TGID_Z_EN: 0
; COMPUTE_PGM_RSRC2:TIDIG_COMP_CNT: 1
; COMPUTE_PGM_RSRC3_GFX90A:ACCUM_OFFSET: 15
; COMPUTE_PGM_RSRC3_GFX90A:TG_SPLIT: 0
	.section	.text._ZN2at6native12_GLOBAL__N_135GammaBetaBackwardCUDAKernelTemplateIddLj64ELj1ELj8ELb1ELb0ELb1EEEvllPKT_S5_PKT0_S8_PS3_S9_,"axG",@progbits,_ZN2at6native12_GLOBAL__N_135GammaBetaBackwardCUDAKernelTemplateIddLj64ELj1ELj8ELb1ELb0ELb1EEEvllPKT_S5_PKT0_S8_PS3_S9_,comdat
	.globl	_ZN2at6native12_GLOBAL__N_135GammaBetaBackwardCUDAKernelTemplateIddLj64ELj1ELj8ELb1ELb0ELb1EEEvllPKT_S5_PKT0_S8_PS3_S9_ ; -- Begin function _ZN2at6native12_GLOBAL__N_135GammaBetaBackwardCUDAKernelTemplateIddLj64ELj1ELj8ELb1ELb0ELb1EEEvllPKT_S5_PKT0_S8_PS3_S9_
	.p2align	8
	.type	_ZN2at6native12_GLOBAL__N_135GammaBetaBackwardCUDAKernelTemplateIddLj64ELj1ELj8ELb1ELb0ELb1EEEvllPKT_S5_PKT0_S8_PS3_S9_,@function
_ZN2at6native12_GLOBAL__N_135GammaBetaBackwardCUDAKernelTemplateIddLj64ELj1ELj8ELb1ELb0ELb1EEEvllPKT_S5_PKT0_S8_PS3_S9_: ; @_ZN2at6native12_GLOBAL__N_135GammaBetaBackwardCUDAKernelTemplateIddLj64ELj1ELj8ELb1ELb0ELb1EEEvllPKT_S5_PKT0_S8_PS3_S9_
; %bb.0:
	s_load_dwordx8 s[12:19], s[0:1], 0x0
	s_load_dwordx2 s[10:11], s[0:1], 0x28
	s_mov_b32 s8, s3
	s_lshl_b32 s3, s2, 6
	s_or_b32 s4, s3, 63
	s_mov_b32 s21, 0
	v_mov_b32_e32 v2, s4
	v_mov_b32_e32 v3, 0
	s_lshl_b32 s20, s8, 3
	s_waitcnt lgkmcnt(0)
	v_cmp_le_i64_e32 vcc, s[14:15], v[2:3]
	v_mov_b64_e32 v[2:3], s[20:21]
	v_cmp_gt_i64_e64 s[4:5], s[12:13], v[2:3]
	s_nop 1
	v_cndmask_b32_e64 v1, 0, 1, s[4:5]
	v_cmp_ne_u32_e64 s[4:5], 1, v1
	s_cbranch_vccz .LBB122_49
; %bb.1:
	s_and_b64 vcc, exec, s[4:5]
	v_mov_b64_e32 v[104:105], 0
	s_cbranch_vccnz .LBB122_50
; %bb.2:
	v_and_b32_e32 v1, 0x3ff, v0
	v_mov_b32_e32 v2, 0
	v_bfe_u32 v78, v0, 10, 10
	v_add_u32_e32 v4, s3, v1
	v_mov_b32_e32 v5, v2
	v_lshlrev_b32_e32 v36, 3, v78
	v_mov_b32_e32 v37, v2
	v_cmp_gt_i64_e64 s[6:7], s[14:15], v[4:5]
	v_lshlrev_b64 v[38:39], 3, v[4:5]
	v_lshl_add_u64 v[4:5], v[36:37], 0, s[20:21]
	v_mul_lo_u32 v3, s15, v4
	v_mul_lo_u32 v8, s14, v5
	v_mad_u64_u32 v[6:7], s[26:27], s14, v4, 0
	v_add3_u32 v7, v7, v8, v3
	v_lshlrev_b64 v[6:7], 3, v[6:7]
	v_lshl_add_u64 v[40:41], s[16:17], 0, v[6:7]
	v_lshl_add_u64 v[42:43], s[18:19], 0, v[6:7]
	v_lshl_add_u64 v[6:7], v[4:5], 0, 7
	v_mul_lo_u32 v9, s15, v6
	v_mul_lo_u32 v10, s14, v7
	v_mad_u64_u32 v[6:7], s[30:31], s14, v6, 0
	v_add3_u32 v7, v7, v10, v9
	v_lshlrev_b64 v[6:7], 3, v[6:7]
	v_lshl_add_u64 v[44:45], s[16:17], 0, v[6:7]
	v_lshl_add_u64 v[46:47], s[18:19], 0, v[6:7]
	v_lshl_add_u64 v[6:7], v[4:5], 0, 6
	v_mul_lo_u32 v9, s15, v6
	v_mul_lo_u32 v10, s14, v7
	v_mad_u64_u32 v[6:7], s[30:31], s14, v6, 0
	v_add3_u32 v7, v7, v10, v9
	v_lshlrev_b64 v[6:7], 3, v[6:7]
	v_lshl_add_u64 v[48:49], s[16:17], 0, v[6:7]
	v_lshl_add_u64 v[50:51], s[18:19], 0, v[6:7]
	v_lshl_add_u64 v[6:7], v[4:5], 0, 5
	v_mul_lo_u32 v9, s15, v6
	v_mul_lo_u32 v10, s14, v7
	v_mad_u64_u32 v[6:7], s[30:31], s14, v6, 0
	v_add3_u32 v7, v7, v10, v9
	v_lshlrev_b64 v[6:7], 3, v[6:7]
	v_lshl_add_u64 v[52:53], s[16:17], 0, v[6:7]
	v_lshl_add_u64 v[54:55], s[18:19], 0, v[6:7]
	v_lshl_add_u64 v[6:7], v[4:5], 0, 4
	v_mul_lo_u32 v9, s15, v6
	v_mul_lo_u32 v10, s14, v7
	v_mad_u64_u32 v[6:7], s[30:31], s14, v6, 0
	v_add3_u32 v7, v7, v10, v9
	v_lshlrev_b64 v[6:7], 3, v[6:7]
	v_lshl_add_u64 v[56:57], s[16:17], 0, v[6:7]
	v_lshl_add_u64 v[58:59], s[18:19], 0, v[6:7]
	v_lshl_add_u64 v[6:7], v[4:5], 0, 3
	v_mul_lo_u32 v9, s15, v6
	v_mul_lo_u32 v10, s14, v7
	v_mad_u64_u32 v[6:7], s[30:31], s14, v6, 0
	v_add3_u32 v7, v7, v10, v9
	v_lshlrev_b64 v[6:7], 3, v[6:7]
	v_lshl_add_u64 v[60:61], s[16:17], 0, v[6:7]
	v_lshl_add_u64 v[62:63], s[18:19], 0, v[6:7]
	v_lshl_add_u64 v[6:7], v[4:5], 0, 2
	s_load_dword s9, s[0:1], 0x44
	v_mul_lo_u32 v5, s15, v6
	v_mul_lo_u32 v9, s14, v7
	v_mad_u64_u32 v[6:7], s[30:31], s14, v6, 0
	v_add3_u32 v7, v7, v9, v5
	v_lshlrev_b64 v[6:7], 3, v[6:7]
	v_lshl_add_u64 v[64:65], s[16:17], 0, v[6:7]
	v_lshl_add_u64 v[66:67], s[18:19], 0, v[6:7]
	v_mov_b64_e32 v[6:7], s[14:15]
	s_add_u32 s24, s0, 64
	v_mad_u64_u32 v[4:5], s[30:31], s14, v4, v[6:7]
	s_addc_u32 s25, s1, 0
	s_waitcnt lgkmcnt(0)
	s_lshl_b32 s22, s9, 3
	v_add3_u32 v5, v3, v5, v8
	v_mbcnt_lo_u32_b32 v3, -1, 0
	s_mul_i32 s9, s15, s22
	s_mul_hi_u32 s26, s14, s22
	v_mbcnt_hi_u32_b32 v3, -1, v3
	s_add_i32 s27, s26, s9
	s_mul_i32 s26, s14, s22
	v_lshlrev_b64 v[4:5], 3, v[4:5]
	v_lshlrev_b32_e32 v3, 2, v3
	s_mov_b32 s23, 0
	s_lshl_b64 s[26:27], s[26:27], 3
	s_mov_b64 s[28:29], 7
	v_lshl_add_u64 v[68:69], s[16:17], 0, v[4:5]
	v_lshl_add_u64 v[70:71], s[18:19], 0, v[4:5]
	v_mov_b64_e32 v[72:73], 0
	v_and_b32_e32 v79, 0x100, v3
	s_mov_b64 s[30:31], s[20:21]
.LBB122_3:                              ; =>This Inner Loop Header: Depth=1
	s_add_u32 s34, s20, s28
	s_addc_u32 s35, 0, s29
	v_mov_b64_e32 v[4:5], s[12:13]
	v_cmp_ge_i64_e32 vcc, s[34:35], v[4:5]
	v_lshl_add_u64 v[74:75], s[20:21], 0, v[36:37]
	s_mov_b64 s[34:35], -1
	s_and_b64 vcc, exec, vcc
                                        ; implicit-def: $vgpr4_vgpr5_vgpr6_vgpr7_vgpr8_vgpr9_vgpr10_vgpr11_vgpr12_vgpr13_vgpr14_vgpr15_vgpr16_vgpr17_vgpr18_vgpr19
                                        ; implicit-def: $vgpr104_vgpr105
                                        ; implicit-def: $vgpr20_vgpr21_vgpr22_vgpr23_vgpr24_vgpr25_vgpr26_vgpr27_vgpr28_vgpr29_vgpr30_vgpr31_vgpr32_vgpr33_vgpr34_vgpr35
                                        ; implicit-def: $vgpr4
	s_cbranch_vccz .LBB122_25
; %bb.4:                                ;   in Loop: Header=BB122_3 Depth=1
	s_load_dword s9, s[24:25], 0xc
	v_mov_b64_e32 v[76:77], 0
	s_waitcnt lgkmcnt(0)
	s_and_b32 s9, s9, 0xffff
	v_mad_u32_u24 v3, v78, s9, v1
	v_and_b32_e32 v4, 63, v3
	v_cmp_gt_u32_e32 vcc, 8, v4
	s_and_saveexec_b64 s[34:35], vcc
	s_cbranch_execz .LBB122_8
; %bb.5:                                ;   in Loop: Header=BB122_3 Depth=1
	v_mov_b32_e32 v5, v2
	v_lshl_add_u64 v[4:5], v[74:75], 0, v[4:5]
	v_cmp_gt_i64_e32 vcc, s[12:13], v[4:5]
	v_mov_b64_e32 v[76:77], 0
	s_and_saveexec_b64 s[36:37], vcc
	s_cbranch_execz .LBB122_7
; %bb.6:                                ;   in Loop: Header=BB122_3 Depth=1
	v_lshl_add_u64 v[4:5], v[4:5], 3, s[10:11]
	global_load_dwordx2 v[76:77], v[4:5], off
.LBB122_7:                              ;   in Loop: Header=BB122_3 Depth=1
	s_or_b64 exec, exec, s[36:37]
.LBB122_8:                              ;   in Loop: Header=BB122_3 Depth=1
	s_or_b64 exec, exec, s[34:35]
	v_mov_b32_e32 v16, v2
	v_mov_b32_e32 v17, v2
	;; [unrolled: 1-line block ×15, first 2 shown]
	v_mov_b64_e32 v[34:35], v[16:17]
	v_cmp_gt_i64_e32 vcc, s[12:13], v[74:75]
	v_mov_b64_e32 v[32:33], v[14:15]
	v_mov_b64_e32 v[30:31], v[12:13]
	;; [unrolled: 1-line block ×8, first 2 shown]
	s_and_b64 s[36:37], s[6:7], vcc
	v_mov_b64_e32 v[16:17], v[14:15]
	v_mov_b64_e32 v[14:15], v[12:13]
	;; [unrolled: 1-line block ×7, first 2 shown]
	s_and_saveexec_b64 s[34:35], s[36:37]
	s_cbranch_execz .LBB122_10
; %bb.9:                                ;   in Loop: Header=BB122_3 Depth=1
	v_lshl_add_u64 v[4:5], v[40:41], 0, v[38:39]
	v_lshl_add_u64 v[6:7], v[42:43], 0, v[38:39]
	global_load_dwordx2 v[4:5], v[4:5], off
	v_mov_b32_e32 v8, v2
	global_load_dwordx2 v[20:21], v[6:7], off
	v_mov_b32_e32 v6, v2
	v_mov_b32_e32 v7, v2
	;; [unrolled: 1-line block ×27, first 2 shown]
.LBB122_10:                             ;   in Loop: Header=BB122_3 Depth=1
	s_or_b64 exec, exec, s[34:35]
	v_lshl_add_u64 v[80:81], v[74:75], 0, 1
	v_cmp_gt_i64_e32 vcc, s[12:13], v[80:81]
	s_and_b64 s[36:37], s[6:7], vcc
	s_and_saveexec_b64 s[34:35], s[36:37]
	s_cbranch_execz .LBB122_12
; %bb.11:                               ;   in Loop: Header=BB122_3 Depth=1
	v_lshl_add_u64 v[6:7], v[68:69], 0, v[38:39]
	v_lshl_add_u64 v[22:23], v[70:71], 0, v[38:39]
	global_load_dwordx2 v[6:7], v[6:7], off
	s_nop 0
	global_load_dwordx2 v[22:23], v[22:23], off
.LBB122_12:                             ;   in Loop: Header=BB122_3 Depth=1
	s_or_b64 exec, exec, s[34:35]
	v_lshl_add_u64 v[80:81], v[74:75], 0, 2
	v_cmp_gt_i64_e32 vcc, s[12:13], v[80:81]
	s_and_b64 s[36:37], s[6:7], vcc
	s_and_saveexec_b64 s[34:35], s[36:37]
	s_cbranch_execz .LBB122_14
; %bb.13:                               ;   in Loop: Header=BB122_3 Depth=1
	v_lshl_add_u64 v[8:9], v[64:65], 0, v[38:39]
	v_lshl_add_u64 v[24:25], v[66:67], 0, v[38:39]
	global_load_dwordx2 v[8:9], v[8:9], off
	s_nop 0
	global_load_dwordx2 v[24:25], v[24:25], off
.LBB122_14:                             ;   in Loop: Header=BB122_3 Depth=1
	;; [unrolled: 13-line block ×7, first 2 shown]
	s_or_b64 exec, exec, s[34:35]
	s_waitcnt vmcnt(0)
	ds_bpermute_b32 v80, v79, v76
	ds_bpermute_b32 v81, v79, v77
	ds_bpermute_b32 v82, v79, v76 offset:4
	ds_bpermute_b32 v83, v79, v77 offset:4
	v_mul_f64 v[4:5], v[20:21], v[4:5]
	ds_bpermute_b32 v20, v79, v76 offset:16
	s_waitcnt lgkmcnt(3)
	v_fma_f64 v[104:105], v[4:5], v[80:81], v[72:73]
	v_mul_f64 v[4:5], v[22:23], v[6:7]
	s_waitcnt lgkmcnt(1)
	v_fmac_f64_e32 v[104:105], v[4:5], v[82:83]
	ds_bpermute_b32 v4, v79, v76 offset:8
	ds_bpermute_b32 v5, v79, v77 offset:8
	v_mul_f64 v[6:7], v[24:25], v[8:9]
	ds_bpermute_b32 v8, v79, v76 offset:12
	ds_bpermute_b32 v9, v79, v77 offset:12
	;; [unrolled: 1-line block ×3, first 2 shown]
	s_waitcnt lgkmcnt(3)
	v_fmac_f64_e32 v[104:105], v[6:7], v[4:5]
	v_mul_f64 v[4:5], v[26:27], v[10:11]
	ds_bpermute_b32 v6, v79, v76 offset:20
	ds_bpermute_b32 v7, v79, v77 offset:20
	s_waitcnt lgkmcnt(3)
	v_fmac_f64_e32 v[104:105], v[4:5], v[8:9]
	v_mul_f64 v[4:5], v[28:29], v[12:13]
	ds_bpermute_b32 v10, v79, v76 offset:24
	ds_bpermute_b32 v11, v79, v77 offset:24
	s_waitcnt lgkmcnt(4)
	v_fmac_f64_e32 v[104:105], v[4:5], v[20:21]
	ds_bpermute_b32 v4, v79, v76 offset:28
	ds_bpermute_b32 v5, v79, v77 offset:28
	v_mul_f64 v[8:9], v[30:31], v[14:15]
	s_waitcnt lgkmcnt(4)
	v_fmac_f64_e32 v[104:105], v[8:9], v[6:7]
	v_mul_f64 v[6:7], v[32:33], v[16:17]
	s_waitcnt lgkmcnt(2)
	v_fmac_f64_e32 v[104:105], v[6:7], v[10:11]
	s_mov_b64 s[34:35], 0
.LBB122_25:                             ;   in Loop: Header=BB122_3 Depth=1
	s_and_b64 vcc, exec, s[34:35]
	s_cbranch_vccz .LBB122_40
; %bb.26:                               ;   in Loop: Header=BB122_3 Depth=1
	s_load_dword s9, s[24:25], 0x0
	v_mov_b64_e32 v[76:77], 0
	s_waitcnt lgkmcnt(0)
	s_cmp_lt_u32 s2, s9
	s_cselect_b32 s9, 12, 18
	s_add_u32 s34, s24, s9
	s_addc_u32 s35, s25, 0
	global_load_ushort v3, v2, s[34:35]
	s_waitcnt vmcnt(0)
	v_mad_u32_u24 v3, v78, v3, v1
	v_and_b32_e32 v4, 63, v3
	v_cmp_gt_u32_e32 vcc, 8, v4
	s_and_saveexec_b64 s[34:35], vcc
	s_cbranch_execz .LBB122_30
; %bb.27:                               ;   in Loop: Header=BB122_3 Depth=1
	v_mov_b32_e32 v5, v2
	v_lshl_add_u64 v[4:5], v[74:75], 0, v[4:5]
	v_cmp_gt_i64_e32 vcc, s[12:13], v[4:5]
	v_mov_b64_e32 v[76:77], 0
	s_and_saveexec_b64 s[36:37], vcc
	s_cbranch_execz .LBB122_29
; %bb.28:                               ;   in Loop: Header=BB122_3 Depth=1
	v_lshl_add_u64 v[4:5], v[4:5], 3, s[10:11]
	global_load_dwordx2 v[76:77], v[4:5], off
.LBB122_29:                             ;   in Loop: Header=BB122_3 Depth=1
	s_or_b64 exec, exec, s[36:37]
.LBB122_30:                             ;   in Loop: Header=BB122_3 Depth=1
	s_or_b64 exec, exec, s[34:35]
	v_mov_b32_e32 v16, v2
	v_mov_b32_e32 v17, v2
	;; [unrolled: 1-line block ×15, first 2 shown]
	v_mov_b64_e32 v[34:35], v[16:17]
	v_mov_b64_e32 v[32:33], v[14:15]
	;; [unrolled: 1-line block ×16, first 2 shown]
	s_and_saveexec_b64 s[34:35], s[6:7]
	s_cbranch_execnz .LBB122_42
; %bb.31:                               ;   in Loop: Header=BB122_3 Depth=1
	s_or_b64 exec, exec, s[34:35]
	s_and_saveexec_b64 s[34:35], s[6:7]
	s_cbranch_execnz .LBB122_43
.LBB122_32:                             ;   in Loop: Header=BB122_3 Depth=1
	s_or_b64 exec, exec, s[34:35]
	s_and_saveexec_b64 s[34:35], s[6:7]
	s_cbranch_execnz .LBB122_44
.LBB122_33:                             ;   in Loop: Header=BB122_3 Depth=1
	s_or_b64 exec, exec, s[34:35]
	s_and_saveexec_b64 s[34:35], s[6:7]
	s_cbranch_execnz .LBB122_45
.LBB122_34:                             ;   in Loop: Header=BB122_3 Depth=1
	s_or_b64 exec, exec, s[34:35]
	s_and_saveexec_b64 s[34:35], s[6:7]
	s_cbranch_execnz .LBB122_46
.LBB122_35:                             ;   in Loop: Header=BB122_3 Depth=1
	s_or_b64 exec, exec, s[34:35]
	s_and_saveexec_b64 s[34:35], s[6:7]
	s_cbranch_execnz .LBB122_47
.LBB122_36:                             ;   in Loop: Header=BB122_3 Depth=1
	s_or_b64 exec, exec, s[34:35]
	s_and_saveexec_b64 s[34:35], s[6:7]
	s_cbranch_execnz .LBB122_48
.LBB122_37:                             ;   in Loop: Header=BB122_3 Depth=1
	s_or_b64 exec, exec, s[34:35]
	s_and_saveexec_b64 s[34:35], s[6:7]
	s_cbranch_execz .LBB122_39
.LBB122_38:                             ;   in Loop: Header=BB122_3 Depth=1
	v_lshl_add_u64 v[18:19], v[44:45], 0, v[38:39]
	v_lshl_add_u64 v[34:35], v[46:47], 0, v[38:39]
	global_load_dwordx2 v[18:19], v[18:19], off
	s_nop 0
	global_load_dwordx2 v[34:35], v[34:35], off
.LBB122_39:                             ;   in Loop: Header=BB122_3 Depth=1
	s_or_b64 exec, exec, s[34:35]
	s_waitcnt vmcnt(0)
	ds_bpermute_b32 v74, v79, v76
	ds_bpermute_b32 v75, v79, v77
	ds_bpermute_b32 v80, v79, v76 offset:4
	ds_bpermute_b32 v81, v79, v77 offset:4
	v_mul_f64 v[4:5], v[20:21], v[4:5]
	ds_bpermute_b32 v20, v79, v76 offset:16
	s_waitcnt lgkmcnt(3)
	v_fmac_f64_e32 v[72:73], v[4:5], v[74:75]
	v_mul_f64 v[4:5], v[22:23], v[6:7]
	s_waitcnt lgkmcnt(1)
	v_fmac_f64_e32 v[72:73], v[4:5], v[80:81]
	ds_bpermute_b32 v4, v79, v76 offset:8
	ds_bpermute_b32 v5, v79, v77 offset:8
	v_mul_f64 v[6:7], v[24:25], v[8:9]
	ds_bpermute_b32 v8, v79, v76 offset:12
	ds_bpermute_b32 v9, v79, v77 offset:12
	;; [unrolled: 1-line block ×3, first 2 shown]
	s_waitcnt lgkmcnt(3)
	v_fmac_f64_e32 v[72:73], v[6:7], v[4:5]
	ds_bpermute_b32 v6, v79, v76 offset:20
	ds_bpermute_b32 v7, v79, v77 offset:20
	v_mul_f64 v[4:5], v[26:27], v[10:11]
	ds_bpermute_b32 v10, v79, v76 offset:24
	ds_bpermute_b32 v11, v79, v77 offset:24
	s_waitcnt lgkmcnt(5)
	v_fmac_f64_e32 v[72:73], v[4:5], v[8:9]
	v_mul_f64 v[4:5], v[28:29], v[12:13]
	s_waitcnt lgkmcnt(4)
	v_fmac_f64_e32 v[72:73], v[4:5], v[20:21]
	ds_bpermute_b32 v4, v79, v76 offset:28
	ds_bpermute_b32 v5, v79, v77 offset:28
	v_mul_f64 v[8:9], v[30:31], v[14:15]
	s_waitcnt lgkmcnt(4)
	v_fmac_f64_e32 v[72:73], v[8:9], v[6:7]
	v_mul_f64 v[6:7], v[32:33], v[16:17]
	s_waitcnt lgkmcnt(2)
	v_fmac_f64_e32 v[72:73], v[6:7], v[10:11]
	v_mov_b64_e32 v[104:105], v[72:73]
.LBB122_40:                             ;   in Loop: Header=BB122_3 Depth=1
	v_mul_f64 v[6:7], v[18:19], v[34:35]
	s_add_u32 s30, s30, s22
	s_waitcnt lgkmcnt(0)
	v_fmac_f64_e32 v[104:105], v[6:7], v[4:5]
	s_addc_u32 s31, s31, 0
	v_mov_b64_e32 v[4:5], s[12:13]
	s_add_u32 s28, s28, s22
	v_cmp_lt_i64_e32 vcc, s[30:31], v[4:5]
	v_lshl_add_u64 v[40:41], v[40:41], 0, s[26:27]
	v_lshl_add_u64 v[42:43], v[42:43], 0, s[26:27]
	;; [unrolled: 1-line block ×17, first 2 shown]
	s_addc_u32 s29, 0, s29
	s_cbranch_vccz .LBB122_50
; %bb.41:                               ;   in Loop: Header=BB122_3 Depth=1
	v_mov_b64_e32 v[72:73], v[104:105]
	s_branch .LBB122_3
.LBB122_42:                             ;   in Loop: Header=BB122_3 Depth=1
	v_lshl_add_u64 v[4:5], v[40:41], 0, v[38:39]
	v_lshl_add_u64 v[6:7], v[42:43], 0, v[38:39]
	global_load_dwordx2 v[4:5], v[4:5], off
	v_mov_b32_e32 v8, v2
	global_load_dwordx2 v[20:21], v[6:7], off
	v_mov_b32_e32 v6, v2
	v_mov_b32_e32 v7, v2
	;; [unrolled: 1-line block ×27, first 2 shown]
	s_or_b64 exec, exec, s[34:35]
	s_and_saveexec_b64 s[34:35], s[6:7]
	s_cbranch_execz .LBB122_32
.LBB122_43:                             ;   in Loop: Header=BB122_3 Depth=1
	v_lshl_add_u64 v[6:7], v[68:69], 0, v[38:39]
	v_lshl_add_u64 v[22:23], v[70:71], 0, v[38:39]
	global_load_dwordx2 v[6:7], v[6:7], off
	s_nop 0
	global_load_dwordx2 v[22:23], v[22:23], off
	s_or_b64 exec, exec, s[34:35]
	s_and_saveexec_b64 s[34:35], s[6:7]
	s_cbranch_execz .LBB122_33
.LBB122_44:                             ;   in Loop: Header=BB122_3 Depth=1
	v_lshl_add_u64 v[8:9], v[64:65], 0, v[38:39]
	v_lshl_add_u64 v[24:25], v[66:67], 0, v[38:39]
	global_load_dwordx2 v[8:9], v[8:9], off
	s_nop 0
	global_load_dwordx2 v[24:25], v[24:25], off
	s_or_b64 exec, exec, s[34:35]
	s_and_saveexec_b64 s[34:35], s[6:7]
	s_cbranch_execz .LBB122_34
.LBB122_45:                             ;   in Loop: Header=BB122_3 Depth=1
	v_lshl_add_u64 v[10:11], v[60:61], 0, v[38:39]
	v_lshl_add_u64 v[26:27], v[62:63], 0, v[38:39]
	global_load_dwordx2 v[10:11], v[10:11], off
	s_nop 0
	global_load_dwordx2 v[26:27], v[26:27], off
	s_or_b64 exec, exec, s[34:35]
	s_and_saveexec_b64 s[34:35], s[6:7]
	s_cbranch_execz .LBB122_35
.LBB122_46:                             ;   in Loop: Header=BB122_3 Depth=1
	v_lshl_add_u64 v[12:13], v[56:57], 0, v[38:39]
	v_lshl_add_u64 v[28:29], v[58:59], 0, v[38:39]
	global_load_dwordx2 v[12:13], v[12:13], off
	s_nop 0
	global_load_dwordx2 v[28:29], v[28:29], off
	s_or_b64 exec, exec, s[34:35]
	s_and_saveexec_b64 s[34:35], s[6:7]
	s_cbranch_execz .LBB122_36
.LBB122_47:                             ;   in Loop: Header=BB122_3 Depth=1
	v_lshl_add_u64 v[14:15], v[52:53], 0, v[38:39]
	v_lshl_add_u64 v[30:31], v[54:55], 0, v[38:39]
	global_load_dwordx2 v[14:15], v[14:15], off
	s_nop 0
	global_load_dwordx2 v[30:31], v[30:31], off
	s_or_b64 exec, exec, s[34:35]
	s_and_saveexec_b64 s[34:35], s[6:7]
	s_cbranch_execz .LBB122_37
.LBB122_48:                             ;   in Loop: Header=BB122_3 Depth=1
	v_lshl_add_u64 v[16:17], v[48:49], 0, v[38:39]
	v_lshl_add_u64 v[32:33], v[50:51], 0, v[38:39]
	global_load_dwordx2 v[16:17], v[16:17], off
	s_nop 0
	global_load_dwordx2 v[32:33], v[32:33], off
	s_or_b64 exec, exec, s[34:35]
	s_and_saveexec_b64 s[34:35], s[6:7]
	s_cbranch_execnz .LBB122_38
	s_branch .LBB122_39
.LBB122_49:
                                        ; implicit-def: $vgpr104_vgpr105
	s_load_dwordx2 s[6:7], s[0:1], 0x30
	s_branch .LBB122_51
.LBB122_50:
	s_load_dwordx2 s[6:7], s[0:1], 0x30
	s_cbranch_execnz .LBB122_83
.LBB122_51:
	s_and_b64 vcc, exec, s[4:5]
	v_mov_b64_e32 v[104:105], 0
	s_cbranch_vccnz .LBB122_83
; %bb.52:
	v_mov_b32_e32 v2, 0
	v_bfe_u32 v1, v0, 10, 10
	v_lshlrev_b32_e32 v6, 6, v1
	v_mov_b32_e32 v7, v2
	v_lshl_add_u64 v[6:7], s[20:21], 3, v[6:7]
	v_lshl_add_u64 v[8:9], v[6:7], 0, 8
	v_mov_b64_e32 v[10:11], s[16:17]
	v_mov_b64_e32 v[22:23], s[18:19]
	v_lshlrev_b32_e32 v36, 3, v1
	v_mov_b32_e32 v37, v2
	v_mad_u64_u32 v[38:39], s[4:5], s14, v8, v[10:11]
	v_mul_lo_u32 v3, s14, v9
	v_mul_lo_u32 v9, s15, v8
	v_lshl_add_u64 v[12:13], v[6:7], 0, 16
	v_lshl_add_u64 v[14:15], v[6:7], 0, 24
	;; [unrolled: 1-line block ×5, first 2 shown]
	v_mad_u64_u32 v[48:49], s[4:5], s14, v8, v[22:23]
	v_lshl_add_u64 v[6:7], v[6:7], 0, 56
	v_lshl_add_u64 v[4:5], v[36:37], 0, s[20:21]
	v_add3_u32 v39, v9, v39, v3
	v_add3_u32 v49, v9, v49, v3
	v_mad_u64_u32 v[54:55], s[4:5], s14, v6, v[10:11]
	v_mul_lo_u32 v7, s14, v7
	v_mul_lo_u32 v9, s15, v6
	v_mad_u64_u32 v[64:65], s[4:5], s14, v6, v[22:23]
	v_mad_u64_u32 v[50:51], s[4:5], s14, v20, v[10:11]
	v_mul_lo_u32 v3, s14, v21
	v_mul_lo_u32 v8, s15, v20
	v_add3_u32 v55, v9, v55, v7
	v_mad_u64_u32 v[62:63], s[4:5], s14, v20, v[22:23]
	v_add3_u32 v65, v9, v65, v7
	v_lshl_add_u64 v[6:7], v[4:5], 0, 7
	v_add3_u32 v51, v8, v51, v3
	v_add3_u32 v63, v8, v63, v3
	v_mul_lo_u32 v3, s15, v6
	v_mul_lo_u32 v8, s14, v7
	v_mad_u64_u32 v[6:7], s[4:5], s14, v6, 0
	v_add3_u32 v7, v7, v8, v3
	v_lshl_add_u64 v[8:9], v[4:5], 0, 6
	v_mad_u64_u32 v[40:41], s[4:5], s14, v12, v[10:11]
	v_mad_u64_u32 v[42:43], s[4:5], s14, v14, v[10:11]
	;; [unrolled: 1-line block ×4, first 2 shown]
	v_mul_lo_u32 v3, s15, v8
	v_mul_lo_u32 v10, s14, v9
	v_mad_u64_u32 v[8:9], s[4:5], s14, v8, 0
	v_add3_u32 v9, v9, v10, v3
	v_lshl_add_u64 v[10:11], v[4:5], 0, 5
	v_mul_lo_u32 v13, s14, v13
	v_mul_lo_u32 v24, s15, v12
	v_mad_u64_u32 v[52:53], s[4:5], s14, v12, v[22:23]
	v_mul_lo_u32 v3, s15, v10
	v_mul_lo_u32 v12, s14, v11
	v_mad_u64_u32 v[10:11], s[4:5], s14, v10, 0
	v_add3_u32 v41, v24, v41, v13
	v_add3_u32 v53, v24, v53, v13
	v_add3_u32 v11, v11, v12, v3
	v_lshl_add_u64 v[12:13], v[4:5], 0, 4
	v_mul_lo_u32 v15, s14, v15
	v_mul_lo_u32 v25, s15, v14
	v_mad_u64_u32 v[56:57], s[4:5], s14, v14, v[22:23]
	v_mul_lo_u32 v3, s15, v12
	v_mul_lo_u32 v14, s14, v13
	v_mad_u64_u32 v[12:13], s[4:5], s14, v12, 0
	v_add3_u32 v43, v25, v43, v15
	v_add3_u32 v57, v25, v57, v15
	v_add3_u32 v13, v13, v14, v3
	v_lshl_add_u64 v[14:15], v[4:5], 0, 3
	v_mul_lo_u32 v17, s14, v17
	v_mul_lo_u32 v26, s15, v16
	v_mad_u64_u32 v[58:59], s[4:5], s14, v16, v[22:23]
	v_mul_lo_u32 v3, s15, v14
	v_mul_lo_u32 v16, s14, v15
	v_mad_u64_u32 v[14:15], s[4:5], s14, v14, 0
	v_add3_u32 v45, v26, v45, v17
	v_add3_u32 v59, v26, v59, v17
	v_add3_u32 v15, v15, v16, v3
	v_lshl_add_u64 v[16:17], v[4:5], 0, 2
	v_mul_lo_u32 v19, s14, v19
	v_mul_lo_u32 v27, s15, v18
	v_mad_u64_u32 v[60:61], s[4:5], s14, v18, v[22:23]
	v_mul_lo_u32 v3, s15, v16
	v_mul_lo_u32 v18, s14, v17
	v_mad_u64_u32 v[16:17], s[4:5], s14, v16, 0
	v_add3_u32 v47, v27, v47, v19
	v_add3_u32 v61, v27, v61, v19
	v_add3_u32 v17, v17, v18, v3
	v_mov_b64_e32 v[18:19], s[14:15]
	v_mad_u64_u32 v[18:19], s[4:5], s14, v4, v[18:19]
	v_mul_lo_u32 v3, s15, v4
	v_mul_lo_u32 v20, s14, v5
	v_mad_u64_u32 v[4:5], s[4:5], s14, v4, 0
	v_add3_u32 v5, v5, v20, v3
	s_load_dword s4, s[0:1], 0x44
	v_lshlrev_b64 v[4:5], 3, v[4:5]
	v_lshl_add_u64 v[68:69], s[16:17], 0, v[4:5]
	v_lshl_add_u64 v[70:71], s[18:19], 0, v[4:5]
	v_lshlrev_b64 v[4:5], 3, v[6:7]
	v_lshl_add_u64 v[72:73], s[16:17], 0, v[4:5]
	v_lshl_add_u64 v[74:75], s[18:19], 0, v[4:5]
	;; [unrolled: 3-line block ×3, first 2 shown]
	v_lshlrev_b64 v[4:5], 3, v[10:11]
	s_add_u32 s22, s0, 64
	v_lshl_add_u64 v[80:81], s[16:17], 0, v[4:5]
	v_lshl_add_u64 v[82:83], s[18:19], 0, v[4:5]
	v_lshlrev_b64 v[4:5], 3, v[12:13]
	v_add3_u32 v19, v3, v19, v20
	v_and_b32_e32 v108, 0x3ff, v0
	s_addc_u32 s23, s1, 0
	s_waitcnt lgkmcnt(0)
	s_lshl_b32 s4, s4, 3
	v_lshl_add_u64 v[84:85], s[16:17], 0, v[4:5]
	v_lshl_add_u64 v[86:87], s[18:19], 0, v[4:5]
	v_lshlrev_b64 v[4:5], 3, v[14:15]
	v_mbcnt_lo_u32_b32 v3, -1, 0
	v_add_u32_e32 v20, s3, v108
	s_mul_i32 s3, s15, s4
	s_mul_hi_u32 s9, s14, s4
	v_lshl_add_u64 v[88:89], s[16:17], 0, v[4:5]
	v_lshl_add_u64 v[90:91], s[18:19], 0, v[4:5]
	v_lshlrev_b64 v[4:5], 3, v[16:17]
	v_mbcnt_hi_u32_b32 v3, -1, v3
	v_mov_b32_e32 v21, v2
	s_add_i32 s25, s9, s3
	s_mul_i32 s24, s14, s4
	v_lshl_add_u64 v[92:93], s[16:17], 0, v[4:5]
	v_lshl_add_u64 v[94:95], s[18:19], 0, v[4:5]
	v_lshlrev_b64 v[4:5], 3, v[18:19]
	v_lshlrev_b32_e32 v3, 2, v3
	s_mov_b32 s5, 0
	v_lshlrev_b64 v[66:67], 3, v[20:21]
	s_lshl_b64 s[24:25], s[24:25], 3
	s_mov_b64 s[26:27], 7
	v_lshl_add_u64 v[96:97], s[16:17], 0, v[4:5]
	v_lshl_add_u64 v[98:99], s[18:19], 0, v[4:5]
	v_and_b32_e32 v109, 0x100, v3
	s_mov_b64 s[16:17], s[20:21]
	v_mov_b64_e32 v[100:101], 0
.LBB122_53:                             ; =>This Inner Loop Header: Depth=1
	s_add_u32 s18, s20, s26
	s_addc_u32 s19, 0, s27
	v_mov_b64_e32 v[4:5], s[12:13]
	v_cmp_ge_i64_e32 vcc, s[18:19], v[4:5]
	v_lshl_add_u64 v[102:103], s[20:21], 0, v[36:37]
	s_mov_b64 s[18:19], -1
                                        ; implicit-def: $vgpr104_vgpr105
	s_cbranch_vccz .LBB122_75
; %bb.54:                               ;   in Loop: Header=BB122_53 Depth=1
	s_load_dword s3, s[22:23], 0xc
	v_mov_b64_e32 v[106:107], 0
	s_waitcnt lgkmcnt(0)
	s_and_b32 s3, s3, 0xffff
	v_mad_u32_u24 v3, v1, s3, v108
	v_and_b32_e32 v4, 63, v3
	v_cmp_gt_u32_e32 vcc, 8, v4
	s_and_saveexec_b64 s[18:19], vcc
	s_cbranch_execz .LBB122_58
; %bb.55:                               ;   in Loop: Header=BB122_53 Depth=1
	v_mov_b32_e32 v5, v2
	v_lshl_add_u64 v[4:5], v[102:103], 0, v[4:5]
	v_cmp_gt_i64_e32 vcc, s[12:13], v[4:5]
	v_mov_b64_e32 v[106:107], 0
	s_and_saveexec_b64 s[28:29], vcc
	s_cbranch_execz .LBB122_57
; %bb.56:                               ;   in Loop: Header=BB122_53 Depth=1
	v_lshl_add_u64 v[4:5], v[4:5], 3, s[10:11]
	global_load_dwordx2 v[106:107], v[4:5], off
.LBB122_57:                             ;   in Loop: Header=BB122_53 Depth=1
	s_or_b64 exec, exec, s[28:29]
.LBB122_58:                             ;   in Loop: Header=BB122_53 Depth=1
	s_or_b64 exec, exec, s[18:19]
	v_mov_b32_e32 v16, v2
	v_mov_b32_e32 v17, v2
	;; [unrolled: 1-line block ×15, first 2 shown]
	v_mov_b64_e32 v[34:35], v[16:17]
	v_mov_b64_e32 v[32:33], v[14:15]
	;; [unrolled: 1-line block ×9, first 2 shown]
	v_cmp_gt_i64_e32 vcc, s[12:13], v[102:103]
	v_mov_b64_e32 v[16:17], v[14:15]
	v_mov_b64_e32 v[14:15], v[12:13]
	;; [unrolled: 1-line block ×7, first 2 shown]
	s_and_saveexec_b64 s[18:19], vcc
	s_cbranch_execz .LBB122_60
; %bb.59:                               ;   in Loop: Header=BB122_53 Depth=1
	v_lshl_add_u64 v[4:5], v[68:69], 0, v[66:67]
	v_lshl_add_u64 v[6:7], v[70:71], 0, v[66:67]
	global_load_dwordx2 v[4:5], v[4:5], off
	v_mov_b32_e32 v8, v2
	global_load_dwordx2 v[20:21], v[6:7], off
	v_mov_b32_e32 v6, v2
	v_mov_b32_e32 v7, v2
	;; [unrolled: 1-line block ×27, first 2 shown]
.LBB122_60:                             ;   in Loop: Header=BB122_53 Depth=1
	s_or_b64 exec, exec, s[18:19]
	v_lshl_add_u64 v[104:105], v[102:103], 0, 1
	v_cmp_gt_i64_e32 vcc, s[12:13], v[104:105]
	s_and_saveexec_b64 s[18:19], vcc
	s_cbranch_execz .LBB122_62
; %bb.61:                               ;   in Loop: Header=BB122_53 Depth=1
	v_lshl_add_u64 v[6:7], v[96:97], 0, v[66:67]
	v_lshl_add_u64 v[22:23], v[98:99], 0, v[66:67]
	global_load_dwordx2 v[6:7], v[6:7], off
	s_nop 0
	global_load_dwordx2 v[22:23], v[22:23], off
.LBB122_62:                             ;   in Loop: Header=BB122_53 Depth=1
	s_or_b64 exec, exec, s[18:19]
	v_lshl_add_u64 v[104:105], v[102:103], 0, 2
	v_cmp_gt_i64_e32 vcc, s[12:13], v[104:105]
	s_and_saveexec_b64 s[18:19], vcc
	s_cbranch_execz .LBB122_64
; %bb.63:                               ;   in Loop: Header=BB122_53 Depth=1
	v_lshl_add_u64 v[8:9], v[92:93], 0, v[66:67]
	v_lshl_add_u64 v[24:25], v[94:95], 0, v[66:67]
	global_load_dwordx2 v[8:9], v[8:9], off
	s_nop 0
	global_load_dwordx2 v[24:25], v[24:25], off
.LBB122_64:                             ;   in Loop: Header=BB122_53 Depth=1
	;; [unrolled: 12-line block ×7, first 2 shown]
	s_or_b64 exec, exec, s[18:19]
	s_waitcnt vmcnt(0)
	ds_bpermute_b32 v104, v109, v106
	ds_bpermute_b32 v105, v109, v107
	ds_bpermute_b32 v110, v109, v106 offset:4
	ds_bpermute_b32 v111, v109, v107 offset:4
	v_mul_f64 v[4:5], v[20:21], v[4:5]
	ds_bpermute_b32 v20, v109, v106 offset:16
	s_waitcnt lgkmcnt(3)
	v_fma_f64 v[104:105], v[4:5], v[104:105], v[100:101]
	v_mul_f64 v[4:5], v[22:23], v[6:7]
	s_waitcnt lgkmcnt(1)
	v_fmac_f64_e32 v[104:105], v[4:5], v[110:111]
	ds_bpermute_b32 v4, v109, v106 offset:8
	ds_bpermute_b32 v5, v109, v107 offset:8
	v_mul_f64 v[6:7], v[24:25], v[8:9]
	ds_bpermute_b32 v8, v109, v106 offset:12
	ds_bpermute_b32 v9, v109, v107 offset:12
	;; [unrolled: 1-line block ×3, first 2 shown]
	s_waitcnt lgkmcnt(3)
	v_fmac_f64_e32 v[104:105], v[6:7], v[4:5]
	v_mul_f64 v[4:5], v[26:27], v[10:11]
	ds_bpermute_b32 v10, v109, v106 offset:28
	s_waitcnt lgkmcnt(2)
	v_fmac_f64_e32 v[104:105], v[4:5], v[8:9]
	v_mul_f64 v[4:5], v[28:29], v[12:13]
	s_waitcnt lgkmcnt(1)
	v_fmac_f64_e32 v[104:105], v[4:5], v[20:21]
	ds_bpermute_b32 v4, v109, v106 offset:20
	ds_bpermute_b32 v5, v109, v107 offset:20
	;; [unrolled: 1-line block ×5, first 2 shown]
	v_mul_f64 v[6:7], v[30:31], v[14:15]
	s_waitcnt lgkmcnt(3)
	v_fmac_f64_e32 v[104:105], v[6:7], v[4:5]
	v_mul_f64 v[4:5], v[32:33], v[16:17]
	s_waitcnt lgkmcnt(1)
	v_fmac_f64_e32 v[104:105], v[4:5], v[8:9]
	;; [unrolled: 3-line block ×3, first 2 shown]
	s_mov_b64 s[18:19], 0
.LBB122_75:                             ;   in Loop: Header=BB122_53 Depth=1
	s_and_b64 vcc, exec, s[18:19]
	s_cbranch_vccz .LBB122_81
; %bb.76:                               ;   in Loop: Header=BB122_53 Depth=1
	s_load_dword s3, s[22:23], 0x0
	v_mov_b64_e32 v[4:5], 0
	s_waitcnt lgkmcnt(0)
	s_cmp_lt_u32 s2, s3
	s_cselect_b32 s3, 12, 18
	s_add_u32 s18, s22, s3
	s_addc_u32 s19, s23, 0
	global_load_ushort v3, v2, s[18:19]
	s_waitcnt vmcnt(0)
	v_mad_u32_u24 v3, v1, v3, v108
	v_and_b32_e32 v6, 63, v3
	v_cmp_gt_u32_e32 vcc, 8, v6
	s_and_saveexec_b64 s[18:19], vcc
	s_cbranch_execz .LBB122_80
; %bb.77:                               ;   in Loop: Header=BB122_53 Depth=1
	v_mov_b32_e32 v7, v2
	v_lshl_add_u64 v[6:7], v[102:103], 0, v[6:7]
	v_cmp_gt_i64_e32 vcc, s[12:13], v[6:7]
	v_mov_b64_e32 v[4:5], 0
	s_and_saveexec_b64 s[28:29], vcc
	s_cbranch_execz .LBB122_79
; %bb.78:                               ;   in Loop: Header=BB122_53 Depth=1
	v_lshl_add_u64 v[4:5], v[6:7], 3, s[10:11]
	global_load_dwordx2 v[4:5], v[4:5], off
.LBB122_79:                             ;   in Loop: Header=BB122_53 Depth=1
	s_or_b64 exec, exec, s[28:29]
.LBB122_80:                             ;   in Loop: Header=BB122_53 Depth=1
	s_or_b64 exec, exec, s[18:19]
	v_lshl_add_u64 v[6:7], v[68:69], 0, v[66:67]
	v_lshl_add_u64 v[8:9], v[70:71], 0, v[66:67]
	global_load_dwordx2 v[6:7], v[6:7], off
	v_lshl_add_u64 v[10:11], v[38:39], 0, v[66:67]
	global_load_dwordx2 v[8:9], v[8:9], off
	;; [unrolled: 2-line block ×10, first 2 shown]
	v_lshl_add_u64 v[28:29], v[60:61], 0, v[66:67]
	v_lshl_add_u64 v[30:31], v[50:51], 0, v[66:67]
	;; [unrolled: 1-line block ×3, first 2 shown]
	global_load_dwordx2 v[34:35], v[26:27], off
	global_load_dwordx2 v[102:103], v[28:29], off
	;; [unrolled: 1-line block ×4, first 2 shown]
	v_lshl_add_u64 v[26:27], v[54:55], 0, v[66:67]
	v_lshl_add_u64 v[28:29], v[64:65], 0, v[66:67]
	global_load_dwordx2 v[30:31], v[26:27], off
	global_load_dwordx2 v[32:33], v[28:29], off
	s_waitcnt vmcnt(16)
	ds_bpermute_b32 v26, v109, v4
	ds_bpermute_b32 v27, v109, v5
	ds_bpermute_b32 v28, v109, v4 offset:4
	ds_bpermute_b32 v29, v109, v5 offset:4
	;; [unrolled: 1-line block ×14, first 2 shown]
	s_waitcnt vmcnt(14)
	v_mul_f64 v[6:7], v[6:7], v[8:9]
	s_waitcnt lgkmcnt(14)
	v_fmac_f64_e32 v[100:101], v[6:7], v[26:27]
	s_waitcnt vmcnt(12)
	v_mul_f64 v[8:9], v[10:11], v[12:13]
	s_waitcnt lgkmcnt(12)
	v_fmac_f64_e32 v[100:101], v[8:9], v[28:29]
	;; [unrolled: 4-line block ×8, first 2 shown]
	v_mov_b64_e32 v[104:105], v[100:101]
.LBB122_81:                             ;   in Loop: Header=BB122_53 Depth=1
	s_add_u32 s16, s16, s4
	s_addc_u32 s17, s17, 0
	v_mov_b64_e32 v[4:5], s[12:13]
	s_add_u32 s26, s26, s4
	v_cmp_ge_i64_e32 vcc, s[16:17], v[4:5]
	v_lshl_add_u64 v[68:69], v[68:69], 0, s[24:25]
	v_lshl_add_u64 v[70:71], v[70:71], 0, s[24:25]
	;; [unrolled: 1-line block ×31, first 2 shown]
	s_addc_u32 s27, 0, s27
	s_cbranch_vccnz .LBB122_83
; %bb.82:                               ;   in Loop: Header=BB122_53 Depth=1
	v_mov_b64_e32 v[100:101], v[104:105]
	s_branch .LBB122_53
.LBB122_83:
	s_mov_b32 s3, 0
	s_lshl_b64 s[2:3], s[2:3], 6
	v_and_b32_e32 v1, 0x3ff, v0
	v_or_b32_e32 v2, s2, v1
	v_mov_b32_e32 v3, s3
	s_waitcnt lgkmcnt(0)
	s_cmp_lg_u64 s[6:7], 0
	v_cmp_gt_i64_e32 vcc, s[14:15], v[2:3]
	s_cselect_b64 s[2:3], -1, 0
	s_and_b64 s[2:3], vcc, s[2:3]
	s_and_saveexec_b64 s[4:5], s[2:3]
	s_cbranch_execz .LBB122_85
; %bb.84:
	s_load_dword s0, s[0:1], 0x4c
	v_bfe_u32 v0, v0, 10, 10
	v_mov_b32_e32 v1, 0
	v_mov_b32_e32 v4, s8
	s_waitcnt lgkmcnt(0)
	s_lshr_b32 s0, s0, 16
	v_mad_u64_u32 v[0:1], s[0:1], s0, v4, v[0:1]
	v_mul_lo_u32 v4, v1, s14
	v_mul_lo_u32 v5, v0, s15
	v_mad_u64_u32 v[0:1], s[0:1], v0, s14, 0
	v_add3_u32 v1, v1, v5, v4
	v_lshl_add_u64 v[0:1], v[0:1], 3, s[6:7]
	v_lshl_add_u64 v[0:1], v[2:3], 3, v[0:1]
	global_store_dwordx2 v[0:1], v[104:105], off
.LBB122_85:
	s_endpgm
	.section	.rodata,"a",@progbits
	.p2align	6, 0x0
	.amdhsa_kernel _ZN2at6native12_GLOBAL__N_135GammaBetaBackwardCUDAKernelTemplateIddLj64ELj1ELj8ELb1ELb0ELb1EEEvllPKT_S5_PKT0_S8_PS3_S9_
		.amdhsa_group_segment_fixed_size 0
		.amdhsa_private_segment_fixed_size 0
		.amdhsa_kernarg_size 320
		.amdhsa_user_sgpr_count 2
		.amdhsa_user_sgpr_dispatch_ptr 0
		.amdhsa_user_sgpr_queue_ptr 0
		.amdhsa_user_sgpr_kernarg_segment_ptr 1
		.amdhsa_user_sgpr_dispatch_id 0
		.amdhsa_user_sgpr_kernarg_preload_length 0
		.amdhsa_user_sgpr_kernarg_preload_offset 0
		.amdhsa_user_sgpr_private_segment_size 0
		.amdhsa_uses_dynamic_stack 0
		.amdhsa_enable_private_segment 0
		.amdhsa_system_sgpr_workgroup_id_x 1
		.amdhsa_system_sgpr_workgroup_id_y 1
		.amdhsa_system_sgpr_workgroup_id_z 0
		.amdhsa_system_sgpr_workgroup_info 0
		.amdhsa_system_vgpr_workitem_id 1
		.amdhsa_next_free_vgpr 120
		.amdhsa_next_free_sgpr 38
		.amdhsa_accum_offset 120
		.amdhsa_reserve_vcc 1
		.amdhsa_float_round_mode_32 0
		.amdhsa_float_round_mode_16_64 0
		.amdhsa_float_denorm_mode_32 3
		.amdhsa_float_denorm_mode_16_64 3
		.amdhsa_dx10_clamp 1
		.amdhsa_ieee_mode 1
		.amdhsa_fp16_overflow 0
		.amdhsa_tg_split 0
		.amdhsa_exception_fp_ieee_invalid_op 0
		.amdhsa_exception_fp_denorm_src 0
		.amdhsa_exception_fp_ieee_div_zero 0
		.amdhsa_exception_fp_ieee_overflow 0
		.amdhsa_exception_fp_ieee_underflow 0
		.amdhsa_exception_fp_ieee_inexact 0
		.amdhsa_exception_int_div_zero 0
	.end_amdhsa_kernel
	.section	.text._ZN2at6native12_GLOBAL__N_135GammaBetaBackwardCUDAKernelTemplateIddLj64ELj1ELj8ELb1ELb0ELb1EEEvllPKT_S5_PKT0_S8_PS3_S9_,"axG",@progbits,_ZN2at6native12_GLOBAL__N_135GammaBetaBackwardCUDAKernelTemplateIddLj64ELj1ELj8ELb1ELb0ELb1EEEvllPKT_S5_PKT0_S8_PS3_S9_,comdat
.Lfunc_end122:
	.size	_ZN2at6native12_GLOBAL__N_135GammaBetaBackwardCUDAKernelTemplateIddLj64ELj1ELj8ELb1ELb0ELb1EEEvllPKT_S5_PKT0_S8_PS3_S9_, .Lfunc_end122-_ZN2at6native12_GLOBAL__N_135GammaBetaBackwardCUDAKernelTemplateIddLj64ELj1ELj8ELb1ELb0ELb1EEEvllPKT_S5_PKT0_S8_PS3_S9_
                                        ; -- End function
	.set _ZN2at6native12_GLOBAL__N_135GammaBetaBackwardCUDAKernelTemplateIddLj64ELj1ELj8ELb1ELb0ELb1EEEvllPKT_S5_PKT0_S8_PS3_S9_.num_vgpr, 120
	.set _ZN2at6native12_GLOBAL__N_135GammaBetaBackwardCUDAKernelTemplateIddLj64ELj1ELj8ELb1ELb0ELb1EEEvllPKT_S5_PKT0_S8_PS3_S9_.num_agpr, 0
	.set _ZN2at6native12_GLOBAL__N_135GammaBetaBackwardCUDAKernelTemplateIddLj64ELj1ELj8ELb1ELb0ELb1EEEvllPKT_S5_PKT0_S8_PS3_S9_.numbered_sgpr, 38
	.set _ZN2at6native12_GLOBAL__N_135GammaBetaBackwardCUDAKernelTemplateIddLj64ELj1ELj8ELb1ELb0ELb1EEEvllPKT_S5_PKT0_S8_PS3_S9_.num_named_barrier, 0
	.set _ZN2at6native12_GLOBAL__N_135GammaBetaBackwardCUDAKernelTemplateIddLj64ELj1ELj8ELb1ELb0ELb1EEEvllPKT_S5_PKT0_S8_PS3_S9_.private_seg_size, 0
	.set _ZN2at6native12_GLOBAL__N_135GammaBetaBackwardCUDAKernelTemplateIddLj64ELj1ELj8ELb1ELb0ELb1EEEvllPKT_S5_PKT0_S8_PS3_S9_.uses_vcc, 1
	.set _ZN2at6native12_GLOBAL__N_135GammaBetaBackwardCUDAKernelTemplateIddLj64ELj1ELj8ELb1ELb0ELb1EEEvllPKT_S5_PKT0_S8_PS3_S9_.uses_flat_scratch, 0
	.set _ZN2at6native12_GLOBAL__N_135GammaBetaBackwardCUDAKernelTemplateIddLj64ELj1ELj8ELb1ELb0ELb1EEEvllPKT_S5_PKT0_S8_PS3_S9_.has_dyn_sized_stack, 0
	.set _ZN2at6native12_GLOBAL__N_135GammaBetaBackwardCUDAKernelTemplateIddLj64ELj1ELj8ELb1ELb0ELb1EEEvllPKT_S5_PKT0_S8_PS3_S9_.has_recursion, 0
	.set _ZN2at6native12_GLOBAL__N_135GammaBetaBackwardCUDAKernelTemplateIddLj64ELj1ELj8ELb1ELb0ELb1EEEvllPKT_S5_PKT0_S8_PS3_S9_.has_indirect_call, 0
	.section	.AMDGPU.csdata,"",@progbits
; Kernel info:
; codeLenInByte = 6420
; TotalNumSgprs: 44
; NumVgprs: 120
; NumAgprs: 0
; TotalNumVgprs: 120
; ScratchSize: 0
; MemoryBound: 1
; FloatMode: 240
; IeeeMode: 1
; LDSByteSize: 0 bytes/workgroup (compile time only)
; SGPRBlocks: 5
; VGPRBlocks: 14
; NumSGPRsForWavesPerEU: 44
; NumVGPRsForWavesPerEU: 120
; AccumOffset: 120
; Occupancy: 4
; WaveLimiterHint : 0
; COMPUTE_PGM_RSRC2:SCRATCH_EN: 0
; COMPUTE_PGM_RSRC2:USER_SGPR: 2
; COMPUTE_PGM_RSRC2:TRAP_HANDLER: 0
; COMPUTE_PGM_RSRC2:TGID_X_EN: 1
; COMPUTE_PGM_RSRC2:TGID_Y_EN: 1
; COMPUTE_PGM_RSRC2:TGID_Z_EN: 0
; COMPUTE_PGM_RSRC2:TIDIG_COMP_CNT: 1
; COMPUTE_PGM_RSRC3_GFX90A:ACCUM_OFFSET: 29
; COMPUTE_PGM_RSRC3_GFX90A:TG_SPLIT: 0
	.section	.text._ZN2at6native12_GLOBAL__N_135GammaBetaBackwardCUDAKernelTemplateIddLj64ELj8ELj64ELb0ELb1ELb1EEEvllPKT_S5_PKT0_S8_PS3_S9_,"axG",@progbits,_ZN2at6native12_GLOBAL__N_135GammaBetaBackwardCUDAKernelTemplateIddLj64ELj8ELj64ELb0ELb1ELb1EEEvllPKT_S5_PKT0_S8_PS3_S9_,comdat
	.globl	_ZN2at6native12_GLOBAL__N_135GammaBetaBackwardCUDAKernelTemplateIddLj64ELj8ELj64ELb0ELb1ELb1EEEvllPKT_S5_PKT0_S8_PS3_S9_ ; -- Begin function _ZN2at6native12_GLOBAL__N_135GammaBetaBackwardCUDAKernelTemplateIddLj64ELj8ELj64ELb0ELb1ELb1EEEvllPKT_S5_PKT0_S8_PS3_S9_
	.p2align	8
	.type	_ZN2at6native12_GLOBAL__N_135GammaBetaBackwardCUDAKernelTemplateIddLj64ELj8ELj64ELb0ELb1ELb1EEEvllPKT_S5_PKT0_S8_PS3_S9_,@function
_ZN2at6native12_GLOBAL__N_135GammaBetaBackwardCUDAKernelTemplateIddLj64ELj8ELj64ELb0ELb1ELb1EEEvllPKT_S5_PKT0_S8_PS3_S9_: ; @_ZN2at6native12_GLOBAL__N_135GammaBetaBackwardCUDAKernelTemplateIddLj64ELj8ELj64ELb0ELb1ELb1EEEvllPKT_S5_PKT0_S8_PS3_S9_
; %bb.0:
	s_load_dwordx4 s[4:7], s[0:1], 0x0
	s_lshl_b32 s14, s3, 6
	s_mov_b32 s15, 0
	v_mov_b64_e32 v[2:3], s[14:15]
	v_bfe_u32 v14, v0, 10, 10
	s_waitcnt lgkmcnt(0)
	v_cmp_gt_i64_e32 vcc, s[4:5], v[2:3]
	s_cbranch_vccnz .LBB123_2
; %bb.1:
	s_mov_b64 s[8:9], 0
	v_bfe_u32 v2, v0, 10, 10
	s_branch .LBB123_3
.LBB123_2:
	s_mov_b64 s[8:9], -1
                                        ; implicit-def: $vgpr2
.LBB123_3:
	s_load_dwordx2 s[12:13], s[0:1], 0x30
	v_and_b32_e32 v12, 0x3ff, v0
	v_mov_b64_e32 v[0:1], 0
	s_andn2_b64 vcc, exec, s[8:9]
	v_mbcnt_lo_u32_b32 v13, -1, 0
	s_cbranch_vccnz .LBB123_11
; %bb.4:
	s_load_dword s3, s[0:1], 0x4c
	s_load_dword s16, s[0:1], 0x44
	s_load_dwordx2 s[18:19], s[0:1], 0x28
	s_load_dwordx4 s[8:11], s[0:1], 0x10
	v_lshlrev_b32_e32 v0, 3, v14
	s_waitcnt lgkmcnt(0)
	s_and_b32 s0, s3, 0xffff
	v_mad_u32_u24 v1, v14, s0, v12
	v_and_b32_e32 v2, 63, v1
	v_mov_b32_e32 v1, 0
	v_mov_b32_e32 v3, v1
	v_mov_b32_e32 v7, v1
	v_lshl_add_u64 v[0:1], v[0:1], 0, s[14:15]
	v_cmp_gt_u32_e64 s[0:1], 8, v2
	v_mbcnt_hi_u32_b32 v4, -1, v13
	s_lshl_b32 s16, s16, 6
	v_lshl_add_u64 v[2:3], v[0:1], 0, v[2:3]
	v_mul_lo_u32 v8, s7, v0
	v_mul_lo_u32 v9, s6, v1
	v_mad_u64_u32 v[0:1], s[20:21], s6, v0, 0
	v_lshl_add_u32 v6, s2, 6, v12
	v_lshlrev_b32_e32 v4, 2, v4
	s_mul_i32 s3, s7, s16
	s_mul_hi_u32 s20, s6, s16
	s_mov_b32 s17, 0
	v_and_b32_e32 v15, 0x100, v4
	v_add3_u32 v1, v1, v9, v8
	v_lshlrev_b64 v[6:7], 3, v[6:7]
	s_add_i32 s21, s20, s3
	s_mul_i32 s20, s6, s16
	v_or_b32_e32 v16, 4, v15
	v_or_b32_e32 v17, 8, v15
	;; [unrolled: 1-line block ×7, first 2 shown]
	v_lshl_add_u64 v[4:5], v[2:3], 3, s[18:19]
	s_lshl_b64 s[18:19], s[16:17], 3
	v_lshl_add_u64 v[6:7], v[0:1], 3, v[6:7]
	s_lshl_b64 s[20:21], s[20:21], 3
	s_lshl_b64 s[6:7], s[6:7], 3
	v_mov_b64_e32 v[0:1], 0
	v_mov_b64_e32 v[8:9], s[4:5]
	s_branch .LBB123_7
.LBB123_5:                              ;   in Loop: Header=BB123_7 Depth=1
	s_or_b64 exec, exec, s[24:25]
.LBB123_6:                              ;   in Loop: Header=BB123_7 Depth=1
	s_or_b64 exec, exec, s[22:23]
	v_lshl_add_u64 v[24:25], s[8:9], 0, v[6:7]
	v_lshl_add_u64 v[28:29], s[10:11], 0, v[6:7]
	global_load_dwordx2 v[26:27], v[24:25], off
	global_load_dwordx2 v[30:31], v[28:29], off
	v_lshl_add_u64 v[24:25], v[24:25], 0, s[6:7]
	v_lshl_add_u64 v[28:29], v[28:29], 0, s[6:7]
	global_load_dwordx2 v[32:33], v[24:25], off
	global_load_dwordx2 v[34:35], v[28:29], off
	;; [unrolled: 4-line block ×7, first 2 shown]
	v_lshl_add_u64 v[24:25], v[24:25], 0, s[6:7]
	v_lshl_add_u64 v[28:29], v[28:29], 0, s[6:7]
	global_load_dwordx2 v[24:25], v[24:25], off
	s_waitcnt vmcnt(15)
	ds_bpermute_b32 v56, v15, v10
	global_load_dwordx2 v[28:29], v[28:29], off
	ds_bpermute_b32 v57, v15, v11
	s_add_u32 s14, s14, s16
	s_addc_u32 s15, s15, 0
	v_cmp_lt_i64_e32 vcc, s[14:15], v[8:9]
	v_lshl_add_u64 v[4:5], v[4:5], 0, s[18:19]
	v_lshl_add_u64 v[2:3], v[2:3], 0, s[16:17]
	;; [unrolled: 1-line block ×3, first 2 shown]
	s_and_b64 vcc, exec, vcc
	s_waitcnt vmcnt(14)
	v_mul_f64 v[26:27], v[26:27], v[30:31]
	s_waitcnt lgkmcnt(0)
	v_fmac_f64_e32 v[0:1], v[26:27], v[56:57]
	ds_bpermute_b32 v26, v16, v10
	ds_bpermute_b32 v27, v16, v11
	s_waitcnt vmcnt(12)
	v_mul_f64 v[30:31], v[32:33], v[34:35]
	s_waitcnt lgkmcnt(0)
	v_fmac_f64_e32 v[0:1], v[30:31], v[26:27]
	ds_bpermute_b32 v26, v17, v10
	ds_bpermute_b32 v27, v17, v11
	;; [unrolled: 6-line block ×5, first 2 shown]
	s_waitcnt vmcnt(4)
	v_mul_f64 v[30:31], v[48:49], v[50:51]
	s_waitcnt vmcnt(0)
	v_mul_f64 v[24:25], v[24:25], v[28:29]
	s_waitcnt lgkmcnt(0)
	v_fmac_f64_e32 v[0:1], v[30:31], v[26:27]
	ds_bpermute_b32 v26, v21, v10
	ds_bpermute_b32 v27, v21, v11
	;; [unrolled: 1-line block ×4, first 2 shown]
	v_mul_f64 v[30:31], v[52:53], v[54:55]
	s_waitcnt lgkmcnt(2)
	v_fmac_f64_e32 v[0:1], v[30:31], v[26:27]
	s_waitcnt lgkmcnt(0)
	v_fmac_f64_e32 v[0:1], v[24:25], v[10:11]
	s_cbranch_vccz .LBB123_10
.LBB123_7:                              ; =>This Inner Loop Header: Depth=1
	v_mov_b64_e32 v[10:11], 0
	s_and_saveexec_b64 s[22:23], s[0:1]
	s_cbranch_execz .LBB123_6
; %bb.8:                                ;   in Loop: Header=BB123_7 Depth=1
	v_cmp_gt_i64_e32 vcc, s[4:5], v[2:3]
	v_mov_b64_e32 v[10:11], 0
	s_and_saveexec_b64 s[24:25], vcc
	s_cbranch_execz .LBB123_5
; %bb.9:                                ;   in Loop: Header=BB123_7 Depth=1
	global_load_dwordx2 v[10:11], v[4:5], off
	s_branch .LBB123_5
.LBB123_10:
	v_mov_b32_e32 v2, v14
.LBB123_11:
	s_movk_i32 s0, 0x41
	v_mad_u32_u24 v3, v2, s0, v12
	v_lshl_add_u32 v3, v3, 3, 0
	ds_write_b64 v3, v[0:1]
	v_mov_b32_e32 v0, 0
	v_mov_b32_e32 v1, v0
	ds_write_b64 v3, v[0:1] offset:4160
	v_lshrrev_b32_e32 v0, 6, v12
	v_add_u32_e32 v0, v0, v2
	v_cmp_gt_u32_e32 vcc, 64, v0
	s_waitcnt lgkmcnt(0)
	s_barrier
	s_and_saveexec_b64 s[0:1], vcc
	s_cbranch_execz .LBB123_51
; %bb.12:
	v_and_b32_e32 v1, 63, v12
	v_cmp_gt_u32_e32 vcc, 8, v1
	v_mul_u32_u24_e32 v4, 0x41, v1
                                        ; implicit-def: $vgpr2_vgpr3
	s_and_saveexec_b64 s[0:1], vcc
; %bb.13:
	v_lshlrev_b32_e32 v1, 3, v0
	v_lshlrev_b32_e32 v2, 3, v4
	v_add3_u32 v1, 0, v1, v2
	ds_read_b64 v[2:3], v1
; %bb.14:
	s_or_b64 exec, exec, s[0:1]
	v_mbcnt_hi_u32_b32 v1, -1, v13
	v_and_b32_e32 v5, 64, v1
	v_add_u32_e32 v10, 64, v5
	v_xor_b32_e32 v5, 4, v1
	v_cmp_lt_i32_e64 s[0:1], v5, v10
	v_xor_b32_e32 v8, 2, v1
	s_cmp_lg_u64 s[12:13], 0
	v_cndmask_b32_e64 v5, v1, v5, s[0:1]
	v_lshlrev_b32_e32 v5, 2, v5
	s_waitcnt lgkmcnt(0)
	ds_bpermute_b32 v6, v5, v2
	ds_bpermute_b32 v7, v5, v3
	v_cmp_lt_i32_e64 s[0:1], v8, v10
	s_mov_b32 s3, 0
	s_cselect_b64 s[6:7], -1, 0
	s_waitcnt lgkmcnt(0)
	v_add_f64 v[2:3], v[2:3], v[6:7]
	v_cndmask_b32_e64 v6, v1, v8, s[0:1]
	v_lshlrev_b32_e32 v6, 2, v6
	ds_bpermute_b32 v8, v6, v2
	ds_bpermute_b32 v9, v6, v3
	v_xor_b32_e32 v7, 1, v1
	v_cmp_lt_i32_e64 s[4:5], v7, v10
	v_cmp_eq_u32_e64 s[0:1], 0, v12
	s_waitcnt lgkmcnt(0)
	v_add_f64 v[2:3], v[2:3], v[8:9]
	v_cndmask_b32_e64 v1, v1, v7, s[4:5]
	v_lshlrev_b32_e32 v7, 2, v1
	ds_bpermute_b32 v8, v7, v2
	ds_bpermute_b32 v9, v7, v3
	s_and_b64 s[4:5], s[0:1], s[6:7]
	s_lshl_b64 s[0:1], s[2:3], 9
	s_add_u32 s2, s12, s0
	s_addc_u32 s3, s13, s1
	s_waitcnt lgkmcnt(0)
	v_add_f64 v[2:3], v[2:3], v[8:9]
	s_and_saveexec_b64 s[0:1], s[4:5]
	s_cbranch_execz .LBB123_16
; %bb.15:
	v_mov_b32_e32 v1, 0
	v_lshl_add_u64 v[8:9], v[0:1], 3, s[2:3]
	global_store_dwordx2 v[8:9], v[2:3], off
.LBB123_16:
	s_or_b64 exec, exec, s[0:1]
	v_cmp_gt_u32_e64 s[0:1], 56, v0
	s_and_b64 exec, exec, s[0:1]
	s_cbranch_execz .LBB123_51
; %bb.17:
	s_and_saveexec_b64 s[0:1], vcc
; %bb.18:
	v_lshlrev_b32_e32 v1, 3, v0
	v_lshlrev_b32_e32 v2, 3, v4
	v_add3_u32 v1, 0, v1, v2
	ds_read_b64 v[2:3], v1 offset:64
; %bb.19:
	s_or_b64 exec, exec, s[0:1]
	s_waitcnt lgkmcnt(0)
	ds_bpermute_b32 v8, v5, v2
	ds_bpermute_b32 v9, v5, v3
	s_waitcnt lgkmcnt(0)
	v_add_f64 v[2:3], v[2:3], v[8:9]
	ds_bpermute_b32 v8, v6, v2
	ds_bpermute_b32 v9, v6, v3
	s_waitcnt lgkmcnt(0)
	v_add_f64 v[2:3], v[2:3], v[8:9]
	ds_bpermute_b32 v8, v7, v2
	ds_bpermute_b32 v9, v7, v3
	s_waitcnt lgkmcnt(0)
	v_add_f64 v[2:3], v[2:3], v[8:9]
	s_and_saveexec_b64 s[0:1], s[4:5]
	s_cbranch_execz .LBB123_21
; %bb.20:
	v_mov_b32_e32 v1, 0
	v_lshl_add_u64 v[8:9], v[0:1], 3, s[2:3]
	global_store_dwordx2 v[8:9], v[2:3], off offset:64
.LBB123_21:
	s_or_b64 exec, exec, s[0:1]
	v_cmp_gt_u32_e64 s[0:1], 48, v0
	s_and_b64 exec, exec, s[0:1]
	s_cbranch_execz .LBB123_51
; %bb.22:
	s_and_saveexec_b64 s[0:1], vcc
; %bb.23:
	v_lshlrev_b32_e32 v1, 3, v0
	v_lshlrev_b32_e32 v2, 3, v4
	v_add3_u32 v1, 0, v1, v2
	ds_read_b64 v[2:3], v1 offset:128
; %bb.24:
	s_or_b64 exec, exec, s[0:1]
	s_waitcnt lgkmcnt(0)
	ds_bpermute_b32 v8, v5, v2
	ds_bpermute_b32 v9, v5, v3
	s_waitcnt lgkmcnt(0)
	v_add_f64 v[2:3], v[2:3], v[8:9]
	ds_bpermute_b32 v8, v6, v2
	ds_bpermute_b32 v9, v6, v3
	s_waitcnt lgkmcnt(0)
	v_add_f64 v[2:3], v[2:3], v[8:9]
	ds_bpermute_b32 v8, v7, v2
	ds_bpermute_b32 v9, v7, v3
	s_waitcnt lgkmcnt(0)
	v_add_f64 v[2:3], v[2:3], v[8:9]
	s_and_saveexec_b64 s[0:1], s[4:5]
	s_cbranch_execz .LBB123_26
; %bb.25:
	v_mov_b32_e32 v1, 0
	v_lshl_add_u64 v[8:9], v[0:1], 3, s[2:3]
	global_store_dwordx2 v[8:9], v[2:3], off offset:128
.LBB123_26:
	;; [unrolled: 33-line block ×6, first 2 shown]
	s_or_b64 exec, exec, s[0:1]
	v_cmp_gt_u32_e64 s[0:1], 8, v0
	s_and_b64 exec, exec, s[0:1]
	s_cbranch_execz .LBB123_51
; %bb.47:
	s_and_saveexec_b64 s[0:1], vcc
; %bb.48:
	v_lshlrev_b32_e32 v1, 3, v0
	v_lshlrev_b32_e32 v2, 3, v4
	v_add3_u32 v1, 0, v1, v2
	ds_read_b64 v[2:3], v1 offset:448
; %bb.49:
	s_or_b64 exec, exec, s[0:1]
	s_waitcnt lgkmcnt(0)
	ds_bpermute_b32 v4, v5, v2
	ds_bpermute_b32 v5, v5, v3
	s_waitcnt lgkmcnt(0)
	v_add_f64 v[2:3], v[2:3], v[4:5]
	ds_bpermute_b32 v4, v6, v2
	ds_bpermute_b32 v5, v6, v3
	s_waitcnt lgkmcnt(0)
	v_add_f64 v[2:3], v[2:3], v[4:5]
	ds_bpermute_b32 v4, v7, v2
	ds_bpermute_b32 v5, v7, v3
	s_and_saveexec_b64 s[0:1], s[4:5]
	s_xor_b64 s[0:1], exec, s[0:1]
	s_cbranch_execz .LBB123_51
; %bb.50:
	v_mov_b32_e32 v1, 0
	s_waitcnt lgkmcnt(0)
	v_add_f64 v[2:3], v[2:3], v[4:5]
	v_lshl_add_u64 v[0:1], v[0:1], 3, s[2:3]
	global_store_dwordx2 v[0:1], v[2:3], off offset:448
.LBB123_51:
	s_endpgm
	.section	.rodata,"a",@progbits
	.p2align	6, 0x0
	.amdhsa_kernel _ZN2at6native12_GLOBAL__N_135GammaBetaBackwardCUDAKernelTemplateIddLj64ELj8ELj64ELb0ELb1ELb1EEEvllPKT_S5_PKT0_S8_PS3_S9_
		.amdhsa_group_segment_fixed_size 0
		.amdhsa_private_segment_fixed_size 0
		.amdhsa_kernarg_size 320
		.amdhsa_user_sgpr_count 2
		.amdhsa_user_sgpr_dispatch_ptr 0
		.amdhsa_user_sgpr_queue_ptr 0
		.amdhsa_user_sgpr_kernarg_segment_ptr 1
		.amdhsa_user_sgpr_dispatch_id 0
		.amdhsa_user_sgpr_kernarg_preload_length 0
		.amdhsa_user_sgpr_kernarg_preload_offset 0
		.amdhsa_user_sgpr_private_segment_size 0
		.amdhsa_uses_dynamic_stack 0
		.amdhsa_enable_private_segment 0
		.amdhsa_system_sgpr_workgroup_id_x 1
		.amdhsa_system_sgpr_workgroup_id_y 1
		.amdhsa_system_sgpr_workgroup_id_z 0
		.amdhsa_system_sgpr_workgroup_info 0
		.amdhsa_system_vgpr_workitem_id 1
		.amdhsa_next_free_vgpr 58
		.amdhsa_next_free_sgpr 26
		.amdhsa_accum_offset 60
		.amdhsa_reserve_vcc 1
		.amdhsa_float_round_mode_32 0
		.amdhsa_float_round_mode_16_64 0
		.amdhsa_float_denorm_mode_32 3
		.amdhsa_float_denorm_mode_16_64 3
		.amdhsa_dx10_clamp 1
		.amdhsa_ieee_mode 1
		.amdhsa_fp16_overflow 0
		.amdhsa_tg_split 0
		.amdhsa_exception_fp_ieee_invalid_op 0
		.amdhsa_exception_fp_denorm_src 0
		.amdhsa_exception_fp_ieee_div_zero 0
		.amdhsa_exception_fp_ieee_overflow 0
		.amdhsa_exception_fp_ieee_underflow 0
		.amdhsa_exception_fp_ieee_inexact 0
		.amdhsa_exception_int_div_zero 0
	.end_amdhsa_kernel
	.section	.text._ZN2at6native12_GLOBAL__N_135GammaBetaBackwardCUDAKernelTemplateIddLj64ELj8ELj64ELb0ELb1ELb1EEEvllPKT_S5_PKT0_S8_PS3_S9_,"axG",@progbits,_ZN2at6native12_GLOBAL__N_135GammaBetaBackwardCUDAKernelTemplateIddLj64ELj8ELj64ELb0ELb1ELb1EEEvllPKT_S5_PKT0_S8_PS3_S9_,comdat
.Lfunc_end123:
	.size	_ZN2at6native12_GLOBAL__N_135GammaBetaBackwardCUDAKernelTemplateIddLj64ELj8ELj64ELb0ELb1ELb1EEEvllPKT_S5_PKT0_S8_PS3_S9_, .Lfunc_end123-_ZN2at6native12_GLOBAL__N_135GammaBetaBackwardCUDAKernelTemplateIddLj64ELj8ELj64ELb0ELb1ELb1EEEvllPKT_S5_PKT0_S8_PS3_S9_
                                        ; -- End function
	.set _ZN2at6native12_GLOBAL__N_135GammaBetaBackwardCUDAKernelTemplateIddLj64ELj8ELj64ELb0ELb1ELb1EEEvllPKT_S5_PKT0_S8_PS3_S9_.num_vgpr, 58
	.set _ZN2at6native12_GLOBAL__N_135GammaBetaBackwardCUDAKernelTemplateIddLj64ELj8ELj64ELb0ELb1ELb1EEEvllPKT_S5_PKT0_S8_PS3_S9_.num_agpr, 0
	.set _ZN2at6native12_GLOBAL__N_135GammaBetaBackwardCUDAKernelTemplateIddLj64ELj8ELj64ELb0ELb1ELb1EEEvllPKT_S5_PKT0_S8_PS3_S9_.numbered_sgpr, 26
	.set _ZN2at6native12_GLOBAL__N_135GammaBetaBackwardCUDAKernelTemplateIddLj64ELj8ELj64ELb0ELb1ELb1EEEvllPKT_S5_PKT0_S8_PS3_S9_.num_named_barrier, 0
	.set _ZN2at6native12_GLOBAL__N_135GammaBetaBackwardCUDAKernelTemplateIddLj64ELj8ELj64ELb0ELb1ELb1EEEvllPKT_S5_PKT0_S8_PS3_S9_.private_seg_size, 0
	.set _ZN2at6native12_GLOBAL__N_135GammaBetaBackwardCUDAKernelTemplateIddLj64ELj8ELj64ELb0ELb1ELb1EEEvllPKT_S5_PKT0_S8_PS3_S9_.uses_vcc, 1
	.set _ZN2at6native12_GLOBAL__N_135GammaBetaBackwardCUDAKernelTemplateIddLj64ELj8ELj64ELb0ELb1ELb1EEEvllPKT_S5_PKT0_S8_PS3_S9_.uses_flat_scratch, 0
	.set _ZN2at6native12_GLOBAL__N_135GammaBetaBackwardCUDAKernelTemplateIddLj64ELj8ELj64ELb0ELb1ELb1EEEvllPKT_S5_PKT0_S8_PS3_S9_.has_dyn_sized_stack, 0
	.set _ZN2at6native12_GLOBAL__N_135GammaBetaBackwardCUDAKernelTemplateIddLj64ELj8ELj64ELb0ELb1ELb1EEEvllPKT_S5_PKT0_S8_PS3_S9_.has_recursion, 0
	.set _ZN2at6native12_GLOBAL__N_135GammaBetaBackwardCUDAKernelTemplateIddLj64ELj8ELj64ELb0ELb1ELb1EEEvllPKT_S5_PKT0_S8_PS3_S9_.has_indirect_call, 0
	.section	.AMDGPU.csdata,"",@progbits
; Kernel info:
; codeLenInByte = 2536
; TotalNumSgprs: 32
; NumVgprs: 58
; NumAgprs: 0
; TotalNumVgprs: 58
; ScratchSize: 0
; MemoryBound: 0
; FloatMode: 240
; IeeeMode: 1
; LDSByteSize: 0 bytes/workgroup (compile time only)
; SGPRBlocks: 3
; VGPRBlocks: 7
; NumSGPRsForWavesPerEU: 32
; NumVGPRsForWavesPerEU: 58
; AccumOffset: 60
; Occupancy: 8
; WaveLimiterHint : 0
; COMPUTE_PGM_RSRC2:SCRATCH_EN: 0
; COMPUTE_PGM_RSRC2:USER_SGPR: 2
; COMPUTE_PGM_RSRC2:TRAP_HANDLER: 0
; COMPUTE_PGM_RSRC2:TGID_X_EN: 1
; COMPUTE_PGM_RSRC2:TGID_Y_EN: 1
; COMPUTE_PGM_RSRC2:TGID_Z_EN: 0
; COMPUTE_PGM_RSRC2:TIDIG_COMP_CNT: 1
; COMPUTE_PGM_RSRC3_GFX90A:ACCUM_OFFSET: 14
; COMPUTE_PGM_RSRC3_GFX90A:TG_SPLIT: 0
	.section	.text._ZN2at6native12_GLOBAL__N_135GammaBetaBackwardCUDAKernelTemplateIddLj64ELj8ELj64ELb0ELb0ELb1EEEvllPKT_S5_PKT0_S8_PS3_S9_,"axG",@progbits,_ZN2at6native12_GLOBAL__N_135GammaBetaBackwardCUDAKernelTemplateIddLj64ELj8ELj64ELb0ELb0ELb1EEEvllPKT_S5_PKT0_S8_PS3_S9_,comdat
	.globl	_ZN2at6native12_GLOBAL__N_135GammaBetaBackwardCUDAKernelTemplateIddLj64ELj8ELj64ELb0ELb0ELb1EEEvllPKT_S5_PKT0_S8_PS3_S9_ ; -- Begin function _ZN2at6native12_GLOBAL__N_135GammaBetaBackwardCUDAKernelTemplateIddLj64ELj8ELj64ELb0ELb0ELb1EEEvllPKT_S5_PKT0_S8_PS3_S9_
	.p2align	8
	.type	_ZN2at6native12_GLOBAL__N_135GammaBetaBackwardCUDAKernelTemplateIddLj64ELj8ELj64ELb0ELb0ELb1EEEvllPKT_S5_PKT0_S8_PS3_S9_,@function
_ZN2at6native12_GLOBAL__N_135GammaBetaBackwardCUDAKernelTemplateIddLj64ELj8ELj64ELb0ELb0ELb1EEEvllPKT_S5_PKT0_S8_PS3_S9_: ; @_ZN2at6native12_GLOBAL__N_135GammaBetaBackwardCUDAKernelTemplateIddLj64ELj8ELj64ELb0ELb0ELb1EEEvllPKT_S5_PKT0_S8_PS3_S9_
; %bb.0:
	s_load_dwordx8 s[8:15], s[0:1], 0x0
	s_load_dwordx2 s[16:17], s[0:1], 0x28
	s_lshl_b32 s33, s2, 6
	s_or_b32 s4, s33, 63
	s_mov_b32 s19, 0
	v_mov_b32_e32 v2, s4
	v_mov_b32_e32 v3, 0
	s_lshl_b32 s18, s3, 6
	s_waitcnt lgkmcnt(0)
	v_cmp_le_i64_e32 vcc, s[10:11], v[2:3]
	v_mov_b64_e32 v[2:3], s[18:19]
	v_cmp_gt_i64_e64 s[4:5], s[8:9], v[2:3]
	s_nop 1
	v_cndmask_b32_e64 v1, 0, 1, s[4:5]
	v_cmp_ne_u32_e64 s[4:5], 1, v1
	s_cbranch_vccz .LBB124_49
; %bb.1:
	s_and_b64 vcc, exec, s[4:5]
	v_mov_b64_e32 v[104:105], 0
	s_cbranch_vccnz .LBB124_50
; %bb.2:
	v_and_b32_e32 v1, 0x3ff, v0
	v_mov_b32_e32 v2, 0
	v_bfe_u32 v78, v0, 10, 10
	v_add_u32_e32 v4, s33, v1
	v_mov_b32_e32 v5, v2
	v_lshlrev_b32_e32 v36, 3, v78
	v_mov_b32_e32 v37, v2
	v_cmp_gt_i64_e64 s[6:7], s[10:11], v[4:5]
	v_lshlrev_b64 v[38:39], 3, v[4:5]
	v_lshl_add_u64 v[4:5], v[36:37], 0, s[18:19]
	v_mul_lo_u32 v3, s11, v4
	v_mul_lo_u32 v8, s10, v5
	v_mad_u64_u32 v[6:7], s[22:23], s10, v4, 0
	v_add3_u32 v7, v7, v8, v3
	v_lshlrev_b64 v[6:7], 3, v[6:7]
	v_lshl_add_u64 v[40:41], s[12:13], 0, v[6:7]
	v_lshl_add_u64 v[42:43], s[14:15], 0, v[6:7]
	v_lshl_add_u64 v[6:7], v[4:5], 0, 7
	v_mul_lo_u32 v9, s11, v6
	v_mul_lo_u32 v10, s10, v7
	v_mad_u64_u32 v[6:7], s[24:25], s10, v6, 0
	v_add3_u32 v7, v7, v10, v9
	v_lshlrev_b64 v[6:7], 3, v[6:7]
	v_lshl_add_u64 v[44:45], s[12:13], 0, v[6:7]
	v_lshl_add_u64 v[46:47], s[14:15], 0, v[6:7]
	v_lshl_add_u64 v[6:7], v[4:5], 0, 6
	v_mul_lo_u32 v9, s11, v6
	v_mul_lo_u32 v10, s10, v7
	v_mad_u64_u32 v[6:7], s[24:25], s10, v6, 0
	v_add3_u32 v7, v7, v10, v9
	v_lshlrev_b64 v[6:7], 3, v[6:7]
	v_lshl_add_u64 v[48:49], s[12:13], 0, v[6:7]
	v_lshl_add_u64 v[50:51], s[14:15], 0, v[6:7]
	v_lshl_add_u64 v[6:7], v[4:5], 0, 5
	v_mul_lo_u32 v9, s11, v6
	v_mul_lo_u32 v10, s10, v7
	v_mad_u64_u32 v[6:7], s[24:25], s10, v6, 0
	v_add3_u32 v7, v7, v10, v9
	v_lshlrev_b64 v[6:7], 3, v[6:7]
	v_lshl_add_u64 v[52:53], s[12:13], 0, v[6:7]
	v_lshl_add_u64 v[54:55], s[14:15], 0, v[6:7]
	v_lshl_add_u64 v[6:7], v[4:5], 0, 4
	v_mul_lo_u32 v9, s11, v6
	v_mul_lo_u32 v10, s10, v7
	v_mad_u64_u32 v[6:7], s[24:25], s10, v6, 0
	v_add3_u32 v7, v7, v10, v9
	v_lshlrev_b64 v[6:7], 3, v[6:7]
	v_lshl_add_u64 v[56:57], s[12:13], 0, v[6:7]
	v_lshl_add_u64 v[58:59], s[14:15], 0, v[6:7]
	v_lshl_add_u64 v[6:7], v[4:5], 0, 3
	v_mul_lo_u32 v9, s11, v6
	v_mul_lo_u32 v10, s10, v7
	v_mad_u64_u32 v[6:7], s[24:25], s10, v6, 0
	v_add3_u32 v7, v7, v10, v9
	s_load_dword s3, s[0:1], 0x44
	v_lshlrev_b64 v[6:7], 3, v[6:7]
	v_lshl_add_u64 v[60:61], s[12:13], 0, v[6:7]
	v_lshl_add_u64 v[62:63], s[14:15], 0, v[6:7]
	;; [unrolled: 1-line block ×3, first 2 shown]
	v_mul_lo_u32 v5, s11, v6
	v_mul_lo_u32 v9, s10, v7
	v_mad_u64_u32 v[6:7], s[24:25], s10, v6, 0
	v_add3_u32 v7, v7, v9, v5
	s_add_u32 s20, s0, 64
	v_lshlrev_b64 v[6:7], 3, v[6:7]
	s_addc_u32 s21, s1, 0
	s_waitcnt lgkmcnt(0)
	s_lshl_b32 s3, s3, 6
	v_lshl_add_u64 v[64:65], s[12:13], 0, v[6:7]
	v_lshl_add_u64 v[66:67], s[14:15], 0, v[6:7]
	v_mov_b64_e32 v[6:7], s[10:11]
	s_mul_i32 s22, s11, s3
	s_mul_hi_u32 s23, s10, s3
	v_mad_u64_u32 v[4:5], s[24:25], s10, v4, v[6:7]
	s_add_i32 s23, s23, s22
	s_mul_i32 s22, s10, s3
	v_add3_u32 v5, v3, v5, v8
	v_mbcnt_lo_u32_b32 v3, -1, 0
	s_lshl_b64 s[22:23], s[22:23], 3
	v_mbcnt_hi_u32_b32 v3, -1, v3
	v_lshlrev_b64 v[4:5], 3, v[4:5]
	s_add_u32 s24, s18, 63
	s_movk_i32 s26, 0xffc1
	s_movk_i32 s28, 0xffc2
	;; [unrolled: 1-line block ×8, first 2 shown]
	v_lshlrev_b32_e32 v3, 2, v3
	v_lshl_add_u64 v[68:69], s[12:13], 0, v[4:5]
	v_lshl_add_u64 v[70:71], s[14:15], 0, v[4:5]
	s_addc_u32 s25, 0, 0
	v_mov_b64_e32 v[72:73], 0
	s_mov_b32 s27, -1
	s_mov_b32 s29, -1
	;; [unrolled: 1-line block ×8, first 2 shown]
	v_and_b32_e32 v79, 0x100, v3
	s_mov_b64 s[44:45], s[18:19]
.LBB124_3:                              ; =>This Inner Loop Header: Depth=1
	v_mov_b64_e32 v[4:5], s[8:9]
	v_cmp_ge_i64_e32 vcc, s[24:25], v[4:5]
	v_lshl_add_u64 v[74:75], v[36:37], 0, s[24:25]
	s_mov_b64 s[46:47], -1
	s_and_b64 vcc, exec, vcc
                                        ; implicit-def: $vgpr4_vgpr5_vgpr6_vgpr7_vgpr8_vgpr9_vgpr10_vgpr11_vgpr12_vgpr13_vgpr14_vgpr15_vgpr16_vgpr17_vgpr18_vgpr19
                                        ; implicit-def: $vgpr104_vgpr105
                                        ; implicit-def: $vgpr20_vgpr21_vgpr22_vgpr23_vgpr24_vgpr25_vgpr26_vgpr27_vgpr28_vgpr29_vgpr30_vgpr31_vgpr32_vgpr33_vgpr34_vgpr35
                                        ; implicit-def: $vgpr4
	s_cbranch_vccz .LBB124_25
; %bb.4:                                ;   in Loop: Header=BB124_3 Depth=1
	s_load_dword s46, s[20:21], 0xc
	v_mov_b64_e32 v[76:77], 0
	s_waitcnt lgkmcnt(0)
	s_and_b32 s46, s46, 0xffff
	v_mad_u32_u24 v3, v78, s46, v1
	v_and_b32_e32 v4, 63, v3
	v_cmp_gt_u32_e32 vcc, 8, v4
	s_and_saveexec_b64 s[46:47], vcc
	s_cbranch_execz .LBB124_8
; %bb.5:                                ;   in Loop: Header=BB124_3 Depth=1
	v_mov_b32_e32 v5, v2
	v_lshl_add_u64 v[4:5], v[74:75], 0, v[4:5]
	v_lshl_add_u64 v[4:5], v[4:5], 0, s[26:27]
	v_cmp_gt_i64_e32 vcc, s[8:9], v[4:5]
	v_mov_b64_e32 v[76:77], 0
	s_and_saveexec_b64 s[48:49], vcc
	s_cbranch_execz .LBB124_7
; %bb.6:                                ;   in Loop: Header=BB124_3 Depth=1
	v_lshl_add_u64 v[4:5], v[4:5], 3, s[16:17]
	global_load_dwordx2 v[76:77], v[4:5], off
.LBB124_7:                              ;   in Loop: Header=BB124_3 Depth=1
	s_or_b64 exec, exec, s[48:49]
.LBB124_8:                              ;   in Loop: Header=BB124_3 Depth=1
	s_or_b64 exec, exec, s[46:47]
	v_lshl_add_u64 v[4:5], v[74:75], 0, s[26:27]
	v_mov_b32_e32 v16, v2
	v_mov_b32_e32 v17, v2
	v_cmp_gt_i64_e32 vcc, s[8:9], v[4:5]
	v_mov_b32_e32 v3, v2
	v_mov_b32_e32 v4, v2
	;; [unrolled: 1-line block ×13, first 2 shown]
	v_mov_b64_e32 v[34:35], v[16:17]
	v_mov_b64_e32 v[32:33], v[14:15]
	;; [unrolled: 1-line block ×9, first 2 shown]
	s_and_b64 s[48:49], s[6:7], vcc
	v_mov_b64_e32 v[16:17], v[14:15]
	v_mov_b64_e32 v[14:15], v[12:13]
	;; [unrolled: 1-line block ×7, first 2 shown]
	s_and_saveexec_b64 s[46:47], s[48:49]
	s_cbranch_execz .LBB124_10
; %bb.9:                                ;   in Loop: Header=BB124_3 Depth=1
	v_lshl_add_u64 v[4:5], v[40:41], 0, v[38:39]
	v_lshl_add_u64 v[6:7], v[42:43], 0, v[38:39]
	global_load_dwordx2 v[4:5], v[4:5], off
	v_mov_b32_e32 v8, v2
	global_load_dwordx2 v[20:21], v[6:7], off
	v_mov_b32_e32 v6, v2
	v_mov_b32_e32 v7, v2
	v_mov_b32_e32 v9, v2
	v_mov_b32_e32 v10, v2
	v_mov_b32_e32 v11, v2
	v_mov_b32_e32 v12, v2
	v_mov_b32_e32 v13, v2
	v_mov_b32_e32 v14, v2
	v_mov_b32_e32 v15, v2
	v_mov_b32_e32 v16, v2
	v_mov_b32_e32 v17, v2
	v_mov_b32_e32 v18, v2
	v_mov_b32_e32 v19, v2
	v_mov_b32_e32 v22, v2
	v_mov_b32_e32 v23, v2
	v_mov_b32_e32 v24, v2
	v_mov_b32_e32 v25, v2
	v_mov_b32_e32 v26, v2
	v_mov_b32_e32 v27, v2
	v_mov_b32_e32 v28, v2
	v_mov_b32_e32 v29, v2
	v_mov_b32_e32 v30, v2
	v_mov_b32_e32 v31, v2
	v_mov_b32_e32 v32, v2
	v_mov_b32_e32 v33, v2
	v_mov_b32_e32 v34, v2
	v_mov_b32_e32 v35, v2
.LBB124_10:                             ;   in Loop: Header=BB124_3 Depth=1
	s_or_b64 exec, exec, s[46:47]
	v_lshl_add_u64 v[80:81], v[74:75], 0, s[28:29]
	v_cmp_gt_i64_e32 vcc, s[8:9], v[80:81]
	s_and_b64 s[48:49], s[6:7], vcc
	s_and_saveexec_b64 s[46:47], s[48:49]
	s_cbranch_execz .LBB124_12
; %bb.11:                               ;   in Loop: Header=BB124_3 Depth=1
	v_lshl_add_u64 v[6:7], v[68:69], 0, v[38:39]
	v_lshl_add_u64 v[22:23], v[70:71], 0, v[38:39]
	global_load_dwordx2 v[6:7], v[6:7], off
	s_nop 0
	global_load_dwordx2 v[22:23], v[22:23], off
.LBB124_12:                             ;   in Loop: Header=BB124_3 Depth=1
	s_or_b64 exec, exec, s[46:47]
	v_lshl_add_u64 v[80:81], v[74:75], 0, s[30:31]
	v_cmp_gt_i64_e32 vcc, s[8:9], v[80:81]
	s_and_b64 s[48:49], s[6:7], vcc
	s_and_saveexec_b64 s[46:47], s[48:49]
	s_cbranch_execz .LBB124_14
; %bb.13:                               ;   in Loop: Header=BB124_3 Depth=1
	v_lshl_add_u64 v[8:9], v[64:65], 0, v[38:39]
	v_lshl_add_u64 v[24:25], v[66:67], 0, v[38:39]
	global_load_dwordx2 v[8:9], v[8:9], off
	s_nop 0
	global_load_dwordx2 v[24:25], v[24:25], off
.LBB124_14:                             ;   in Loop: Header=BB124_3 Depth=1
	;; [unrolled: 13-line block ×7, first 2 shown]
	s_or_b64 exec, exec, s[46:47]
	s_waitcnt vmcnt(0)
	ds_bpermute_b32 v80, v79, v76
	ds_bpermute_b32 v81, v79, v77
	ds_bpermute_b32 v82, v79, v76 offset:4
	ds_bpermute_b32 v83, v79, v77 offset:4
	v_mul_f64 v[4:5], v[20:21], v[4:5]
	ds_bpermute_b32 v20, v79, v76 offset:16
	s_waitcnt lgkmcnt(3)
	v_fma_f64 v[104:105], v[4:5], v[80:81], v[72:73]
	v_mul_f64 v[4:5], v[22:23], v[6:7]
	s_waitcnt lgkmcnt(1)
	v_fmac_f64_e32 v[104:105], v[4:5], v[82:83]
	ds_bpermute_b32 v4, v79, v76 offset:8
	ds_bpermute_b32 v5, v79, v77 offset:8
	v_mul_f64 v[6:7], v[24:25], v[8:9]
	ds_bpermute_b32 v8, v79, v76 offset:12
	ds_bpermute_b32 v9, v79, v77 offset:12
	;; [unrolled: 1-line block ×3, first 2 shown]
	s_waitcnt lgkmcnt(3)
	v_fmac_f64_e32 v[104:105], v[6:7], v[4:5]
	v_mul_f64 v[4:5], v[26:27], v[10:11]
	ds_bpermute_b32 v6, v79, v76 offset:20
	ds_bpermute_b32 v7, v79, v77 offset:20
	s_waitcnt lgkmcnt(3)
	v_fmac_f64_e32 v[104:105], v[4:5], v[8:9]
	v_mul_f64 v[4:5], v[28:29], v[12:13]
	ds_bpermute_b32 v10, v79, v76 offset:24
	ds_bpermute_b32 v11, v79, v77 offset:24
	s_waitcnt lgkmcnt(4)
	v_fmac_f64_e32 v[104:105], v[4:5], v[20:21]
	ds_bpermute_b32 v4, v79, v76 offset:28
	ds_bpermute_b32 v5, v79, v77 offset:28
	v_mul_f64 v[8:9], v[30:31], v[14:15]
	s_waitcnt lgkmcnt(4)
	v_fmac_f64_e32 v[104:105], v[8:9], v[6:7]
	v_mul_f64 v[6:7], v[32:33], v[16:17]
	s_waitcnt lgkmcnt(2)
	v_fmac_f64_e32 v[104:105], v[6:7], v[10:11]
	s_mov_b64 s[46:47], 0
.LBB124_25:                             ;   in Loop: Header=BB124_3 Depth=1
	s_and_b64 vcc, exec, s[46:47]
	s_cbranch_vccz .LBB124_40
; %bb.26:                               ;   in Loop: Header=BB124_3 Depth=1
	s_load_dword s46, s[20:21], 0x0
	v_mov_b64_e32 v[76:77], 0
	s_waitcnt lgkmcnt(0)
	s_cmp_lt_u32 s2, s46
	s_cselect_b32 s46, 12, 18
	s_add_u32 s46, s20, s46
	s_addc_u32 s47, s21, 0
	global_load_ushort v3, v2, s[46:47]
	s_waitcnt vmcnt(0)
	v_mad_u32_u24 v3, v78, v3, v1
	v_and_b32_e32 v4, 63, v3
	v_cmp_gt_u32_e32 vcc, 8, v4
	s_and_saveexec_b64 s[46:47], vcc
	s_cbranch_execz .LBB124_30
; %bb.27:                               ;   in Loop: Header=BB124_3 Depth=1
	v_mov_b32_e32 v5, v2
	v_lshl_add_u64 v[4:5], v[74:75], 0, v[4:5]
	v_lshl_add_u64 v[4:5], v[4:5], 0, s[26:27]
	v_cmp_gt_i64_e32 vcc, s[8:9], v[4:5]
	v_mov_b64_e32 v[76:77], 0
	s_and_saveexec_b64 s[48:49], vcc
	s_cbranch_execz .LBB124_29
; %bb.28:                               ;   in Loop: Header=BB124_3 Depth=1
	v_lshl_add_u64 v[4:5], v[4:5], 3, s[16:17]
	global_load_dwordx2 v[76:77], v[4:5], off
.LBB124_29:                             ;   in Loop: Header=BB124_3 Depth=1
	s_or_b64 exec, exec, s[48:49]
.LBB124_30:                             ;   in Loop: Header=BB124_3 Depth=1
	s_or_b64 exec, exec, s[46:47]
	v_mov_b32_e32 v16, v2
	v_mov_b32_e32 v17, v2
	;; [unrolled: 1-line block ×15, first 2 shown]
	v_mov_b64_e32 v[34:35], v[16:17]
	v_mov_b64_e32 v[32:33], v[14:15]
	;; [unrolled: 1-line block ×16, first 2 shown]
	s_and_saveexec_b64 s[46:47], s[6:7]
	s_cbranch_execnz .LBB124_42
; %bb.31:                               ;   in Loop: Header=BB124_3 Depth=1
	s_or_b64 exec, exec, s[46:47]
	s_and_saveexec_b64 s[46:47], s[6:7]
	s_cbranch_execnz .LBB124_43
.LBB124_32:                             ;   in Loop: Header=BB124_3 Depth=1
	s_or_b64 exec, exec, s[46:47]
	s_and_saveexec_b64 s[46:47], s[6:7]
	s_cbranch_execnz .LBB124_44
.LBB124_33:                             ;   in Loop: Header=BB124_3 Depth=1
	s_or_b64 exec, exec, s[46:47]
	s_and_saveexec_b64 s[46:47], s[6:7]
	s_cbranch_execnz .LBB124_45
.LBB124_34:                             ;   in Loop: Header=BB124_3 Depth=1
	s_or_b64 exec, exec, s[46:47]
	s_and_saveexec_b64 s[46:47], s[6:7]
	s_cbranch_execnz .LBB124_46
.LBB124_35:                             ;   in Loop: Header=BB124_3 Depth=1
	s_or_b64 exec, exec, s[46:47]
	s_and_saveexec_b64 s[46:47], s[6:7]
	s_cbranch_execnz .LBB124_47
.LBB124_36:                             ;   in Loop: Header=BB124_3 Depth=1
	s_or_b64 exec, exec, s[46:47]
	s_and_saveexec_b64 s[46:47], s[6:7]
	s_cbranch_execnz .LBB124_48
.LBB124_37:                             ;   in Loop: Header=BB124_3 Depth=1
	s_or_b64 exec, exec, s[46:47]
	s_and_saveexec_b64 s[46:47], s[6:7]
	s_cbranch_execz .LBB124_39
.LBB124_38:                             ;   in Loop: Header=BB124_3 Depth=1
	v_lshl_add_u64 v[18:19], v[44:45], 0, v[38:39]
	v_lshl_add_u64 v[34:35], v[46:47], 0, v[38:39]
	global_load_dwordx2 v[18:19], v[18:19], off
	s_nop 0
	global_load_dwordx2 v[34:35], v[34:35], off
.LBB124_39:                             ;   in Loop: Header=BB124_3 Depth=1
	s_or_b64 exec, exec, s[46:47]
	s_waitcnt vmcnt(0)
	ds_bpermute_b32 v74, v79, v76
	ds_bpermute_b32 v75, v79, v77
	ds_bpermute_b32 v80, v79, v76 offset:4
	ds_bpermute_b32 v81, v79, v77 offset:4
	v_mul_f64 v[4:5], v[20:21], v[4:5]
	ds_bpermute_b32 v20, v79, v76 offset:16
	s_waitcnt lgkmcnt(3)
	v_fmac_f64_e32 v[72:73], v[4:5], v[74:75]
	v_mul_f64 v[4:5], v[22:23], v[6:7]
	s_waitcnt lgkmcnt(1)
	v_fmac_f64_e32 v[72:73], v[4:5], v[80:81]
	ds_bpermute_b32 v4, v79, v76 offset:8
	ds_bpermute_b32 v5, v79, v77 offset:8
	v_mul_f64 v[6:7], v[24:25], v[8:9]
	ds_bpermute_b32 v8, v79, v76 offset:12
	ds_bpermute_b32 v9, v79, v77 offset:12
	;; [unrolled: 1-line block ×3, first 2 shown]
	s_waitcnt lgkmcnt(3)
	v_fmac_f64_e32 v[72:73], v[6:7], v[4:5]
	ds_bpermute_b32 v6, v79, v76 offset:20
	ds_bpermute_b32 v7, v79, v77 offset:20
	v_mul_f64 v[4:5], v[26:27], v[10:11]
	ds_bpermute_b32 v10, v79, v76 offset:24
	ds_bpermute_b32 v11, v79, v77 offset:24
	s_waitcnt lgkmcnt(5)
	v_fmac_f64_e32 v[72:73], v[4:5], v[8:9]
	v_mul_f64 v[4:5], v[28:29], v[12:13]
	s_waitcnt lgkmcnt(4)
	v_fmac_f64_e32 v[72:73], v[4:5], v[20:21]
	ds_bpermute_b32 v4, v79, v76 offset:28
	ds_bpermute_b32 v5, v79, v77 offset:28
	v_mul_f64 v[8:9], v[30:31], v[14:15]
	s_waitcnt lgkmcnt(4)
	v_fmac_f64_e32 v[72:73], v[8:9], v[6:7]
	v_mul_f64 v[6:7], v[32:33], v[16:17]
	s_waitcnt lgkmcnt(2)
	v_fmac_f64_e32 v[72:73], v[6:7], v[10:11]
	v_mov_b64_e32 v[104:105], v[72:73]
.LBB124_40:                             ;   in Loop: Header=BB124_3 Depth=1
	v_mul_f64 v[6:7], v[18:19], v[34:35]
	s_add_u32 s44, s44, s3
	s_waitcnt lgkmcnt(0)
	v_fmac_f64_e32 v[104:105], v[6:7], v[4:5]
	s_addc_u32 s45, s45, 0
	v_mov_b64_e32 v[4:5], s[8:9]
	s_add_u32 s24, s24, s3
	v_cmp_lt_i64_e32 vcc, s[44:45], v[4:5]
	v_lshl_add_u64 v[40:41], v[40:41], 0, s[22:23]
	v_lshl_add_u64 v[42:43], v[42:43], 0, s[22:23]
	;; [unrolled: 1-line block ×16, first 2 shown]
	s_addc_u32 s25, s25, 0
	s_cbranch_vccz .LBB124_50
; %bb.41:                               ;   in Loop: Header=BB124_3 Depth=1
	v_mov_b64_e32 v[72:73], v[104:105]
	s_branch .LBB124_3
.LBB124_42:                             ;   in Loop: Header=BB124_3 Depth=1
	v_lshl_add_u64 v[4:5], v[40:41], 0, v[38:39]
	v_lshl_add_u64 v[6:7], v[42:43], 0, v[38:39]
	global_load_dwordx2 v[4:5], v[4:5], off
	v_mov_b32_e32 v8, v2
	global_load_dwordx2 v[20:21], v[6:7], off
	v_mov_b32_e32 v6, v2
	v_mov_b32_e32 v7, v2
	v_mov_b32_e32 v9, v2
	v_mov_b32_e32 v10, v2
	v_mov_b32_e32 v11, v2
	v_mov_b32_e32 v12, v2
	v_mov_b32_e32 v13, v2
	v_mov_b32_e32 v14, v2
	v_mov_b32_e32 v15, v2
	v_mov_b32_e32 v16, v2
	v_mov_b32_e32 v17, v2
	v_mov_b32_e32 v18, v2
	v_mov_b32_e32 v19, v2
	v_mov_b32_e32 v22, v2
	v_mov_b32_e32 v23, v2
	v_mov_b32_e32 v24, v2
	v_mov_b32_e32 v25, v2
	v_mov_b32_e32 v26, v2
	v_mov_b32_e32 v27, v2
	v_mov_b32_e32 v28, v2
	v_mov_b32_e32 v29, v2
	v_mov_b32_e32 v30, v2
	v_mov_b32_e32 v31, v2
	v_mov_b32_e32 v32, v2
	v_mov_b32_e32 v33, v2
	v_mov_b32_e32 v34, v2
	v_mov_b32_e32 v35, v2
	s_or_b64 exec, exec, s[46:47]
	s_and_saveexec_b64 s[46:47], s[6:7]
	s_cbranch_execz .LBB124_32
.LBB124_43:                             ;   in Loop: Header=BB124_3 Depth=1
	v_lshl_add_u64 v[6:7], v[68:69], 0, v[38:39]
	v_lshl_add_u64 v[22:23], v[70:71], 0, v[38:39]
	global_load_dwordx2 v[6:7], v[6:7], off
	s_nop 0
	global_load_dwordx2 v[22:23], v[22:23], off
	s_or_b64 exec, exec, s[46:47]
	s_and_saveexec_b64 s[46:47], s[6:7]
	s_cbranch_execz .LBB124_33
.LBB124_44:                             ;   in Loop: Header=BB124_3 Depth=1
	v_lshl_add_u64 v[8:9], v[64:65], 0, v[38:39]
	v_lshl_add_u64 v[24:25], v[66:67], 0, v[38:39]
	global_load_dwordx2 v[8:9], v[8:9], off
	s_nop 0
	global_load_dwordx2 v[24:25], v[24:25], off
	s_or_b64 exec, exec, s[46:47]
	s_and_saveexec_b64 s[46:47], s[6:7]
	s_cbranch_execz .LBB124_34
.LBB124_45:                             ;   in Loop: Header=BB124_3 Depth=1
	v_lshl_add_u64 v[10:11], v[60:61], 0, v[38:39]
	v_lshl_add_u64 v[26:27], v[62:63], 0, v[38:39]
	global_load_dwordx2 v[10:11], v[10:11], off
	s_nop 0
	global_load_dwordx2 v[26:27], v[26:27], off
	s_or_b64 exec, exec, s[46:47]
	s_and_saveexec_b64 s[46:47], s[6:7]
	s_cbranch_execz .LBB124_35
.LBB124_46:                             ;   in Loop: Header=BB124_3 Depth=1
	v_lshl_add_u64 v[12:13], v[56:57], 0, v[38:39]
	v_lshl_add_u64 v[28:29], v[58:59], 0, v[38:39]
	global_load_dwordx2 v[12:13], v[12:13], off
	s_nop 0
	global_load_dwordx2 v[28:29], v[28:29], off
	s_or_b64 exec, exec, s[46:47]
	s_and_saveexec_b64 s[46:47], s[6:7]
	s_cbranch_execz .LBB124_36
.LBB124_47:                             ;   in Loop: Header=BB124_3 Depth=1
	v_lshl_add_u64 v[14:15], v[52:53], 0, v[38:39]
	v_lshl_add_u64 v[30:31], v[54:55], 0, v[38:39]
	global_load_dwordx2 v[14:15], v[14:15], off
	s_nop 0
	global_load_dwordx2 v[30:31], v[30:31], off
	s_or_b64 exec, exec, s[46:47]
	s_and_saveexec_b64 s[46:47], s[6:7]
	s_cbranch_execz .LBB124_37
.LBB124_48:                             ;   in Loop: Header=BB124_3 Depth=1
	v_lshl_add_u64 v[16:17], v[48:49], 0, v[38:39]
	v_lshl_add_u64 v[32:33], v[50:51], 0, v[38:39]
	global_load_dwordx2 v[16:17], v[16:17], off
	s_nop 0
	global_load_dwordx2 v[32:33], v[32:33], off
	s_or_b64 exec, exec, s[46:47]
	s_and_saveexec_b64 s[46:47], s[6:7]
	s_cbranch_execnz .LBB124_38
	s_branch .LBB124_39
.LBB124_49:
                                        ; implicit-def: $vgpr104_vgpr105
	s_branch .LBB124_51
.LBB124_50:
	s_cbranch_execnz .LBB124_83
.LBB124_51:
	s_and_b64 vcc, exec, s[4:5]
	v_mov_b64_e32 v[104:105], 0
	s_cbranch_vccnz .LBB124_83
; %bb.52:
	v_mov_b32_e32 v2, 0
	v_bfe_u32 v1, v0, 10, 10
	v_lshlrev_b32_e32 v6, 6, v1
	v_mov_b32_e32 v7, v2
	v_lshl_add_u64 v[6:7], s[18:19], 3, v[6:7]
	v_lshl_add_u64 v[8:9], v[6:7], 0, 8
	v_mov_b64_e32 v[10:11], s[12:13]
	v_mov_b64_e32 v[22:23], s[14:15]
	v_lshlrev_b32_e32 v36, 3, v1
	v_mov_b32_e32 v37, v2
	v_mad_u64_u32 v[38:39], s[4:5], s10, v8, v[10:11]
	v_mul_lo_u32 v3, s10, v9
	v_mul_lo_u32 v9, s11, v8
	v_lshl_add_u64 v[12:13], v[6:7], 0, 16
	v_lshl_add_u64 v[14:15], v[6:7], 0, 24
	;; [unrolled: 1-line block ×5, first 2 shown]
	v_mad_u64_u32 v[48:49], s[4:5], s10, v8, v[22:23]
	v_lshl_add_u64 v[6:7], v[6:7], 0, 56
	v_lshl_add_u64 v[4:5], v[36:37], 0, s[18:19]
	v_add3_u32 v39, v9, v39, v3
	v_add3_u32 v49, v9, v49, v3
	v_mad_u64_u32 v[54:55], s[4:5], s10, v6, v[10:11]
	v_mul_lo_u32 v7, s10, v7
	v_mul_lo_u32 v9, s11, v6
	v_mad_u64_u32 v[64:65], s[4:5], s10, v6, v[22:23]
	v_mad_u64_u32 v[50:51], s[4:5], s10, v20, v[10:11]
	v_mul_lo_u32 v3, s10, v21
	v_mul_lo_u32 v8, s11, v20
	v_add3_u32 v55, v9, v55, v7
	v_mad_u64_u32 v[62:63], s[4:5], s10, v20, v[22:23]
	v_add3_u32 v65, v9, v65, v7
	v_lshl_add_u64 v[6:7], v[4:5], 0, 7
	v_add3_u32 v51, v8, v51, v3
	v_add3_u32 v63, v8, v63, v3
	v_mul_lo_u32 v3, s11, v6
	v_mul_lo_u32 v8, s10, v7
	v_mad_u64_u32 v[6:7], s[4:5], s10, v6, 0
	v_add3_u32 v7, v7, v8, v3
	v_lshl_add_u64 v[8:9], v[4:5], 0, 6
	v_mad_u64_u32 v[40:41], s[4:5], s10, v12, v[10:11]
	v_mad_u64_u32 v[42:43], s[4:5], s10, v14, v[10:11]
	;; [unrolled: 1-line block ×4, first 2 shown]
	v_mul_lo_u32 v3, s11, v8
	v_mul_lo_u32 v10, s10, v9
	v_mad_u64_u32 v[8:9], s[4:5], s10, v8, 0
	v_add3_u32 v9, v9, v10, v3
	v_lshl_add_u64 v[10:11], v[4:5], 0, 5
	v_mul_lo_u32 v13, s10, v13
	v_mul_lo_u32 v24, s11, v12
	v_mad_u64_u32 v[52:53], s[4:5], s10, v12, v[22:23]
	v_mul_lo_u32 v3, s11, v10
	v_mul_lo_u32 v12, s10, v11
	v_mad_u64_u32 v[10:11], s[4:5], s10, v10, 0
	v_add3_u32 v41, v24, v41, v13
	v_add3_u32 v53, v24, v53, v13
	v_add3_u32 v11, v11, v12, v3
	v_lshl_add_u64 v[12:13], v[4:5], 0, 4
	v_mul_lo_u32 v15, s10, v15
	v_mul_lo_u32 v25, s11, v14
	v_mad_u64_u32 v[56:57], s[4:5], s10, v14, v[22:23]
	v_mul_lo_u32 v3, s11, v12
	v_mul_lo_u32 v14, s10, v13
	v_mad_u64_u32 v[12:13], s[4:5], s10, v12, 0
	v_add3_u32 v43, v25, v43, v15
	v_add3_u32 v57, v25, v57, v15
	;; [unrolled: 10-line block ×4, first 2 shown]
	v_add3_u32 v17, v17, v18, v3
	v_mov_b64_e32 v[18:19], s[10:11]
	v_mad_u64_u32 v[18:19], s[4:5], s10, v4, v[18:19]
	v_mul_lo_u32 v3, s11, v4
	v_mul_lo_u32 v20, s10, v5
	v_mad_u64_u32 v[4:5], s[4:5], s10, v4, 0
	v_add3_u32 v5, v5, v20, v3
	s_load_dword s3, s[0:1], 0x44
	v_lshlrev_b64 v[4:5], 3, v[4:5]
	v_lshl_add_u64 v[68:69], s[12:13], 0, v[4:5]
	v_lshl_add_u64 v[70:71], s[14:15], 0, v[4:5]
	v_lshlrev_b64 v[4:5], 3, v[6:7]
	v_lshl_add_u64 v[72:73], s[12:13], 0, v[4:5]
	v_lshl_add_u64 v[74:75], s[14:15], 0, v[4:5]
	v_lshlrev_b64 v[4:5], 3, v[8:9]
	s_add_u32 s4, s0, 64
	v_lshl_add_u64 v[76:77], s[12:13], 0, v[4:5]
	v_lshl_add_u64 v[78:79], s[14:15], 0, v[4:5]
	v_lshlrev_b64 v[4:5], 3, v[10:11]
	s_addc_u32 s5, s1, 0
	s_waitcnt lgkmcnt(0)
	s_lshl_b32 s3, s3, 6
	v_lshl_add_u64 v[80:81], s[12:13], 0, v[4:5]
	v_lshl_add_u64 v[82:83], s[14:15], 0, v[4:5]
	v_lshlrev_b64 v[4:5], 3, v[12:13]
	s_mul_i32 s6, s11, s3
	s_mul_hi_u32 s7, s10, s3
	v_lshl_add_u64 v[84:85], s[12:13], 0, v[4:5]
	v_lshl_add_u64 v[86:87], s[14:15], 0, v[4:5]
	v_lshlrev_b64 v[4:5], 3, v[14:15]
	v_add3_u32 v19, v3, v19, v20
	s_add_i32 s7, s7, s6
	s_mul_i32 s6, s10, s3
	v_lshl_add_u64 v[88:89], s[12:13], 0, v[4:5]
	v_lshl_add_u64 v[90:91], s[14:15], 0, v[4:5]
	v_lshlrev_b64 v[4:5], 3, v[16:17]
	v_mbcnt_lo_u32_b32 v3, -1, 0
	v_and_b32_e32 v108, 0x3ff, v0
	s_lshl_b64 s[6:7], s[6:7], 3
	v_lshl_add_u64 v[92:93], s[12:13], 0, v[4:5]
	v_lshl_add_u64 v[94:95], s[14:15], 0, v[4:5]
	v_lshlrev_b64 v[4:5], 3, v[18:19]
	v_mbcnt_hi_u32_b32 v3, -1, v3
	v_add_u32_e32 v20, s33, v108
	v_mov_b32_e32 v21, v2
	s_add_u32 s20, s18, 63
	v_lshl_add_u64 v[96:97], s[12:13], 0, v[4:5]
	v_lshl_add_u64 v[98:99], s[14:15], 0, v[4:5]
	s_movk_i32 s12, 0xffc1
	s_movk_i32 s14, 0xffc2
	;; [unrolled: 1-line block ×8, first 2 shown]
	v_lshlrev_b32_e32 v3, 2, v3
	v_lshlrev_b64 v[66:67], 3, v[20:21]
	s_addc_u32 s21, 0, 0
	s_mov_b32 s13, -1
	s_mov_b32 s15, -1
	;; [unrolled: 1-line block ×8, first 2 shown]
	v_and_b32_e32 v109, 0x100, v3
	v_mov_b64_e32 v[100:101], 0
.LBB124_53:                             ; =>This Inner Loop Header: Depth=1
	v_mov_b64_e32 v[4:5], s[8:9]
	v_cmp_ge_i64_e32 vcc, s[20:21], v[4:5]
	v_lshl_add_u64 v[102:103], v[36:37], 0, s[20:21]
	s_mov_b64 s[36:37], -1
                                        ; implicit-def: $vgpr104_vgpr105
	s_cbranch_vccz .LBB124_75
; %bb.54:                               ;   in Loop: Header=BB124_53 Depth=1
	s_load_dword s33, s[4:5], 0xc
	v_mov_b64_e32 v[106:107], 0
	s_waitcnt lgkmcnt(0)
	s_and_b32 s33, s33, 0xffff
	v_mad_u32_u24 v3, v1, s33, v108
	v_and_b32_e32 v4, 63, v3
	v_cmp_gt_u32_e32 vcc, 8, v4
	s_and_saveexec_b64 s[36:37], vcc
	s_cbranch_execz .LBB124_58
; %bb.55:                               ;   in Loop: Header=BB124_53 Depth=1
	v_mov_b32_e32 v5, v2
	v_lshl_add_u64 v[4:5], v[102:103], 0, v[4:5]
	v_lshl_add_u64 v[4:5], v[4:5], 0, s[12:13]
	v_cmp_gt_i64_e32 vcc, s[8:9], v[4:5]
	v_mov_b64_e32 v[106:107], 0
	s_and_saveexec_b64 s[38:39], vcc
	s_cbranch_execz .LBB124_57
; %bb.56:                               ;   in Loop: Header=BB124_53 Depth=1
	v_lshl_add_u64 v[4:5], v[4:5], 3, s[16:17]
	global_load_dwordx2 v[106:107], v[4:5], off
.LBB124_57:                             ;   in Loop: Header=BB124_53 Depth=1
	s_or_b64 exec, exec, s[38:39]
.LBB124_58:                             ;   in Loop: Header=BB124_53 Depth=1
	s_or_b64 exec, exec, s[36:37]
	v_lshl_add_u64 v[4:5], v[102:103], 0, s[12:13]
	v_mov_b32_e32 v16, v2
	v_mov_b32_e32 v17, v2
	v_cmp_gt_i64_e32 vcc, s[8:9], v[4:5]
	v_mov_b32_e32 v3, v2
	v_mov_b32_e32 v4, v2
	v_mov_b32_e32 v5, v2
	v_mov_b32_e32 v6, v2
	v_mov_b32_e32 v7, v2
	v_mov_b32_e32 v8, v2
	v_mov_b32_e32 v9, v2
	v_mov_b32_e32 v10, v2
	v_mov_b32_e32 v11, v2
	v_mov_b32_e32 v12, v2
	v_mov_b32_e32 v13, v2
	v_mov_b32_e32 v14, v2
	v_mov_b32_e32 v15, v2
	v_mov_b64_e32 v[34:35], v[16:17]
	v_mov_b64_e32 v[32:33], v[14:15]
	;; [unrolled: 1-line block ×16, first 2 shown]
	s_and_saveexec_b64 s[36:37], vcc
	s_cbranch_execz .LBB124_60
; %bb.59:                               ;   in Loop: Header=BB124_53 Depth=1
	v_lshl_add_u64 v[4:5], v[68:69], 0, v[66:67]
	v_lshl_add_u64 v[6:7], v[70:71], 0, v[66:67]
	global_load_dwordx2 v[4:5], v[4:5], off
	v_mov_b32_e32 v8, v2
	global_load_dwordx2 v[20:21], v[6:7], off
	v_mov_b32_e32 v6, v2
	v_mov_b32_e32 v7, v2
	;; [unrolled: 1-line block ×27, first 2 shown]
.LBB124_60:                             ;   in Loop: Header=BB124_53 Depth=1
	s_or_b64 exec, exec, s[36:37]
	v_lshl_add_u64 v[104:105], v[102:103], 0, s[14:15]
	v_cmp_gt_i64_e32 vcc, s[8:9], v[104:105]
	s_and_saveexec_b64 s[36:37], vcc
	s_cbranch_execz .LBB124_62
; %bb.61:                               ;   in Loop: Header=BB124_53 Depth=1
	v_lshl_add_u64 v[6:7], v[96:97], 0, v[66:67]
	v_lshl_add_u64 v[22:23], v[98:99], 0, v[66:67]
	global_load_dwordx2 v[6:7], v[6:7], off
	s_nop 0
	global_load_dwordx2 v[22:23], v[22:23], off
.LBB124_62:                             ;   in Loop: Header=BB124_53 Depth=1
	s_or_b64 exec, exec, s[36:37]
	v_lshl_add_u64 v[104:105], v[102:103], 0, s[22:23]
	v_cmp_gt_i64_e32 vcc, s[8:9], v[104:105]
	s_and_saveexec_b64 s[36:37], vcc
	s_cbranch_execz .LBB124_64
; %bb.63:                               ;   in Loop: Header=BB124_53 Depth=1
	v_lshl_add_u64 v[8:9], v[92:93], 0, v[66:67]
	v_lshl_add_u64 v[24:25], v[94:95], 0, v[66:67]
	global_load_dwordx2 v[8:9], v[8:9], off
	s_nop 0
	global_load_dwordx2 v[24:25], v[24:25], off
.LBB124_64:                             ;   in Loop: Header=BB124_53 Depth=1
	;; [unrolled: 12-line block ×7, first 2 shown]
	s_or_b64 exec, exec, s[36:37]
	s_waitcnt vmcnt(0)
	ds_bpermute_b32 v104, v109, v106
	ds_bpermute_b32 v105, v109, v107
	ds_bpermute_b32 v110, v109, v106 offset:4
	ds_bpermute_b32 v111, v109, v107 offset:4
	v_mul_f64 v[4:5], v[20:21], v[4:5]
	ds_bpermute_b32 v20, v109, v106 offset:16
	s_waitcnt lgkmcnt(3)
	v_fma_f64 v[104:105], v[4:5], v[104:105], v[100:101]
	v_mul_f64 v[4:5], v[22:23], v[6:7]
	s_waitcnt lgkmcnt(1)
	v_fmac_f64_e32 v[104:105], v[4:5], v[110:111]
	ds_bpermute_b32 v4, v109, v106 offset:8
	ds_bpermute_b32 v5, v109, v107 offset:8
	v_mul_f64 v[6:7], v[24:25], v[8:9]
	ds_bpermute_b32 v8, v109, v106 offset:12
	ds_bpermute_b32 v9, v109, v107 offset:12
	ds_bpermute_b32 v21, v109, v107 offset:16
	s_waitcnt lgkmcnt(3)
	v_fmac_f64_e32 v[104:105], v[6:7], v[4:5]
	v_mul_f64 v[4:5], v[26:27], v[10:11]
	ds_bpermute_b32 v10, v109, v106 offset:28
	s_waitcnt lgkmcnt(2)
	v_fmac_f64_e32 v[104:105], v[4:5], v[8:9]
	v_mul_f64 v[4:5], v[28:29], v[12:13]
	s_waitcnt lgkmcnt(1)
	v_fmac_f64_e32 v[104:105], v[4:5], v[20:21]
	ds_bpermute_b32 v4, v109, v106 offset:20
	ds_bpermute_b32 v5, v109, v107 offset:20
	;; [unrolled: 1-line block ×5, first 2 shown]
	v_mul_f64 v[6:7], v[30:31], v[14:15]
	s_waitcnt lgkmcnt(3)
	v_fmac_f64_e32 v[104:105], v[6:7], v[4:5]
	v_mul_f64 v[4:5], v[32:33], v[16:17]
	s_waitcnt lgkmcnt(1)
	v_fmac_f64_e32 v[104:105], v[4:5], v[8:9]
	;; [unrolled: 3-line block ×3, first 2 shown]
	s_mov_b64 s[36:37], 0
.LBB124_75:                             ;   in Loop: Header=BB124_53 Depth=1
	s_and_b64 vcc, exec, s[36:37]
	s_cbranch_vccz .LBB124_81
; %bb.76:                               ;   in Loop: Header=BB124_53 Depth=1
	s_load_dword s33, s[4:5], 0x0
	v_mov_b64_e32 v[4:5], 0
	s_waitcnt lgkmcnt(0)
	s_cmp_lt_u32 s2, s33
	s_cselect_b32 s33, 12, 18
	s_add_u32 s36, s4, s33
	s_addc_u32 s37, s5, 0
	global_load_ushort v3, v2, s[36:37]
	s_waitcnt vmcnt(0)
	v_mad_u32_u24 v3, v1, v3, v108
	v_and_b32_e32 v6, 63, v3
	v_cmp_gt_u32_e32 vcc, 8, v6
	s_and_saveexec_b64 s[36:37], vcc
	s_cbranch_execz .LBB124_80
; %bb.77:                               ;   in Loop: Header=BB124_53 Depth=1
	v_mov_b32_e32 v7, v2
	v_lshl_add_u64 v[4:5], v[102:103], 0, v[6:7]
	v_lshl_add_u64 v[6:7], v[4:5], 0, s[12:13]
	v_cmp_gt_i64_e32 vcc, s[8:9], v[6:7]
	v_mov_b64_e32 v[4:5], 0
	s_and_saveexec_b64 s[38:39], vcc
	s_cbranch_execz .LBB124_79
; %bb.78:                               ;   in Loop: Header=BB124_53 Depth=1
	v_lshl_add_u64 v[4:5], v[6:7], 3, s[16:17]
	global_load_dwordx2 v[4:5], v[4:5], off
.LBB124_79:                             ;   in Loop: Header=BB124_53 Depth=1
	s_or_b64 exec, exec, s[38:39]
.LBB124_80:                             ;   in Loop: Header=BB124_53 Depth=1
	s_or_b64 exec, exec, s[36:37]
	v_lshl_add_u64 v[6:7], v[68:69], 0, v[66:67]
	v_lshl_add_u64 v[8:9], v[70:71], 0, v[66:67]
	global_load_dwordx2 v[6:7], v[6:7], off
	v_lshl_add_u64 v[10:11], v[38:39], 0, v[66:67]
	global_load_dwordx2 v[8:9], v[8:9], off
	;; [unrolled: 2-line block ×10, first 2 shown]
	v_lshl_add_u64 v[28:29], v[60:61], 0, v[66:67]
	v_lshl_add_u64 v[30:31], v[50:51], 0, v[66:67]
	;; [unrolled: 1-line block ×3, first 2 shown]
	global_load_dwordx2 v[34:35], v[26:27], off
	global_load_dwordx2 v[102:103], v[28:29], off
	;; [unrolled: 1-line block ×4, first 2 shown]
	v_lshl_add_u64 v[26:27], v[54:55], 0, v[66:67]
	v_lshl_add_u64 v[28:29], v[64:65], 0, v[66:67]
	global_load_dwordx2 v[30:31], v[26:27], off
	global_load_dwordx2 v[32:33], v[28:29], off
	s_waitcnt vmcnt(16)
	ds_bpermute_b32 v26, v109, v4
	ds_bpermute_b32 v27, v109, v5
	ds_bpermute_b32 v28, v109, v4 offset:4
	ds_bpermute_b32 v29, v109, v5 offset:4
	;; [unrolled: 1-line block ×14, first 2 shown]
	s_waitcnt vmcnt(14)
	v_mul_f64 v[6:7], v[6:7], v[8:9]
	s_waitcnt lgkmcnt(14)
	v_fmac_f64_e32 v[100:101], v[6:7], v[26:27]
	s_waitcnt vmcnt(12)
	v_mul_f64 v[8:9], v[10:11], v[12:13]
	s_waitcnt lgkmcnt(12)
	v_fmac_f64_e32 v[100:101], v[8:9], v[28:29]
	;; [unrolled: 4-line block ×8, first 2 shown]
	v_mov_b64_e32 v[104:105], v[100:101]
.LBB124_81:                             ;   in Loop: Header=BB124_53 Depth=1
	s_add_u32 s18, s18, s3
	s_addc_u32 s19, s19, 0
	v_mov_b64_e32 v[4:5], s[8:9]
	s_add_u32 s20, s20, s3
	v_cmp_ge_i64_e32 vcc, s[18:19], v[4:5]
	v_lshl_add_u64 v[68:69], v[68:69], 0, s[6:7]
	v_lshl_add_u64 v[70:71], v[70:71], 0, s[6:7]
	s_addc_u32 s21, s21, 0
	v_lshl_add_u64 v[38:39], v[38:39], 0, s[6:7]
	v_lshl_add_u64 v[40:41], v[40:41], 0, s[6:7]
	;; [unrolled: 1-line block ×28, first 2 shown]
	s_cbranch_vccnz .LBB124_83
; %bb.82:                               ;   in Loop: Header=BB124_53 Depth=1
	v_mov_b64_e32 v[100:101], v[104:105]
	s_branch .LBB124_53
.LBB124_83:
	v_and_b32_e32 v1, 0x3ff, v0
	v_bfe_u32 v4, v0, 10, 10
	s_movk_i32 s3, 0x41
	v_mad_u32_u24 v2, v4, s3, v1
	v_bfe_u32 v0, v0, 6, 4
	v_lshl_add_u32 v5, v2, 3, 0
	v_mov_b32_e32 v2, 0
	v_add_u32_e32 v0, v0, v4
	v_mov_b32_e32 v3, v2
	v_cmp_gt_u32_e32 vcc, 64, v0
	ds_write_b64 v5, v[104:105]
	ds_write_b64 v5, v[2:3] offset:4160
	s_waitcnt lgkmcnt(0)
	s_barrier
	s_and_saveexec_b64 s[4:5], vcc
	s_cbranch_execz .LBB124_123
; %bb.84:
	s_load_dwordx2 s[4:5], s[0:1], 0x30
	v_and_b32_e32 v2, 63, v1
	v_cmp_gt_u32_e32 vcc, 8, v2
	v_mul_u32_u24_e32 v6, 0x41, v2
                                        ; implicit-def: $vgpr2_vgpr3
	s_and_saveexec_b64 s[0:1], vcc
; %bb.85:
	v_lshlrev_b32_e32 v2, 3, v0
	v_lshlrev_b32_e32 v3, 3, v6
	v_add3_u32 v2, 0, v2, v3
	ds_read_b64 v[2:3], v2
; %bb.86:
	s_or_b64 exec, exec, s[0:1]
	v_mbcnt_lo_u32_b32 v4, -1, 0
	v_mbcnt_hi_u32_b32 v9, -1, v4
	v_and_b32_e32 v4, 64, v9
	v_add_u32_e32 v10, 64, v4
	v_xor_b32_e32 v4, 4, v9
	v_cmp_lt_i32_e64 s[0:1], v4, v10
	v_xor_b32_e32 v8, 2, v9
	s_mov_b32 s3, 0
	v_cndmask_b32_e64 v4, v9, v4, s[0:1]
	v_lshlrev_b32_e32 v7, 2, v4
	s_waitcnt lgkmcnt(0)
	ds_bpermute_b32 v4, v7, v2
	ds_bpermute_b32 v5, v7, v3
	v_cmp_lt_i32_e64 s[0:1], v8, v10
	s_lshl_b64 s[6:7], s[2:3], 6
	s_cmp_eq_u64 s[4:5], 0
	s_cselect_b64 s[8:9], -1, 0
	s_waitcnt lgkmcnt(0)
	v_add_f64 v[2:3], v[2:3], v[4:5]
	v_cndmask_b32_e64 v4, v9, v8, s[0:1]
	v_lshlrev_b32_e32 v8, 2, v4
	ds_bpermute_b32 v4, v8, v2
	ds_bpermute_b32 v5, v8, v3
	s_waitcnt lgkmcnt(0)
	v_add_f64 v[2:3], v[2:3], v[4:5]
	v_xor_b32_e32 v4, 1, v9
	v_cmp_lt_i32_e64 s[0:1], v4, v10
	s_nop 1
	v_cndmask_b32_e64 v4, v9, v4, s[0:1]
	v_lshlrev_b32_e32 v9, 2, v4
	ds_bpermute_b32 v4, v9, v2
	ds_bpermute_b32 v5, v9, v3
	v_cmp_ne_u32_e64 s[0:1], 0, v1
	s_waitcnt lgkmcnt(0)
	v_add_f64 v[2:3], v[2:3], v[4:5]
	v_or_b32_e32 v4, s6, v0
	v_mov_b32_e32 v5, s7
	v_cmp_le_i64_e64 s[2:3], s[10:11], v[4:5]
	s_or_b64 s[2:3], s[0:1], s[2:3]
	s_nor_b64 s[12:13], s[8:9], s[2:3]
	s_and_saveexec_b64 s[2:3], s[12:13]
	s_cbranch_execz .LBB124_88
; %bb.87:
	v_lshl_add_u64 v[4:5], v[4:5], 3, s[4:5]
	global_store_dwordx2 v[4:5], v[2:3], off
.LBB124_88:
	s_or_b64 exec, exec, s[2:3]
	v_cmp_gt_u32_e64 s[2:3], 56, v0
	s_and_b64 exec, exec, s[2:3]
	s_cbranch_execz .LBB124_123
; %bb.89:
	v_mov_b32_e32 v1, 0
	s_and_saveexec_b64 s[2:3], vcc
; %bb.90:
	v_lshlrev_b32_e32 v2, 3, v0
	v_lshlrev_b32_e32 v3, 3, v6
	v_add3_u32 v2, 0, v2, v3
	ds_read_b64 v[2:3], v2 offset:64
; %bb.91:
	s_or_b64 exec, exec, s[2:3]
	s_waitcnt lgkmcnt(0)
	ds_bpermute_b32 v4, v7, v2
	ds_bpermute_b32 v5, v7, v3
	v_add_u32_e32 v10, 8, v0
	v_mov_b32_e32 v11, v1
	v_lshl_add_u64 v[10:11], s[6:7], 0, v[10:11]
	v_cmp_le_i64_e64 s[2:3], s[10:11], v[10:11]
	s_waitcnt lgkmcnt(0)
	v_add_f64 v[2:3], v[2:3], v[4:5]
	ds_bpermute_b32 v4, v8, v2
	ds_bpermute_b32 v5, v8, v3
	s_or_b64 s[2:3], s[0:1], s[2:3]
	s_nor_b64 s[12:13], s[8:9], s[2:3]
	s_waitcnt lgkmcnt(0)
	v_add_f64 v[2:3], v[2:3], v[4:5]
	ds_bpermute_b32 v4, v9, v2
	ds_bpermute_b32 v5, v9, v3
	s_waitcnt lgkmcnt(0)
	v_add_f64 v[2:3], v[2:3], v[4:5]
	s_and_saveexec_b64 s[2:3], s[12:13]
	s_cbranch_execz .LBB124_93
; %bb.92:
	v_lshl_add_u64 v[4:5], s[6:7], 0, v[0:1]
	v_lshl_add_u64 v[4:5], v[4:5], 3, s[4:5]
	global_store_dwordx2 v[4:5], v[2:3], off offset:64
.LBB124_93:
	s_or_b64 exec, exec, s[2:3]
	v_cmp_gt_u32_e64 s[2:3], 48, v0
	s_and_b64 exec, exec, s[2:3]
	s_cbranch_execz .LBB124_123
; %bb.94:
	s_and_saveexec_b64 s[2:3], vcc
; %bb.95:
	v_lshlrev_b32_e32 v2, 3, v0
	v_lshlrev_b32_e32 v3, 3, v6
	v_add3_u32 v2, 0, v2, v3
	ds_read_b64 v[2:3], v2 offset:128
; %bb.96:
	s_or_b64 exec, exec, s[2:3]
	s_waitcnt lgkmcnt(0)
	ds_bpermute_b32 v4, v7, v2
	ds_bpermute_b32 v5, v7, v3
	v_add_u32_e32 v10, 16, v0
	v_mov_b32_e32 v11, 0
	v_lshl_add_u64 v[10:11], s[6:7], 0, v[10:11]
	v_cmp_le_i64_e64 s[2:3], s[10:11], v[10:11]
	s_waitcnt lgkmcnt(0)
	v_add_f64 v[2:3], v[2:3], v[4:5]
	ds_bpermute_b32 v4, v8, v2
	ds_bpermute_b32 v5, v8, v3
	s_or_b64 s[2:3], s[0:1], s[2:3]
	s_nor_b64 s[12:13], s[8:9], s[2:3]
	s_waitcnt lgkmcnt(0)
	v_add_f64 v[2:3], v[2:3], v[4:5]
	ds_bpermute_b32 v4, v9, v2
	ds_bpermute_b32 v5, v9, v3
	s_waitcnt lgkmcnt(0)
	v_add_f64 v[2:3], v[2:3], v[4:5]
	s_and_saveexec_b64 s[2:3], s[12:13]
	s_cbranch_execz .LBB124_98
; %bb.97:
	v_lshl_add_u64 v[4:5], s[6:7], 0, v[0:1]
	v_lshl_add_u64 v[4:5], v[4:5], 3, s[4:5]
	global_store_dwordx2 v[4:5], v[2:3], off offset:128
.LBB124_98:
	s_or_b64 exec, exec, s[2:3]
	v_cmp_gt_u32_e64 s[2:3], 40, v0
	s_and_b64 exec, exec, s[2:3]
	s_cbranch_execz .LBB124_123
; %bb.99:
	;; [unrolled: 39-line block ×3, first 2 shown]
	s_and_saveexec_b64 s[2:3], vcc
; %bb.105:
	v_lshlrev_b32_e32 v2, 3, v0
	v_lshlrev_b32_e32 v3, 3, v6
	v_add3_u32 v2, 0, v2, v3
	ds_read_b64 v[2:3], v2 offset:256
; %bb.106:
	s_or_b64 exec, exec, s[2:3]
	s_waitcnt lgkmcnt(0)
	ds_bpermute_b32 v4, v7, v2
	ds_bpermute_b32 v5, v7, v3
	v_add_u32_e32 v10, 32, v0
	v_mov_b32_e32 v11, s7
	v_or_b32_e32 v10, s6, v10
	v_cmp_le_i64_e64 s[2:3], s[10:11], v[10:11]
	s_waitcnt lgkmcnt(0)
	v_add_f64 v[2:3], v[2:3], v[4:5]
	ds_bpermute_b32 v4, v8, v2
	ds_bpermute_b32 v5, v8, v3
	s_or_b64 s[2:3], s[0:1], s[2:3]
	s_nor_b64 s[12:13], s[8:9], s[2:3]
	s_waitcnt lgkmcnt(0)
	v_add_f64 v[2:3], v[2:3], v[4:5]
	ds_bpermute_b32 v4, v9, v2
	ds_bpermute_b32 v5, v9, v3
	s_waitcnt lgkmcnt(0)
	v_add_f64 v[2:3], v[2:3], v[4:5]
	s_and_saveexec_b64 s[2:3], s[12:13]
	s_cbranch_execz .LBB124_108
; %bb.107:
	v_lshl_add_u64 v[4:5], s[6:7], 0, v[0:1]
	v_lshl_add_u64 v[4:5], v[4:5], 3, s[4:5]
	global_store_dwordx2 v[4:5], v[2:3], off offset:256
.LBB124_108:
	s_or_b64 exec, exec, s[2:3]
	v_cmp_gt_u32_e64 s[2:3], 24, v0
	s_and_b64 exec, exec, s[2:3]
	s_cbranch_execz .LBB124_123
; %bb.109:
	s_and_saveexec_b64 s[2:3], vcc
; %bb.110:
	v_lshlrev_b32_e32 v2, 3, v0
	v_lshlrev_b32_e32 v3, 3, v6
	v_add3_u32 v2, 0, v2, v3
	ds_read_b64 v[2:3], v2 offset:320
; %bb.111:
	s_or_b64 exec, exec, s[2:3]
	s_waitcnt lgkmcnt(0)
	ds_bpermute_b32 v4, v7, v2
	ds_bpermute_b32 v5, v7, v3
	v_add_u32_e32 v10, 40, v0
	v_mov_b32_e32 v11, 0
	v_lshl_add_u64 v[10:11], s[6:7], 0, v[10:11]
	v_cmp_le_i64_e64 s[2:3], s[10:11], v[10:11]
	s_waitcnt lgkmcnt(0)
	v_add_f64 v[2:3], v[2:3], v[4:5]
	ds_bpermute_b32 v4, v8, v2
	ds_bpermute_b32 v5, v8, v3
	s_or_b64 s[2:3], s[0:1], s[2:3]
	s_nor_b64 s[12:13], s[8:9], s[2:3]
	s_waitcnt lgkmcnt(0)
	v_add_f64 v[2:3], v[2:3], v[4:5]
	ds_bpermute_b32 v4, v9, v2
	ds_bpermute_b32 v5, v9, v3
	s_waitcnt lgkmcnt(0)
	v_add_f64 v[2:3], v[2:3], v[4:5]
	s_and_saveexec_b64 s[2:3], s[12:13]
	s_cbranch_execz .LBB124_113
; %bb.112:
	v_lshl_add_u64 v[4:5], s[6:7], 0, v[0:1]
	v_lshl_add_u64 v[4:5], v[4:5], 3, s[4:5]
	global_store_dwordx2 v[4:5], v[2:3], off offset:320
.LBB124_113:
	s_or_b64 exec, exec, s[2:3]
	v_cmp_gt_u32_e64 s[2:3], 16, v0
	s_and_b64 exec, exec, s[2:3]
	s_cbranch_execz .LBB124_123
; %bb.114:
	s_and_saveexec_b64 s[2:3], vcc
; %bb.115:
	v_lshlrev_b32_e32 v2, 3, v0
	v_lshlrev_b32_e32 v3, 3, v6
	v_add3_u32 v2, 0, v2, v3
	ds_read_b64 v[2:3], v2 offset:384
; %bb.116:
	s_or_b64 exec, exec, s[2:3]
	s_waitcnt lgkmcnt(0)
	ds_bpermute_b32 v4, v7, v2
	ds_bpermute_b32 v5, v7, v3
	v_add_u32_e32 v10, 48, v0
	v_mov_b32_e32 v11, s7
	v_or_b32_e32 v10, s6, v10
	v_cmp_le_i64_e64 s[2:3], s[10:11], v[10:11]
	s_waitcnt lgkmcnt(0)
	v_add_f64 v[2:3], v[2:3], v[4:5]
	ds_bpermute_b32 v4, v8, v2
	ds_bpermute_b32 v5, v8, v3
	s_or_b64 s[2:3], s[0:1], s[2:3]
	s_nor_b64 s[12:13], s[8:9], s[2:3]
	s_waitcnt lgkmcnt(0)
	v_add_f64 v[2:3], v[2:3], v[4:5]
	ds_bpermute_b32 v4, v9, v2
	ds_bpermute_b32 v5, v9, v3
	s_waitcnt lgkmcnt(0)
	v_add_f64 v[2:3], v[2:3], v[4:5]
	s_and_saveexec_b64 s[2:3], s[12:13]
	s_cbranch_execz .LBB124_118
; %bb.117:
	v_lshl_add_u64 v[4:5], s[6:7], 0, v[0:1]
	v_lshl_add_u64 v[4:5], v[4:5], 3, s[4:5]
	global_store_dwordx2 v[4:5], v[2:3], off offset:384
.LBB124_118:
	s_or_b64 exec, exec, s[2:3]
	v_cmp_gt_u32_e64 s[2:3], 8, v0
	s_and_b64 exec, exec, s[2:3]
	s_cbranch_execz .LBB124_123
; %bb.119:
	s_and_saveexec_b64 s[2:3], vcc
; %bb.120:
	v_lshlrev_b32_e32 v2, 3, v0
	v_lshlrev_b32_e32 v3, 3, v6
	v_add3_u32 v2, 0, v2, v3
	ds_read_b64 v[2:3], v2 offset:448
; %bb.121:
	s_or_b64 exec, exec, s[2:3]
	s_waitcnt lgkmcnt(0)
	ds_bpermute_b32 v4, v7, v2
	ds_bpermute_b32 v5, v7, v3
	v_add_u32_e32 v6, 56, v0
	v_or_b32_e32 v6, s6, v6
	v_mov_b32_e32 v7, s7
	v_cmp_le_i64_e32 vcc, s[10:11], v[6:7]
	s_waitcnt lgkmcnt(0)
	v_add_f64 v[2:3], v[2:3], v[4:5]
	ds_bpermute_b32 v4, v8, v2
	ds_bpermute_b32 v5, v8, v3
	s_or_b64 s[0:1], s[0:1], vcc
	s_nor_b64 s[0:1], s[8:9], s[0:1]
	s_waitcnt lgkmcnt(0)
	v_add_f64 v[2:3], v[2:3], v[4:5]
	ds_bpermute_b32 v4, v9, v2
	ds_bpermute_b32 v5, v9, v3
	s_and_saveexec_b64 s[2:3], s[0:1]
	s_xor_b64 s[2:3], exec, s[2:3]
	s_cbranch_execz .LBB124_123
; %bb.122:
	v_lshl_add_u64 v[0:1], s[6:7], 0, v[0:1]
	s_waitcnt lgkmcnt(0)
	v_add_f64 v[2:3], v[2:3], v[4:5]
	v_lshl_add_u64 v[0:1], v[0:1], 3, s[4:5]
	global_store_dwordx2 v[0:1], v[2:3], off offset:448
.LBB124_123:
	s_endpgm
	.section	.rodata,"a",@progbits
	.p2align	6, 0x0
	.amdhsa_kernel _ZN2at6native12_GLOBAL__N_135GammaBetaBackwardCUDAKernelTemplateIddLj64ELj8ELj64ELb0ELb0ELb1EEEvllPKT_S5_PKT0_S8_PS3_S9_
		.amdhsa_group_segment_fixed_size 0
		.amdhsa_private_segment_fixed_size 0
		.amdhsa_kernarg_size 320
		.amdhsa_user_sgpr_count 2
		.amdhsa_user_sgpr_dispatch_ptr 0
		.amdhsa_user_sgpr_queue_ptr 0
		.amdhsa_user_sgpr_kernarg_segment_ptr 1
		.amdhsa_user_sgpr_dispatch_id 0
		.amdhsa_user_sgpr_kernarg_preload_length 0
		.amdhsa_user_sgpr_kernarg_preload_offset 0
		.amdhsa_user_sgpr_private_segment_size 0
		.amdhsa_uses_dynamic_stack 0
		.amdhsa_enable_private_segment 0
		.amdhsa_system_sgpr_workgroup_id_x 1
		.amdhsa_system_sgpr_workgroup_id_y 1
		.amdhsa_system_sgpr_workgroup_id_z 0
		.amdhsa_system_sgpr_workgroup_info 0
		.amdhsa_system_vgpr_workitem_id 1
		.amdhsa_next_free_vgpr 120
		.amdhsa_next_free_sgpr 50
		.amdhsa_accum_offset 120
		.amdhsa_reserve_vcc 1
		.amdhsa_float_round_mode_32 0
		.amdhsa_float_round_mode_16_64 0
		.amdhsa_float_denorm_mode_32 3
		.amdhsa_float_denorm_mode_16_64 3
		.amdhsa_dx10_clamp 1
		.amdhsa_ieee_mode 1
		.amdhsa_fp16_overflow 0
		.amdhsa_tg_split 0
		.amdhsa_exception_fp_ieee_invalid_op 0
		.amdhsa_exception_fp_denorm_src 0
		.amdhsa_exception_fp_ieee_div_zero 0
		.amdhsa_exception_fp_ieee_overflow 0
		.amdhsa_exception_fp_ieee_underflow 0
		.amdhsa_exception_fp_ieee_inexact 0
		.amdhsa_exception_int_div_zero 0
	.end_amdhsa_kernel
	.section	.text._ZN2at6native12_GLOBAL__N_135GammaBetaBackwardCUDAKernelTemplateIddLj64ELj8ELj64ELb0ELb0ELb1EEEvllPKT_S5_PKT0_S8_PS3_S9_,"axG",@progbits,_ZN2at6native12_GLOBAL__N_135GammaBetaBackwardCUDAKernelTemplateIddLj64ELj8ELj64ELb0ELb0ELb1EEEvllPKT_S5_PKT0_S8_PS3_S9_,comdat
.Lfunc_end124:
	.size	_ZN2at6native12_GLOBAL__N_135GammaBetaBackwardCUDAKernelTemplateIddLj64ELj8ELj64ELb0ELb0ELb1EEEvllPKT_S5_PKT0_S8_PS3_S9_, .Lfunc_end124-_ZN2at6native12_GLOBAL__N_135GammaBetaBackwardCUDAKernelTemplateIddLj64ELj8ELj64ELb0ELb0ELb1EEEvllPKT_S5_PKT0_S8_PS3_S9_
                                        ; -- End function
	.set _ZN2at6native12_GLOBAL__N_135GammaBetaBackwardCUDAKernelTemplateIddLj64ELj8ELj64ELb0ELb0ELb1EEEvllPKT_S5_PKT0_S8_PS3_S9_.num_vgpr, 120
	.set _ZN2at6native12_GLOBAL__N_135GammaBetaBackwardCUDAKernelTemplateIddLj64ELj8ELj64ELb0ELb0ELb1EEEvllPKT_S5_PKT0_S8_PS3_S9_.num_agpr, 0
	.set _ZN2at6native12_GLOBAL__N_135GammaBetaBackwardCUDAKernelTemplateIddLj64ELj8ELj64ELb0ELb0ELb1EEEvllPKT_S5_PKT0_S8_PS3_S9_.numbered_sgpr, 50
	.set _ZN2at6native12_GLOBAL__N_135GammaBetaBackwardCUDAKernelTemplateIddLj64ELj8ELj64ELb0ELb0ELb1EEEvllPKT_S5_PKT0_S8_PS3_S9_.num_named_barrier, 0
	.set _ZN2at6native12_GLOBAL__N_135GammaBetaBackwardCUDAKernelTemplateIddLj64ELj8ELj64ELb0ELb0ELb1EEEvllPKT_S5_PKT0_S8_PS3_S9_.private_seg_size, 0
	.set _ZN2at6native12_GLOBAL__N_135GammaBetaBackwardCUDAKernelTemplateIddLj64ELj8ELj64ELb0ELb0ELb1EEEvllPKT_S5_PKT0_S8_PS3_S9_.uses_vcc, 1
	.set _ZN2at6native12_GLOBAL__N_135GammaBetaBackwardCUDAKernelTemplateIddLj64ELj8ELj64ELb0ELb0ELb1EEEvllPKT_S5_PKT0_S8_PS3_S9_.uses_flat_scratch, 0
	.set _ZN2at6native12_GLOBAL__N_135GammaBetaBackwardCUDAKernelTemplateIddLj64ELj8ELj64ELb0ELb0ELb1EEEvllPKT_S5_PKT0_S8_PS3_S9_.has_dyn_sized_stack, 0
	.set _ZN2at6native12_GLOBAL__N_135GammaBetaBackwardCUDAKernelTemplateIddLj64ELj8ELj64ELb0ELb0ELb1EEEvllPKT_S5_PKT0_S8_PS3_S9_.has_recursion, 0
	.set _ZN2at6native12_GLOBAL__N_135GammaBetaBackwardCUDAKernelTemplateIddLj64ELj8ELj64ELb0ELb0ELb1EEEvllPKT_S5_PKT0_S8_PS3_S9_.has_indirect_call, 0
	.section	.AMDGPU.csdata,"",@progbits
; Kernel info:
; codeLenInByte = 8220
; TotalNumSgprs: 56
; NumVgprs: 120
; NumAgprs: 0
; TotalNumVgprs: 120
; ScratchSize: 0
; MemoryBound: 1
; FloatMode: 240
; IeeeMode: 1
; LDSByteSize: 0 bytes/workgroup (compile time only)
; SGPRBlocks: 6
; VGPRBlocks: 14
; NumSGPRsForWavesPerEU: 56
; NumVGPRsForWavesPerEU: 120
; AccumOffset: 120
; Occupancy: 4
; WaveLimiterHint : 0
; COMPUTE_PGM_RSRC2:SCRATCH_EN: 0
; COMPUTE_PGM_RSRC2:USER_SGPR: 2
; COMPUTE_PGM_RSRC2:TRAP_HANDLER: 0
; COMPUTE_PGM_RSRC2:TGID_X_EN: 1
; COMPUTE_PGM_RSRC2:TGID_Y_EN: 1
; COMPUTE_PGM_RSRC2:TGID_Z_EN: 0
; COMPUTE_PGM_RSRC2:TIDIG_COMP_CNT: 1
; COMPUTE_PGM_RSRC3_GFX90A:ACCUM_OFFSET: 29
; COMPUTE_PGM_RSRC3_GFX90A:TG_SPLIT: 0
	.section	.text._ZN2at6native12_GLOBAL__N_135GammaBetaBackwardCUDAKernelTemplateIddLj64ELj16ELj128ELb0ELb1ELb1EEEvllPKT_S5_PKT0_S8_PS3_S9_,"axG",@progbits,_ZN2at6native12_GLOBAL__N_135GammaBetaBackwardCUDAKernelTemplateIddLj64ELj16ELj128ELb0ELb1ELb1EEEvllPKT_S5_PKT0_S8_PS3_S9_,comdat
	.globl	_ZN2at6native12_GLOBAL__N_135GammaBetaBackwardCUDAKernelTemplateIddLj64ELj16ELj128ELb0ELb1ELb1EEEvllPKT_S5_PKT0_S8_PS3_S9_ ; -- Begin function _ZN2at6native12_GLOBAL__N_135GammaBetaBackwardCUDAKernelTemplateIddLj64ELj16ELj128ELb0ELb1ELb1EEEvllPKT_S5_PKT0_S8_PS3_S9_
	.p2align	8
	.type	_ZN2at6native12_GLOBAL__N_135GammaBetaBackwardCUDAKernelTemplateIddLj64ELj16ELj128ELb0ELb1ELb1EEEvllPKT_S5_PKT0_S8_PS3_S9_,@function
_ZN2at6native12_GLOBAL__N_135GammaBetaBackwardCUDAKernelTemplateIddLj64ELj16ELj128ELb0ELb1ELb1EEEvllPKT_S5_PKT0_S8_PS3_S9_: ; @_ZN2at6native12_GLOBAL__N_135GammaBetaBackwardCUDAKernelTemplateIddLj64ELj16ELj128ELb0ELb1ELb1EEEvllPKT_S5_PKT0_S8_PS3_S9_
; %bb.0:
	s_load_dwordx4 s[4:7], s[0:1], 0x0
	s_lshl_b32 s14, s3, 7
	s_mov_b32 s15, 0
	v_mov_b64_e32 v[2:3], s[14:15]
	v_bfe_u32 v14, v0, 10, 10
	s_waitcnt lgkmcnt(0)
	v_cmp_gt_i64_e32 vcc, s[4:5], v[2:3]
	s_cbranch_vccnz .LBB125_2
; %bb.1:
	s_mov_b64 s[8:9], 0
	v_bfe_u32 v2, v0, 10, 10
	s_branch .LBB125_3
.LBB125_2:
	s_mov_b64 s[8:9], -1
                                        ; implicit-def: $vgpr2
.LBB125_3:
	s_load_dwordx2 s[12:13], s[0:1], 0x30
	v_and_b32_e32 v12, 0x3ff, v0
	v_mov_b64_e32 v[0:1], 0
	s_andn2_b64 vcc, exec, s[8:9]
	v_mbcnt_lo_u32_b32 v13, -1, 0
	s_cbranch_vccnz .LBB125_11
; %bb.4:
	s_load_dword s3, s[0:1], 0x4c
	s_load_dword s16, s[0:1], 0x44
	s_load_dwordx2 s[18:19], s[0:1], 0x28
	s_load_dwordx4 s[8:11], s[0:1], 0x10
	v_lshlrev_b32_e32 v0, 3, v14
	s_waitcnt lgkmcnt(0)
	s_and_b32 s0, s3, 0xffff
	v_mad_u32_u24 v1, v14, s0, v12
	v_and_b32_e32 v2, 63, v1
	v_mov_b32_e32 v1, 0
	v_mov_b32_e32 v3, v1
	v_mov_b32_e32 v7, v1
	v_lshl_add_u64 v[0:1], v[0:1], 0, s[14:15]
	v_cmp_gt_u32_e64 s[0:1], 8, v2
	v_mbcnt_hi_u32_b32 v4, -1, v13
	s_lshl_b32 s16, s16, 7
	v_lshl_add_u64 v[2:3], v[0:1], 0, v[2:3]
	v_mul_lo_u32 v8, s7, v0
	v_mul_lo_u32 v9, s6, v1
	v_mad_u64_u32 v[0:1], s[20:21], s6, v0, 0
	v_lshl_add_u32 v6, s2, 6, v12
	v_lshlrev_b32_e32 v4, 2, v4
	s_mul_i32 s3, s7, s16
	s_mul_hi_u32 s20, s6, s16
	s_mov_b32 s17, 0
	v_and_b32_e32 v15, 0x100, v4
	v_add3_u32 v1, v1, v9, v8
	v_lshlrev_b64 v[6:7], 3, v[6:7]
	s_add_i32 s21, s20, s3
	s_mul_i32 s20, s6, s16
	v_or_b32_e32 v16, 4, v15
	v_or_b32_e32 v17, 8, v15
	;; [unrolled: 1-line block ×7, first 2 shown]
	v_lshl_add_u64 v[4:5], v[2:3], 3, s[18:19]
	s_lshl_b64 s[18:19], s[16:17], 3
	v_lshl_add_u64 v[6:7], v[0:1], 3, v[6:7]
	s_lshl_b64 s[20:21], s[20:21], 3
	s_lshl_b64 s[6:7], s[6:7], 3
	v_mov_b64_e32 v[0:1], 0
	v_mov_b64_e32 v[8:9], s[4:5]
	s_branch .LBB125_7
.LBB125_5:                              ;   in Loop: Header=BB125_7 Depth=1
	s_or_b64 exec, exec, s[24:25]
.LBB125_6:                              ;   in Loop: Header=BB125_7 Depth=1
	s_or_b64 exec, exec, s[22:23]
	v_lshl_add_u64 v[24:25], s[8:9], 0, v[6:7]
	v_lshl_add_u64 v[28:29], s[10:11], 0, v[6:7]
	global_load_dwordx2 v[26:27], v[24:25], off
	global_load_dwordx2 v[30:31], v[28:29], off
	v_lshl_add_u64 v[24:25], v[24:25], 0, s[6:7]
	v_lshl_add_u64 v[28:29], v[28:29], 0, s[6:7]
	global_load_dwordx2 v[32:33], v[24:25], off
	global_load_dwordx2 v[34:35], v[28:29], off
	;; [unrolled: 4-line block ×7, first 2 shown]
	v_lshl_add_u64 v[24:25], v[24:25], 0, s[6:7]
	v_lshl_add_u64 v[28:29], v[28:29], 0, s[6:7]
	global_load_dwordx2 v[24:25], v[24:25], off
	s_waitcnt vmcnt(15)
	ds_bpermute_b32 v56, v15, v10
	global_load_dwordx2 v[28:29], v[28:29], off
	ds_bpermute_b32 v57, v15, v11
	s_add_u32 s14, s14, s16
	s_addc_u32 s15, s15, 0
	v_cmp_lt_i64_e32 vcc, s[14:15], v[8:9]
	v_lshl_add_u64 v[4:5], v[4:5], 0, s[18:19]
	v_lshl_add_u64 v[2:3], v[2:3], 0, s[16:17]
	;; [unrolled: 1-line block ×3, first 2 shown]
	s_and_b64 vcc, exec, vcc
	s_waitcnt vmcnt(14)
	v_mul_f64 v[26:27], v[26:27], v[30:31]
	s_waitcnt lgkmcnt(0)
	v_fmac_f64_e32 v[0:1], v[26:27], v[56:57]
	ds_bpermute_b32 v26, v16, v10
	ds_bpermute_b32 v27, v16, v11
	s_waitcnt vmcnt(12)
	v_mul_f64 v[30:31], v[32:33], v[34:35]
	s_waitcnt lgkmcnt(0)
	v_fmac_f64_e32 v[0:1], v[30:31], v[26:27]
	ds_bpermute_b32 v26, v17, v10
	ds_bpermute_b32 v27, v17, v11
	;; [unrolled: 6-line block ×5, first 2 shown]
	s_waitcnt vmcnt(4)
	v_mul_f64 v[30:31], v[48:49], v[50:51]
	s_waitcnt vmcnt(0)
	v_mul_f64 v[24:25], v[24:25], v[28:29]
	s_waitcnt lgkmcnt(0)
	v_fmac_f64_e32 v[0:1], v[30:31], v[26:27]
	ds_bpermute_b32 v26, v21, v10
	ds_bpermute_b32 v27, v21, v11
	;; [unrolled: 1-line block ×4, first 2 shown]
	v_mul_f64 v[30:31], v[52:53], v[54:55]
	s_waitcnt lgkmcnt(2)
	v_fmac_f64_e32 v[0:1], v[30:31], v[26:27]
	s_waitcnt lgkmcnt(0)
	v_fmac_f64_e32 v[0:1], v[24:25], v[10:11]
	s_cbranch_vccz .LBB125_10
.LBB125_7:                              ; =>This Inner Loop Header: Depth=1
	v_mov_b64_e32 v[10:11], 0
	s_and_saveexec_b64 s[22:23], s[0:1]
	s_cbranch_execz .LBB125_6
; %bb.8:                                ;   in Loop: Header=BB125_7 Depth=1
	v_cmp_gt_i64_e32 vcc, s[4:5], v[2:3]
	v_mov_b64_e32 v[10:11], 0
	s_and_saveexec_b64 s[24:25], vcc
	s_cbranch_execz .LBB125_5
; %bb.9:                                ;   in Loop: Header=BB125_7 Depth=1
	global_load_dwordx2 v[10:11], v[4:5], off
	s_branch .LBB125_5
.LBB125_10:
	v_mov_b32_e32 v2, v14
.LBB125_11:
	s_movk_i32 s0, 0x41
	v_mad_u32_u24 v3, v2, s0, v12
	v_lshl_add_u32 v3, v3, 3, 0
	ds_write_b64 v3, v[0:1]
	v_mov_b32_e32 v0, 0
	v_mov_b32_e32 v1, v0
	ds_write_b64 v3, v[0:1] offset:8320
	v_lshrrev_b32_e32 v0, 6, v12
	v_add_u32_e32 v0, v0, v2
	v_cmp_gt_u32_e32 vcc, 64, v0
	s_waitcnt lgkmcnt(0)
	s_barrier
	s_and_saveexec_b64 s[0:1], vcc
	s_cbranch_execz .LBB125_31
; %bb.12:
	v_and_b32_e32 v1, 63, v12
	v_cmp_gt_u32_e32 vcc, 16, v1
	v_mul_u32_u24_e32 v4, 0x41, v1
                                        ; implicit-def: $vgpr2_vgpr3
	s_and_saveexec_b64 s[0:1], vcc
; %bb.13:
	v_lshlrev_b32_e32 v1, 3, v0
	v_lshlrev_b32_e32 v2, 3, v4
	v_add3_u32 v1, 0, v1, v2
	ds_read_b64 v[2:3], v1
; %bb.14:
	s_or_b64 exec, exec, s[0:1]
	v_mbcnt_hi_u32_b32 v1, -1, v13
	v_and_b32_e32 v5, 64, v1
	v_add_u32_e32 v10, 64, v5
	v_xor_b32_e32 v5, 8, v1
	v_cmp_lt_i32_e64 s[0:1], v5, v10
	v_xor_b32_e32 v8, 4, v1
	s_cmp_lg_u64 s[12:13], 0
	v_cndmask_b32_e64 v5, v1, v5, s[0:1]
	v_lshlrev_b32_e32 v5, 2, v5
	s_waitcnt lgkmcnt(0)
	ds_bpermute_b32 v6, v5, v2
	ds_bpermute_b32 v7, v5, v3
	v_cmp_lt_i32_e64 s[0:1], v8, v10
	s_mov_b32 s3, 0
	s_cselect_b64 s[6:7], -1, 0
	s_waitcnt lgkmcnt(0)
	v_add_f64 v[2:3], v[2:3], v[6:7]
	v_cndmask_b32_e64 v6, v1, v8, s[0:1]
	v_lshlrev_b32_e32 v6, 2, v6
	ds_bpermute_b32 v8, v6, v2
	ds_bpermute_b32 v9, v6, v3
	v_xor_b32_e32 v7, 2, v1
	v_cmp_lt_i32_e64 s[0:1], v7, v10
	s_waitcnt lgkmcnt(0)
	v_add_f64 v[2:3], v[2:3], v[8:9]
	v_cndmask_b32_e64 v7, v1, v7, s[0:1]
	v_lshlrev_b32_e32 v7, 2, v7
	ds_bpermute_b32 v8, v7, v2
	ds_bpermute_b32 v9, v7, v3
	v_cmp_eq_u32_e64 s[0:1], 0, v12
	s_waitcnt lgkmcnt(0)
	v_add_f64 v[2:3], v[2:3], v[8:9]
	v_xor_b32_e32 v8, 1, v1
	v_cmp_lt_i32_e64 s[4:5], v8, v10
	s_nop 1
	v_cndmask_b32_e64 v1, v1, v8, s[4:5]
	v_lshlrev_b32_e32 v8, 2, v1
	ds_bpermute_b32 v10, v8, v2
	ds_bpermute_b32 v11, v8, v3
	s_and_b64 s[4:5], s[0:1], s[6:7]
	s_lshl_b64 s[0:1], s[2:3], 9
	s_add_u32 s2, s12, s0
	s_addc_u32 s3, s13, s1
	s_waitcnt lgkmcnt(0)
	v_add_f64 v[2:3], v[2:3], v[10:11]
	s_and_saveexec_b64 s[0:1], s[4:5]
	s_cbranch_execz .LBB125_16
; %bb.15:
	v_mov_b32_e32 v1, 0
	v_lshl_add_u64 v[10:11], v[0:1], 3, s[2:3]
	global_store_dwordx2 v[10:11], v[2:3], off
.LBB125_16:
	s_or_b64 exec, exec, s[0:1]
	v_cmp_gt_u32_e64 s[0:1], 48, v0
	s_and_b64 exec, exec, s[0:1]
	s_cbranch_execz .LBB125_31
; %bb.17:
	s_and_saveexec_b64 s[0:1], vcc
; %bb.18:
	v_lshlrev_b32_e32 v1, 3, v0
	v_lshlrev_b32_e32 v2, 3, v4
	v_add3_u32 v1, 0, v1, v2
	ds_read_b64 v[2:3], v1 offset:128
; %bb.19:
	s_or_b64 exec, exec, s[0:1]
	s_waitcnt lgkmcnt(0)
	ds_bpermute_b32 v10, v5, v2
	ds_bpermute_b32 v11, v5, v3
	s_waitcnt lgkmcnt(0)
	v_add_f64 v[2:3], v[2:3], v[10:11]
	ds_bpermute_b32 v10, v6, v2
	ds_bpermute_b32 v11, v6, v3
	s_waitcnt lgkmcnt(0)
	v_add_f64 v[2:3], v[2:3], v[10:11]
	;; [unrolled: 4-line block ×4, first 2 shown]
	s_and_saveexec_b64 s[0:1], s[4:5]
	s_cbranch_execz .LBB125_21
; %bb.20:
	v_mov_b32_e32 v1, 0
	v_lshl_add_u64 v[10:11], v[0:1], 3, s[2:3]
	global_store_dwordx2 v[10:11], v[2:3], off offset:128
.LBB125_21:
	s_or_b64 exec, exec, s[0:1]
	v_cmp_gt_u32_e64 s[0:1], 32, v0
	s_and_b64 exec, exec, s[0:1]
	s_cbranch_execz .LBB125_31
; %bb.22:
	s_and_saveexec_b64 s[0:1], vcc
; %bb.23:
	v_lshlrev_b32_e32 v1, 3, v0
	v_lshlrev_b32_e32 v2, 3, v4
	v_add3_u32 v1, 0, v1, v2
	ds_read_b64 v[2:3], v1 offset:256
; %bb.24:
	s_or_b64 exec, exec, s[0:1]
	s_waitcnt lgkmcnt(0)
	ds_bpermute_b32 v10, v5, v2
	ds_bpermute_b32 v11, v5, v3
	s_waitcnt lgkmcnt(0)
	v_add_f64 v[2:3], v[2:3], v[10:11]
	ds_bpermute_b32 v10, v6, v2
	ds_bpermute_b32 v11, v6, v3
	s_waitcnt lgkmcnt(0)
	v_add_f64 v[2:3], v[2:3], v[10:11]
	;; [unrolled: 4-line block ×4, first 2 shown]
	s_and_saveexec_b64 s[0:1], s[4:5]
	s_cbranch_execz .LBB125_26
; %bb.25:
	v_mov_b32_e32 v1, 0
	v_lshl_add_u64 v[10:11], v[0:1], 3, s[2:3]
	global_store_dwordx2 v[10:11], v[2:3], off offset:256
.LBB125_26:
	s_or_b64 exec, exec, s[0:1]
	v_cmp_gt_u32_e64 s[0:1], 16, v0
	s_and_b64 exec, exec, s[0:1]
	s_cbranch_execz .LBB125_31
; %bb.27:
	s_and_saveexec_b64 s[0:1], vcc
; %bb.28:
	v_lshlrev_b32_e32 v1, 3, v0
	v_lshlrev_b32_e32 v2, 3, v4
	v_add3_u32 v1, 0, v1, v2
	ds_read_b64 v[2:3], v1 offset:384
; %bb.29:
	s_or_b64 exec, exec, s[0:1]
	s_waitcnt lgkmcnt(0)
	ds_bpermute_b32 v4, v5, v2
	ds_bpermute_b32 v5, v5, v3
	s_waitcnt lgkmcnt(0)
	v_add_f64 v[2:3], v[2:3], v[4:5]
	ds_bpermute_b32 v4, v6, v2
	ds_bpermute_b32 v5, v6, v3
	s_waitcnt lgkmcnt(0)
	v_add_f64 v[2:3], v[2:3], v[4:5]
	;; [unrolled: 4-line block ×3, first 2 shown]
	ds_bpermute_b32 v4, v8, v2
	ds_bpermute_b32 v5, v8, v3
	s_and_saveexec_b64 s[0:1], s[4:5]
	s_xor_b64 s[0:1], exec, s[0:1]
	s_cbranch_execz .LBB125_31
; %bb.30:
	v_mov_b32_e32 v1, 0
	s_waitcnt lgkmcnt(0)
	v_add_f64 v[2:3], v[2:3], v[4:5]
	v_lshl_add_u64 v[0:1], v[0:1], 3, s[2:3]
	global_store_dwordx2 v[0:1], v[2:3], off offset:384
.LBB125_31:
	s_endpgm
	.section	.rodata,"a",@progbits
	.p2align	6, 0x0
	.amdhsa_kernel _ZN2at6native12_GLOBAL__N_135GammaBetaBackwardCUDAKernelTemplateIddLj64ELj16ELj128ELb0ELb1ELb1EEEvllPKT_S5_PKT0_S8_PS3_S9_
		.amdhsa_group_segment_fixed_size 0
		.amdhsa_private_segment_fixed_size 0
		.amdhsa_kernarg_size 320
		.amdhsa_user_sgpr_count 2
		.amdhsa_user_sgpr_dispatch_ptr 0
		.amdhsa_user_sgpr_queue_ptr 0
		.amdhsa_user_sgpr_kernarg_segment_ptr 1
		.amdhsa_user_sgpr_dispatch_id 0
		.amdhsa_user_sgpr_kernarg_preload_length 0
		.amdhsa_user_sgpr_kernarg_preload_offset 0
		.amdhsa_user_sgpr_private_segment_size 0
		.amdhsa_uses_dynamic_stack 0
		.amdhsa_enable_private_segment 0
		.amdhsa_system_sgpr_workgroup_id_x 1
		.amdhsa_system_sgpr_workgroup_id_y 1
		.amdhsa_system_sgpr_workgroup_id_z 0
		.amdhsa_system_sgpr_workgroup_info 0
		.amdhsa_system_vgpr_workitem_id 1
		.amdhsa_next_free_vgpr 58
		.amdhsa_next_free_sgpr 26
		.amdhsa_accum_offset 60
		.amdhsa_reserve_vcc 1
		.amdhsa_float_round_mode_32 0
		.amdhsa_float_round_mode_16_64 0
		.amdhsa_float_denorm_mode_32 3
		.amdhsa_float_denorm_mode_16_64 3
		.amdhsa_dx10_clamp 1
		.amdhsa_ieee_mode 1
		.amdhsa_fp16_overflow 0
		.amdhsa_tg_split 0
		.amdhsa_exception_fp_ieee_invalid_op 0
		.amdhsa_exception_fp_denorm_src 0
		.amdhsa_exception_fp_ieee_div_zero 0
		.amdhsa_exception_fp_ieee_overflow 0
		.amdhsa_exception_fp_ieee_underflow 0
		.amdhsa_exception_fp_ieee_inexact 0
		.amdhsa_exception_int_div_zero 0
	.end_amdhsa_kernel
	.section	.text._ZN2at6native12_GLOBAL__N_135GammaBetaBackwardCUDAKernelTemplateIddLj64ELj16ELj128ELb0ELb1ELb1EEEvllPKT_S5_PKT0_S8_PS3_S9_,"axG",@progbits,_ZN2at6native12_GLOBAL__N_135GammaBetaBackwardCUDAKernelTemplateIddLj64ELj16ELj128ELb0ELb1ELb1EEEvllPKT_S5_PKT0_S8_PS3_S9_,comdat
.Lfunc_end125:
	.size	_ZN2at6native12_GLOBAL__N_135GammaBetaBackwardCUDAKernelTemplateIddLj64ELj16ELj128ELb0ELb1ELb1EEEvllPKT_S5_PKT0_S8_PS3_S9_, .Lfunc_end125-_ZN2at6native12_GLOBAL__N_135GammaBetaBackwardCUDAKernelTemplateIddLj64ELj16ELj128ELb0ELb1ELb1EEEvllPKT_S5_PKT0_S8_PS3_S9_
                                        ; -- End function
	.set _ZN2at6native12_GLOBAL__N_135GammaBetaBackwardCUDAKernelTemplateIddLj64ELj16ELj128ELb0ELb1ELb1EEEvllPKT_S5_PKT0_S8_PS3_S9_.num_vgpr, 58
	.set _ZN2at6native12_GLOBAL__N_135GammaBetaBackwardCUDAKernelTemplateIddLj64ELj16ELj128ELb0ELb1ELb1EEEvllPKT_S5_PKT0_S8_PS3_S9_.num_agpr, 0
	.set _ZN2at6native12_GLOBAL__N_135GammaBetaBackwardCUDAKernelTemplateIddLj64ELj16ELj128ELb0ELb1ELb1EEEvllPKT_S5_PKT0_S8_PS3_S9_.numbered_sgpr, 26
	.set _ZN2at6native12_GLOBAL__N_135GammaBetaBackwardCUDAKernelTemplateIddLj64ELj16ELj128ELb0ELb1ELb1EEEvllPKT_S5_PKT0_S8_PS3_S9_.num_named_barrier, 0
	.set _ZN2at6native12_GLOBAL__N_135GammaBetaBackwardCUDAKernelTemplateIddLj64ELj16ELj128ELb0ELb1ELb1EEEvllPKT_S5_PKT0_S8_PS3_S9_.private_seg_size, 0
	.set _ZN2at6native12_GLOBAL__N_135GammaBetaBackwardCUDAKernelTemplateIddLj64ELj16ELj128ELb0ELb1ELb1EEEvllPKT_S5_PKT0_S8_PS3_S9_.uses_vcc, 1
	.set _ZN2at6native12_GLOBAL__N_135GammaBetaBackwardCUDAKernelTemplateIddLj64ELj16ELj128ELb0ELb1ELb1EEEvllPKT_S5_PKT0_S8_PS3_S9_.uses_flat_scratch, 0
	.set _ZN2at6native12_GLOBAL__N_135GammaBetaBackwardCUDAKernelTemplateIddLj64ELj16ELj128ELb0ELb1ELb1EEEvllPKT_S5_PKT0_S8_PS3_S9_.has_dyn_sized_stack, 0
	.set _ZN2at6native12_GLOBAL__N_135GammaBetaBackwardCUDAKernelTemplateIddLj64ELj16ELj128ELb0ELb1ELb1EEEvllPKT_S5_PKT0_S8_PS3_S9_.has_recursion, 0
	.set _ZN2at6native12_GLOBAL__N_135GammaBetaBackwardCUDAKernelTemplateIddLj64ELj16ELj128ELb0ELb1ELb1EEEvllPKT_S5_PKT0_S8_PS3_S9_.has_indirect_call, 0
	.section	.AMDGPU.csdata,"",@progbits
; Kernel info:
; codeLenInByte = 2004
; TotalNumSgprs: 32
; NumVgprs: 58
; NumAgprs: 0
; TotalNumVgprs: 58
; ScratchSize: 0
; MemoryBound: 0
; FloatMode: 240
; IeeeMode: 1
; LDSByteSize: 0 bytes/workgroup (compile time only)
; SGPRBlocks: 3
; VGPRBlocks: 7
; NumSGPRsForWavesPerEU: 32
; NumVGPRsForWavesPerEU: 58
; AccumOffset: 60
; Occupancy: 8
; WaveLimiterHint : 0
; COMPUTE_PGM_RSRC2:SCRATCH_EN: 0
; COMPUTE_PGM_RSRC2:USER_SGPR: 2
; COMPUTE_PGM_RSRC2:TRAP_HANDLER: 0
; COMPUTE_PGM_RSRC2:TGID_X_EN: 1
; COMPUTE_PGM_RSRC2:TGID_Y_EN: 1
; COMPUTE_PGM_RSRC2:TGID_Z_EN: 0
; COMPUTE_PGM_RSRC2:TIDIG_COMP_CNT: 1
; COMPUTE_PGM_RSRC3_GFX90A:ACCUM_OFFSET: 14
; COMPUTE_PGM_RSRC3_GFX90A:TG_SPLIT: 0
	.section	.text._ZN2at6native12_GLOBAL__N_135GammaBetaBackwardCUDAKernelTemplateIddLj64ELj16ELj128ELb0ELb0ELb1EEEvllPKT_S5_PKT0_S8_PS3_S9_,"axG",@progbits,_ZN2at6native12_GLOBAL__N_135GammaBetaBackwardCUDAKernelTemplateIddLj64ELj16ELj128ELb0ELb0ELb1EEEvllPKT_S5_PKT0_S8_PS3_S9_,comdat
	.globl	_ZN2at6native12_GLOBAL__N_135GammaBetaBackwardCUDAKernelTemplateIddLj64ELj16ELj128ELb0ELb0ELb1EEEvllPKT_S5_PKT0_S8_PS3_S9_ ; -- Begin function _ZN2at6native12_GLOBAL__N_135GammaBetaBackwardCUDAKernelTemplateIddLj64ELj16ELj128ELb0ELb0ELb1EEEvllPKT_S5_PKT0_S8_PS3_S9_
	.p2align	8
	.type	_ZN2at6native12_GLOBAL__N_135GammaBetaBackwardCUDAKernelTemplateIddLj64ELj16ELj128ELb0ELb0ELb1EEEvllPKT_S5_PKT0_S8_PS3_S9_,@function
_ZN2at6native12_GLOBAL__N_135GammaBetaBackwardCUDAKernelTemplateIddLj64ELj16ELj128ELb0ELb0ELb1EEEvllPKT_S5_PKT0_S8_PS3_S9_: ; @_ZN2at6native12_GLOBAL__N_135GammaBetaBackwardCUDAKernelTemplateIddLj64ELj16ELj128ELb0ELb0ELb1EEEvllPKT_S5_PKT0_S8_PS3_S9_
; %bb.0:
	s_load_dwordx8 s[8:15], s[0:1], 0x0
	s_load_dwordx2 s[16:17], s[0:1], 0x28
	s_lshl_b32 s33, s2, 6
	s_or_b32 s4, s33, 63
	s_mov_b32 s19, 0
	v_mov_b32_e32 v2, s4
	v_mov_b32_e32 v3, 0
	s_lshl_b32 s18, s3, 7
	s_waitcnt lgkmcnt(0)
	v_cmp_le_i64_e32 vcc, s[10:11], v[2:3]
	v_mov_b64_e32 v[2:3], s[18:19]
	v_cmp_gt_i64_e64 s[4:5], s[8:9], v[2:3]
	s_nop 1
	v_cndmask_b32_e64 v1, 0, 1, s[4:5]
	v_cmp_ne_u32_e64 s[4:5], 1, v1
	s_cbranch_vccz .LBB126_49
; %bb.1:
	s_and_b64 vcc, exec, s[4:5]
	v_mov_b64_e32 v[104:105], 0
	s_cbranch_vccnz .LBB126_50
; %bb.2:
	v_and_b32_e32 v1, 0x3ff, v0
	v_mov_b32_e32 v2, 0
	v_bfe_u32 v78, v0, 10, 10
	v_add_u32_e32 v4, s33, v1
	v_mov_b32_e32 v5, v2
	v_lshlrev_b32_e32 v36, 3, v78
	v_mov_b32_e32 v37, v2
	v_cmp_gt_i64_e64 s[6:7], s[10:11], v[4:5]
	v_lshlrev_b64 v[38:39], 3, v[4:5]
	v_lshl_add_u64 v[4:5], v[36:37], 0, s[18:19]
	v_mul_lo_u32 v3, s11, v4
	v_mul_lo_u32 v8, s10, v5
	v_mad_u64_u32 v[6:7], s[22:23], s10, v4, 0
	v_add3_u32 v7, v7, v8, v3
	v_lshlrev_b64 v[6:7], 3, v[6:7]
	v_lshl_add_u64 v[40:41], s[12:13], 0, v[6:7]
	v_lshl_add_u64 v[42:43], s[14:15], 0, v[6:7]
	v_lshl_add_u64 v[6:7], v[4:5], 0, 7
	v_mul_lo_u32 v9, s11, v6
	v_mul_lo_u32 v10, s10, v7
	v_mad_u64_u32 v[6:7], s[24:25], s10, v6, 0
	v_add3_u32 v7, v7, v10, v9
	v_lshlrev_b64 v[6:7], 3, v[6:7]
	v_lshl_add_u64 v[44:45], s[12:13], 0, v[6:7]
	v_lshl_add_u64 v[46:47], s[14:15], 0, v[6:7]
	;; [unrolled: 8-line block ×5, first 2 shown]
	v_lshl_add_u64 v[6:7], v[4:5], 0, 3
	v_mul_lo_u32 v9, s11, v6
	v_mul_lo_u32 v10, s10, v7
	v_mad_u64_u32 v[6:7], s[24:25], s10, v6, 0
	v_add3_u32 v7, v7, v10, v9
	s_load_dword s3, s[0:1], 0x44
	v_lshlrev_b64 v[6:7], 3, v[6:7]
	v_lshl_add_u64 v[60:61], s[12:13], 0, v[6:7]
	v_lshl_add_u64 v[62:63], s[14:15], 0, v[6:7]
	;; [unrolled: 1-line block ×3, first 2 shown]
	v_mul_lo_u32 v5, s11, v6
	v_mul_lo_u32 v9, s10, v7
	v_mad_u64_u32 v[6:7], s[24:25], s10, v6, 0
	v_add3_u32 v7, v7, v9, v5
	s_add_u32 s20, s0, 64
	v_lshlrev_b64 v[6:7], 3, v[6:7]
	s_addc_u32 s21, s1, 0
	s_waitcnt lgkmcnt(0)
	s_lshl_b32 s3, s3, 7
	v_lshl_add_u64 v[64:65], s[12:13], 0, v[6:7]
	v_lshl_add_u64 v[66:67], s[14:15], 0, v[6:7]
	v_mov_b64_e32 v[6:7], s[10:11]
	s_mul_i32 s22, s11, s3
	s_mul_hi_u32 s23, s10, s3
	v_mad_u64_u32 v[4:5], s[24:25], s10, v4, v[6:7]
	s_add_i32 s23, s23, s22
	s_mul_i32 s22, s10, s3
	v_add3_u32 v5, v3, v5, v8
	v_mbcnt_lo_u32_b32 v3, -1, 0
	s_lshl_b64 s[22:23], s[22:23], 3
	v_mbcnt_hi_u32_b32 v3, -1, v3
	v_lshlrev_b64 v[4:5], 3, v[4:5]
	s_add_u32 s24, s18, 0x7f
	s_movk_i32 s26, 0xff81
	s_movk_i32 s28, 0xff82
	;; [unrolled: 1-line block ×8, first 2 shown]
	v_lshlrev_b32_e32 v3, 2, v3
	v_lshl_add_u64 v[68:69], s[12:13], 0, v[4:5]
	v_lshl_add_u64 v[70:71], s[14:15], 0, v[4:5]
	s_addc_u32 s25, 0, 0
	v_mov_b64_e32 v[72:73], 0
	s_mov_b32 s27, -1
	s_mov_b32 s29, -1
	;; [unrolled: 1-line block ×8, first 2 shown]
	v_and_b32_e32 v79, 0x100, v3
	s_mov_b64 s[44:45], s[18:19]
.LBB126_3:                              ; =>This Inner Loop Header: Depth=1
	v_mov_b64_e32 v[4:5], s[8:9]
	v_cmp_ge_i64_e32 vcc, s[24:25], v[4:5]
	v_lshl_add_u64 v[74:75], v[36:37], 0, s[24:25]
	s_mov_b64 s[46:47], -1
	s_and_b64 vcc, exec, vcc
                                        ; implicit-def: $vgpr4_vgpr5_vgpr6_vgpr7_vgpr8_vgpr9_vgpr10_vgpr11_vgpr12_vgpr13_vgpr14_vgpr15_vgpr16_vgpr17_vgpr18_vgpr19
                                        ; implicit-def: $vgpr104_vgpr105
                                        ; implicit-def: $vgpr20_vgpr21_vgpr22_vgpr23_vgpr24_vgpr25_vgpr26_vgpr27_vgpr28_vgpr29_vgpr30_vgpr31_vgpr32_vgpr33_vgpr34_vgpr35
                                        ; implicit-def: $vgpr4
	s_cbranch_vccz .LBB126_25
; %bb.4:                                ;   in Loop: Header=BB126_3 Depth=1
	s_load_dword s46, s[20:21], 0xc
	v_mov_b64_e32 v[76:77], 0
	s_waitcnt lgkmcnt(0)
	s_and_b32 s46, s46, 0xffff
	v_mad_u32_u24 v3, v78, s46, v1
	v_and_b32_e32 v4, 63, v3
	v_cmp_gt_u32_e32 vcc, 8, v4
	s_and_saveexec_b64 s[46:47], vcc
	s_cbranch_execz .LBB126_8
; %bb.5:                                ;   in Loop: Header=BB126_3 Depth=1
	v_mov_b32_e32 v5, v2
	v_lshl_add_u64 v[4:5], v[74:75], 0, v[4:5]
	v_lshl_add_u64 v[4:5], v[4:5], 0, s[26:27]
	v_cmp_gt_i64_e32 vcc, s[8:9], v[4:5]
	v_mov_b64_e32 v[76:77], 0
	s_and_saveexec_b64 s[48:49], vcc
	s_cbranch_execz .LBB126_7
; %bb.6:                                ;   in Loop: Header=BB126_3 Depth=1
	v_lshl_add_u64 v[4:5], v[4:5], 3, s[16:17]
	global_load_dwordx2 v[76:77], v[4:5], off
.LBB126_7:                              ;   in Loop: Header=BB126_3 Depth=1
	s_or_b64 exec, exec, s[48:49]
.LBB126_8:                              ;   in Loop: Header=BB126_3 Depth=1
	s_or_b64 exec, exec, s[46:47]
	v_lshl_add_u64 v[4:5], v[74:75], 0, s[26:27]
	v_mov_b32_e32 v16, v2
	v_mov_b32_e32 v17, v2
	v_cmp_gt_i64_e32 vcc, s[8:9], v[4:5]
	v_mov_b32_e32 v3, v2
	v_mov_b32_e32 v4, v2
	;; [unrolled: 1-line block ×13, first 2 shown]
	v_mov_b64_e32 v[34:35], v[16:17]
	v_mov_b64_e32 v[32:33], v[14:15]
	;; [unrolled: 1-line block ×9, first 2 shown]
	s_and_b64 s[48:49], s[6:7], vcc
	v_mov_b64_e32 v[16:17], v[14:15]
	v_mov_b64_e32 v[14:15], v[12:13]
	;; [unrolled: 1-line block ×7, first 2 shown]
	s_and_saveexec_b64 s[46:47], s[48:49]
	s_cbranch_execz .LBB126_10
; %bb.9:                                ;   in Loop: Header=BB126_3 Depth=1
	v_lshl_add_u64 v[4:5], v[40:41], 0, v[38:39]
	v_lshl_add_u64 v[6:7], v[42:43], 0, v[38:39]
	global_load_dwordx2 v[4:5], v[4:5], off
	v_mov_b32_e32 v8, v2
	global_load_dwordx2 v[20:21], v[6:7], off
	v_mov_b32_e32 v6, v2
	v_mov_b32_e32 v7, v2
	;; [unrolled: 1-line block ×27, first 2 shown]
.LBB126_10:                             ;   in Loop: Header=BB126_3 Depth=1
	s_or_b64 exec, exec, s[46:47]
	v_lshl_add_u64 v[80:81], v[74:75], 0, s[28:29]
	v_cmp_gt_i64_e32 vcc, s[8:9], v[80:81]
	s_and_b64 s[48:49], s[6:7], vcc
	s_and_saveexec_b64 s[46:47], s[48:49]
	s_cbranch_execz .LBB126_12
; %bb.11:                               ;   in Loop: Header=BB126_3 Depth=1
	v_lshl_add_u64 v[6:7], v[68:69], 0, v[38:39]
	v_lshl_add_u64 v[22:23], v[70:71], 0, v[38:39]
	global_load_dwordx2 v[6:7], v[6:7], off
	s_nop 0
	global_load_dwordx2 v[22:23], v[22:23], off
.LBB126_12:                             ;   in Loop: Header=BB126_3 Depth=1
	s_or_b64 exec, exec, s[46:47]
	v_lshl_add_u64 v[80:81], v[74:75], 0, s[30:31]
	v_cmp_gt_i64_e32 vcc, s[8:9], v[80:81]
	s_and_b64 s[48:49], s[6:7], vcc
	s_and_saveexec_b64 s[46:47], s[48:49]
	s_cbranch_execz .LBB126_14
; %bb.13:                               ;   in Loop: Header=BB126_3 Depth=1
	v_lshl_add_u64 v[8:9], v[64:65], 0, v[38:39]
	v_lshl_add_u64 v[24:25], v[66:67], 0, v[38:39]
	global_load_dwordx2 v[8:9], v[8:9], off
	s_nop 0
	global_load_dwordx2 v[24:25], v[24:25], off
.LBB126_14:                             ;   in Loop: Header=BB126_3 Depth=1
	;; [unrolled: 13-line block ×7, first 2 shown]
	s_or_b64 exec, exec, s[46:47]
	s_waitcnt vmcnt(0)
	ds_bpermute_b32 v80, v79, v76
	ds_bpermute_b32 v81, v79, v77
	ds_bpermute_b32 v82, v79, v76 offset:4
	ds_bpermute_b32 v83, v79, v77 offset:4
	v_mul_f64 v[4:5], v[20:21], v[4:5]
	ds_bpermute_b32 v20, v79, v76 offset:16
	s_waitcnt lgkmcnt(3)
	v_fma_f64 v[104:105], v[4:5], v[80:81], v[72:73]
	v_mul_f64 v[4:5], v[22:23], v[6:7]
	s_waitcnt lgkmcnt(1)
	v_fmac_f64_e32 v[104:105], v[4:5], v[82:83]
	ds_bpermute_b32 v4, v79, v76 offset:8
	ds_bpermute_b32 v5, v79, v77 offset:8
	v_mul_f64 v[6:7], v[24:25], v[8:9]
	ds_bpermute_b32 v8, v79, v76 offset:12
	ds_bpermute_b32 v9, v79, v77 offset:12
	;; [unrolled: 1-line block ×3, first 2 shown]
	s_waitcnt lgkmcnt(3)
	v_fmac_f64_e32 v[104:105], v[6:7], v[4:5]
	v_mul_f64 v[4:5], v[26:27], v[10:11]
	ds_bpermute_b32 v6, v79, v76 offset:20
	ds_bpermute_b32 v7, v79, v77 offset:20
	s_waitcnt lgkmcnt(3)
	v_fmac_f64_e32 v[104:105], v[4:5], v[8:9]
	v_mul_f64 v[4:5], v[28:29], v[12:13]
	ds_bpermute_b32 v10, v79, v76 offset:24
	ds_bpermute_b32 v11, v79, v77 offset:24
	s_waitcnt lgkmcnt(4)
	v_fmac_f64_e32 v[104:105], v[4:5], v[20:21]
	ds_bpermute_b32 v4, v79, v76 offset:28
	ds_bpermute_b32 v5, v79, v77 offset:28
	v_mul_f64 v[8:9], v[30:31], v[14:15]
	s_waitcnt lgkmcnt(4)
	v_fmac_f64_e32 v[104:105], v[8:9], v[6:7]
	v_mul_f64 v[6:7], v[32:33], v[16:17]
	s_waitcnt lgkmcnt(2)
	v_fmac_f64_e32 v[104:105], v[6:7], v[10:11]
	s_mov_b64 s[46:47], 0
.LBB126_25:                             ;   in Loop: Header=BB126_3 Depth=1
	s_and_b64 vcc, exec, s[46:47]
	s_cbranch_vccz .LBB126_40
; %bb.26:                               ;   in Loop: Header=BB126_3 Depth=1
	s_load_dword s46, s[20:21], 0x0
	v_mov_b64_e32 v[76:77], 0
	s_waitcnt lgkmcnt(0)
	s_cmp_lt_u32 s2, s46
	s_cselect_b32 s46, 12, 18
	s_add_u32 s46, s20, s46
	s_addc_u32 s47, s21, 0
	global_load_ushort v3, v2, s[46:47]
	s_waitcnt vmcnt(0)
	v_mad_u32_u24 v3, v78, v3, v1
	v_and_b32_e32 v4, 63, v3
	v_cmp_gt_u32_e32 vcc, 8, v4
	s_and_saveexec_b64 s[46:47], vcc
	s_cbranch_execz .LBB126_30
; %bb.27:                               ;   in Loop: Header=BB126_3 Depth=1
	v_mov_b32_e32 v5, v2
	v_lshl_add_u64 v[4:5], v[74:75], 0, v[4:5]
	v_lshl_add_u64 v[4:5], v[4:5], 0, s[26:27]
	v_cmp_gt_i64_e32 vcc, s[8:9], v[4:5]
	v_mov_b64_e32 v[76:77], 0
	s_and_saveexec_b64 s[48:49], vcc
	s_cbranch_execz .LBB126_29
; %bb.28:                               ;   in Loop: Header=BB126_3 Depth=1
	v_lshl_add_u64 v[4:5], v[4:5], 3, s[16:17]
	global_load_dwordx2 v[76:77], v[4:5], off
.LBB126_29:                             ;   in Loop: Header=BB126_3 Depth=1
	s_or_b64 exec, exec, s[48:49]
.LBB126_30:                             ;   in Loop: Header=BB126_3 Depth=1
	s_or_b64 exec, exec, s[46:47]
	v_mov_b32_e32 v16, v2
	v_mov_b32_e32 v17, v2
	;; [unrolled: 1-line block ×15, first 2 shown]
	v_mov_b64_e32 v[34:35], v[16:17]
	v_mov_b64_e32 v[32:33], v[14:15]
	;; [unrolled: 1-line block ×16, first 2 shown]
	s_and_saveexec_b64 s[46:47], s[6:7]
	s_cbranch_execnz .LBB126_42
; %bb.31:                               ;   in Loop: Header=BB126_3 Depth=1
	s_or_b64 exec, exec, s[46:47]
	s_and_saveexec_b64 s[46:47], s[6:7]
	s_cbranch_execnz .LBB126_43
.LBB126_32:                             ;   in Loop: Header=BB126_3 Depth=1
	s_or_b64 exec, exec, s[46:47]
	s_and_saveexec_b64 s[46:47], s[6:7]
	s_cbranch_execnz .LBB126_44
.LBB126_33:                             ;   in Loop: Header=BB126_3 Depth=1
	s_or_b64 exec, exec, s[46:47]
	s_and_saveexec_b64 s[46:47], s[6:7]
	s_cbranch_execnz .LBB126_45
.LBB126_34:                             ;   in Loop: Header=BB126_3 Depth=1
	s_or_b64 exec, exec, s[46:47]
	s_and_saveexec_b64 s[46:47], s[6:7]
	s_cbranch_execnz .LBB126_46
.LBB126_35:                             ;   in Loop: Header=BB126_3 Depth=1
	s_or_b64 exec, exec, s[46:47]
	s_and_saveexec_b64 s[46:47], s[6:7]
	s_cbranch_execnz .LBB126_47
.LBB126_36:                             ;   in Loop: Header=BB126_3 Depth=1
	s_or_b64 exec, exec, s[46:47]
	s_and_saveexec_b64 s[46:47], s[6:7]
	s_cbranch_execnz .LBB126_48
.LBB126_37:                             ;   in Loop: Header=BB126_3 Depth=1
	s_or_b64 exec, exec, s[46:47]
	s_and_saveexec_b64 s[46:47], s[6:7]
	s_cbranch_execz .LBB126_39
.LBB126_38:                             ;   in Loop: Header=BB126_3 Depth=1
	v_lshl_add_u64 v[18:19], v[44:45], 0, v[38:39]
	v_lshl_add_u64 v[34:35], v[46:47], 0, v[38:39]
	global_load_dwordx2 v[18:19], v[18:19], off
	s_nop 0
	global_load_dwordx2 v[34:35], v[34:35], off
.LBB126_39:                             ;   in Loop: Header=BB126_3 Depth=1
	s_or_b64 exec, exec, s[46:47]
	s_waitcnt vmcnt(0)
	ds_bpermute_b32 v74, v79, v76
	ds_bpermute_b32 v75, v79, v77
	ds_bpermute_b32 v80, v79, v76 offset:4
	ds_bpermute_b32 v81, v79, v77 offset:4
	v_mul_f64 v[4:5], v[20:21], v[4:5]
	ds_bpermute_b32 v20, v79, v76 offset:16
	s_waitcnt lgkmcnt(3)
	v_fmac_f64_e32 v[72:73], v[4:5], v[74:75]
	v_mul_f64 v[4:5], v[22:23], v[6:7]
	s_waitcnt lgkmcnt(1)
	v_fmac_f64_e32 v[72:73], v[4:5], v[80:81]
	ds_bpermute_b32 v4, v79, v76 offset:8
	ds_bpermute_b32 v5, v79, v77 offset:8
	v_mul_f64 v[6:7], v[24:25], v[8:9]
	ds_bpermute_b32 v8, v79, v76 offset:12
	ds_bpermute_b32 v9, v79, v77 offset:12
	;; [unrolled: 1-line block ×3, first 2 shown]
	s_waitcnt lgkmcnt(3)
	v_fmac_f64_e32 v[72:73], v[6:7], v[4:5]
	ds_bpermute_b32 v6, v79, v76 offset:20
	ds_bpermute_b32 v7, v79, v77 offset:20
	v_mul_f64 v[4:5], v[26:27], v[10:11]
	ds_bpermute_b32 v10, v79, v76 offset:24
	ds_bpermute_b32 v11, v79, v77 offset:24
	s_waitcnt lgkmcnt(5)
	v_fmac_f64_e32 v[72:73], v[4:5], v[8:9]
	v_mul_f64 v[4:5], v[28:29], v[12:13]
	s_waitcnt lgkmcnt(4)
	v_fmac_f64_e32 v[72:73], v[4:5], v[20:21]
	ds_bpermute_b32 v4, v79, v76 offset:28
	ds_bpermute_b32 v5, v79, v77 offset:28
	v_mul_f64 v[8:9], v[30:31], v[14:15]
	s_waitcnt lgkmcnt(4)
	v_fmac_f64_e32 v[72:73], v[8:9], v[6:7]
	v_mul_f64 v[6:7], v[32:33], v[16:17]
	s_waitcnt lgkmcnt(2)
	v_fmac_f64_e32 v[72:73], v[6:7], v[10:11]
	v_mov_b64_e32 v[104:105], v[72:73]
.LBB126_40:                             ;   in Loop: Header=BB126_3 Depth=1
	v_mul_f64 v[6:7], v[18:19], v[34:35]
	s_add_u32 s44, s44, s3
	s_waitcnt lgkmcnt(0)
	v_fmac_f64_e32 v[104:105], v[6:7], v[4:5]
	s_addc_u32 s45, s45, 0
	v_mov_b64_e32 v[4:5], s[8:9]
	s_add_u32 s24, s24, s3
	v_cmp_lt_i64_e32 vcc, s[44:45], v[4:5]
	v_lshl_add_u64 v[40:41], v[40:41], 0, s[22:23]
	v_lshl_add_u64 v[42:43], v[42:43], 0, s[22:23]
	;; [unrolled: 1-line block ×16, first 2 shown]
	s_addc_u32 s25, s25, 0
	s_cbranch_vccz .LBB126_50
; %bb.41:                               ;   in Loop: Header=BB126_3 Depth=1
	v_mov_b64_e32 v[72:73], v[104:105]
	s_branch .LBB126_3
.LBB126_42:                             ;   in Loop: Header=BB126_3 Depth=1
	v_lshl_add_u64 v[4:5], v[40:41], 0, v[38:39]
	v_lshl_add_u64 v[6:7], v[42:43], 0, v[38:39]
	global_load_dwordx2 v[4:5], v[4:5], off
	v_mov_b32_e32 v8, v2
	global_load_dwordx2 v[20:21], v[6:7], off
	v_mov_b32_e32 v6, v2
	v_mov_b32_e32 v7, v2
	v_mov_b32_e32 v9, v2
	v_mov_b32_e32 v10, v2
	v_mov_b32_e32 v11, v2
	v_mov_b32_e32 v12, v2
	v_mov_b32_e32 v13, v2
	v_mov_b32_e32 v14, v2
	v_mov_b32_e32 v15, v2
	v_mov_b32_e32 v16, v2
	v_mov_b32_e32 v17, v2
	v_mov_b32_e32 v18, v2
	v_mov_b32_e32 v19, v2
	v_mov_b32_e32 v22, v2
	v_mov_b32_e32 v23, v2
	v_mov_b32_e32 v24, v2
	v_mov_b32_e32 v25, v2
	v_mov_b32_e32 v26, v2
	v_mov_b32_e32 v27, v2
	v_mov_b32_e32 v28, v2
	v_mov_b32_e32 v29, v2
	v_mov_b32_e32 v30, v2
	v_mov_b32_e32 v31, v2
	v_mov_b32_e32 v32, v2
	v_mov_b32_e32 v33, v2
	v_mov_b32_e32 v34, v2
	v_mov_b32_e32 v35, v2
	s_or_b64 exec, exec, s[46:47]
	s_and_saveexec_b64 s[46:47], s[6:7]
	s_cbranch_execz .LBB126_32
.LBB126_43:                             ;   in Loop: Header=BB126_3 Depth=1
	v_lshl_add_u64 v[6:7], v[68:69], 0, v[38:39]
	v_lshl_add_u64 v[22:23], v[70:71], 0, v[38:39]
	global_load_dwordx2 v[6:7], v[6:7], off
	s_nop 0
	global_load_dwordx2 v[22:23], v[22:23], off
	s_or_b64 exec, exec, s[46:47]
	s_and_saveexec_b64 s[46:47], s[6:7]
	s_cbranch_execz .LBB126_33
.LBB126_44:                             ;   in Loop: Header=BB126_3 Depth=1
	v_lshl_add_u64 v[8:9], v[64:65], 0, v[38:39]
	v_lshl_add_u64 v[24:25], v[66:67], 0, v[38:39]
	global_load_dwordx2 v[8:9], v[8:9], off
	s_nop 0
	global_load_dwordx2 v[24:25], v[24:25], off
	s_or_b64 exec, exec, s[46:47]
	s_and_saveexec_b64 s[46:47], s[6:7]
	s_cbranch_execz .LBB126_34
.LBB126_45:                             ;   in Loop: Header=BB126_3 Depth=1
	v_lshl_add_u64 v[10:11], v[60:61], 0, v[38:39]
	v_lshl_add_u64 v[26:27], v[62:63], 0, v[38:39]
	global_load_dwordx2 v[10:11], v[10:11], off
	s_nop 0
	global_load_dwordx2 v[26:27], v[26:27], off
	s_or_b64 exec, exec, s[46:47]
	s_and_saveexec_b64 s[46:47], s[6:7]
	s_cbranch_execz .LBB126_35
.LBB126_46:                             ;   in Loop: Header=BB126_3 Depth=1
	v_lshl_add_u64 v[12:13], v[56:57], 0, v[38:39]
	v_lshl_add_u64 v[28:29], v[58:59], 0, v[38:39]
	global_load_dwordx2 v[12:13], v[12:13], off
	s_nop 0
	global_load_dwordx2 v[28:29], v[28:29], off
	s_or_b64 exec, exec, s[46:47]
	s_and_saveexec_b64 s[46:47], s[6:7]
	s_cbranch_execz .LBB126_36
.LBB126_47:                             ;   in Loop: Header=BB126_3 Depth=1
	v_lshl_add_u64 v[14:15], v[52:53], 0, v[38:39]
	v_lshl_add_u64 v[30:31], v[54:55], 0, v[38:39]
	global_load_dwordx2 v[14:15], v[14:15], off
	s_nop 0
	global_load_dwordx2 v[30:31], v[30:31], off
	s_or_b64 exec, exec, s[46:47]
	s_and_saveexec_b64 s[46:47], s[6:7]
	s_cbranch_execz .LBB126_37
.LBB126_48:                             ;   in Loop: Header=BB126_3 Depth=1
	v_lshl_add_u64 v[16:17], v[48:49], 0, v[38:39]
	v_lshl_add_u64 v[32:33], v[50:51], 0, v[38:39]
	global_load_dwordx2 v[16:17], v[16:17], off
	s_nop 0
	global_load_dwordx2 v[32:33], v[32:33], off
	s_or_b64 exec, exec, s[46:47]
	s_and_saveexec_b64 s[46:47], s[6:7]
	s_cbranch_execnz .LBB126_38
	s_branch .LBB126_39
.LBB126_49:
                                        ; implicit-def: $vgpr104_vgpr105
	s_branch .LBB126_51
.LBB126_50:
	s_cbranch_execnz .LBB126_83
.LBB126_51:
	s_and_b64 vcc, exec, s[4:5]
	v_mov_b64_e32 v[104:105], 0
	s_cbranch_vccnz .LBB126_83
; %bb.52:
	v_mov_b32_e32 v2, 0
	v_bfe_u32 v1, v0, 10, 10
	v_lshlrev_b32_e32 v6, 6, v1
	v_mov_b32_e32 v7, v2
	v_lshl_add_u64 v[6:7], s[18:19], 3, v[6:7]
	v_lshl_add_u64 v[8:9], v[6:7], 0, 8
	v_mov_b64_e32 v[10:11], s[12:13]
	v_mov_b64_e32 v[22:23], s[14:15]
	v_lshlrev_b32_e32 v36, 3, v1
	v_mov_b32_e32 v37, v2
	v_mad_u64_u32 v[38:39], s[4:5], s10, v8, v[10:11]
	v_mul_lo_u32 v3, s10, v9
	v_mul_lo_u32 v9, s11, v8
	v_lshl_add_u64 v[12:13], v[6:7], 0, 16
	v_lshl_add_u64 v[14:15], v[6:7], 0, 24
	;; [unrolled: 1-line block ×5, first 2 shown]
	v_mad_u64_u32 v[48:49], s[4:5], s10, v8, v[22:23]
	v_lshl_add_u64 v[6:7], v[6:7], 0, 56
	v_lshl_add_u64 v[4:5], v[36:37], 0, s[18:19]
	v_add3_u32 v39, v9, v39, v3
	v_add3_u32 v49, v9, v49, v3
	v_mad_u64_u32 v[54:55], s[4:5], s10, v6, v[10:11]
	v_mul_lo_u32 v7, s10, v7
	v_mul_lo_u32 v9, s11, v6
	v_mad_u64_u32 v[64:65], s[4:5], s10, v6, v[22:23]
	v_mad_u64_u32 v[50:51], s[4:5], s10, v20, v[10:11]
	v_mul_lo_u32 v3, s10, v21
	v_mul_lo_u32 v8, s11, v20
	v_add3_u32 v55, v9, v55, v7
	v_mad_u64_u32 v[62:63], s[4:5], s10, v20, v[22:23]
	v_add3_u32 v65, v9, v65, v7
	v_lshl_add_u64 v[6:7], v[4:5], 0, 7
	v_add3_u32 v51, v8, v51, v3
	v_add3_u32 v63, v8, v63, v3
	v_mul_lo_u32 v3, s11, v6
	v_mul_lo_u32 v8, s10, v7
	v_mad_u64_u32 v[6:7], s[4:5], s10, v6, 0
	v_add3_u32 v7, v7, v8, v3
	v_lshl_add_u64 v[8:9], v[4:5], 0, 6
	v_mad_u64_u32 v[40:41], s[4:5], s10, v12, v[10:11]
	v_mad_u64_u32 v[42:43], s[4:5], s10, v14, v[10:11]
	;; [unrolled: 1-line block ×4, first 2 shown]
	v_mul_lo_u32 v3, s11, v8
	v_mul_lo_u32 v10, s10, v9
	v_mad_u64_u32 v[8:9], s[4:5], s10, v8, 0
	v_add3_u32 v9, v9, v10, v3
	v_lshl_add_u64 v[10:11], v[4:5], 0, 5
	v_mul_lo_u32 v13, s10, v13
	v_mul_lo_u32 v24, s11, v12
	v_mad_u64_u32 v[52:53], s[4:5], s10, v12, v[22:23]
	v_mul_lo_u32 v3, s11, v10
	v_mul_lo_u32 v12, s10, v11
	v_mad_u64_u32 v[10:11], s[4:5], s10, v10, 0
	v_add3_u32 v41, v24, v41, v13
	v_add3_u32 v53, v24, v53, v13
	v_add3_u32 v11, v11, v12, v3
	v_lshl_add_u64 v[12:13], v[4:5], 0, 4
	v_mul_lo_u32 v15, s10, v15
	v_mul_lo_u32 v25, s11, v14
	v_mad_u64_u32 v[56:57], s[4:5], s10, v14, v[22:23]
	v_mul_lo_u32 v3, s11, v12
	v_mul_lo_u32 v14, s10, v13
	v_mad_u64_u32 v[12:13], s[4:5], s10, v12, 0
	v_add3_u32 v43, v25, v43, v15
	v_add3_u32 v57, v25, v57, v15
	v_add3_u32 v13, v13, v14, v3
	v_lshl_add_u64 v[14:15], v[4:5], 0, 3
	v_mul_lo_u32 v17, s10, v17
	v_mul_lo_u32 v26, s11, v16
	v_mad_u64_u32 v[58:59], s[4:5], s10, v16, v[22:23]
	v_mul_lo_u32 v3, s11, v14
	v_mul_lo_u32 v16, s10, v15
	v_mad_u64_u32 v[14:15], s[4:5], s10, v14, 0
	v_add3_u32 v45, v26, v45, v17
	v_add3_u32 v59, v26, v59, v17
	v_add3_u32 v15, v15, v16, v3
	v_lshl_add_u64 v[16:17], v[4:5], 0, 2
	v_mul_lo_u32 v19, s10, v19
	v_mul_lo_u32 v27, s11, v18
	v_mad_u64_u32 v[60:61], s[4:5], s10, v18, v[22:23]
	v_mul_lo_u32 v3, s11, v16
	v_mul_lo_u32 v18, s10, v17
	v_mad_u64_u32 v[16:17], s[4:5], s10, v16, 0
	v_add3_u32 v47, v27, v47, v19
	v_add3_u32 v61, v27, v61, v19
	v_add3_u32 v17, v17, v18, v3
	v_mov_b64_e32 v[18:19], s[10:11]
	v_mad_u64_u32 v[18:19], s[4:5], s10, v4, v[18:19]
	v_mul_lo_u32 v3, s11, v4
	v_mul_lo_u32 v20, s10, v5
	v_mad_u64_u32 v[4:5], s[4:5], s10, v4, 0
	v_add3_u32 v5, v5, v20, v3
	s_load_dword s3, s[0:1], 0x44
	v_lshlrev_b64 v[4:5], 3, v[4:5]
	v_lshl_add_u64 v[68:69], s[12:13], 0, v[4:5]
	v_lshl_add_u64 v[70:71], s[14:15], 0, v[4:5]
	v_lshlrev_b64 v[4:5], 3, v[6:7]
	v_lshl_add_u64 v[72:73], s[12:13], 0, v[4:5]
	v_lshl_add_u64 v[74:75], s[14:15], 0, v[4:5]
	v_lshlrev_b64 v[4:5], 3, v[8:9]
	s_add_u32 s4, s0, 64
	v_lshl_add_u64 v[76:77], s[12:13], 0, v[4:5]
	v_lshl_add_u64 v[78:79], s[14:15], 0, v[4:5]
	v_lshlrev_b64 v[4:5], 3, v[10:11]
	s_addc_u32 s5, s1, 0
	s_waitcnt lgkmcnt(0)
	s_lshl_b32 s3, s3, 7
	v_lshl_add_u64 v[80:81], s[12:13], 0, v[4:5]
	v_lshl_add_u64 v[82:83], s[14:15], 0, v[4:5]
	v_lshlrev_b64 v[4:5], 3, v[12:13]
	s_mul_i32 s6, s11, s3
	s_mul_hi_u32 s7, s10, s3
	v_lshl_add_u64 v[84:85], s[12:13], 0, v[4:5]
	v_lshl_add_u64 v[86:87], s[14:15], 0, v[4:5]
	v_lshlrev_b64 v[4:5], 3, v[14:15]
	v_add3_u32 v19, v3, v19, v20
	s_add_i32 s7, s7, s6
	s_mul_i32 s6, s10, s3
	v_lshl_add_u64 v[88:89], s[12:13], 0, v[4:5]
	v_lshl_add_u64 v[90:91], s[14:15], 0, v[4:5]
	v_lshlrev_b64 v[4:5], 3, v[16:17]
	v_mbcnt_lo_u32_b32 v3, -1, 0
	v_and_b32_e32 v108, 0x3ff, v0
	s_lshl_b64 s[6:7], s[6:7], 3
	v_lshl_add_u64 v[92:93], s[12:13], 0, v[4:5]
	v_lshl_add_u64 v[94:95], s[14:15], 0, v[4:5]
	v_lshlrev_b64 v[4:5], 3, v[18:19]
	v_mbcnt_hi_u32_b32 v3, -1, v3
	v_add_u32_e32 v20, s33, v108
	v_mov_b32_e32 v21, v2
	s_add_u32 s20, s18, 0x7f
	v_lshl_add_u64 v[96:97], s[12:13], 0, v[4:5]
	v_lshl_add_u64 v[98:99], s[14:15], 0, v[4:5]
	s_movk_i32 s12, 0xff81
	s_movk_i32 s14, 0xff82
	s_movk_i32 s22, 0xff83
	s_movk_i32 s24, 0xff84
	s_movk_i32 s26, 0xff85
	s_movk_i32 s28, 0xff86
	s_movk_i32 s30, 0xff87
	s_movk_i32 s34, 0xff88
	v_lshlrev_b32_e32 v3, 2, v3
	v_lshlrev_b64 v[66:67], 3, v[20:21]
	s_addc_u32 s21, 0, 0
	s_mov_b32 s13, -1
	s_mov_b32 s15, -1
	;; [unrolled: 1-line block ×8, first 2 shown]
	v_and_b32_e32 v109, 0x100, v3
	v_mov_b64_e32 v[100:101], 0
.LBB126_53:                             ; =>This Inner Loop Header: Depth=1
	v_mov_b64_e32 v[4:5], s[8:9]
	v_cmp_ge_i64_e32 vcc, s[20:21], v[4:5]
	v_lshl_add_u64 v[102:103], v[36:37], 0, s[20:21]
	s_mov_b64 s[36:37], -1
                                        ; implicit-def: $vgpr104_vgpr105
	s_cbranch_vccz .LBB126_75
; %bb.54:                               ;   in Loop: Header=BB126_53 Depth=1
	s_load_dword s33, s[4:5], 0xc
	v_mov_b64_e32 v[106:107], 0
	s_waitcnt lgkmcnt(0)
	s_and_b32 s33, s33, 0xffff
	v_mad_u32_u24 v3, v1, s33, v108
	v_and_b32_e32 v4, 63, v3
	v_cmp_gt_u32_e32 vcc, 8, v4
	s_and_saveexec_b64 s[36:37], vcc
	s_cbranch_execz .LBB126_58
; %bb.55:                               ;   in Loop: Header=BB126_53 Depth=1
	v_mov_b32_e32 v5, v2
	v_lshl_add_u64 v[4:5], v[102:103], 0, v[4:5]
	v_lshl_add_u64 v[4:5], v[4:5], 0, s[12:13]
	v_cmp_gt_i64_e32 vcc, s[8:9], v[4:5]
	v_mov_b64_e32 v[106:107], 0
	s_and_saveexec_b64 s[38:39], vcc
	s_cbranch_execz .LBB126_57
; %bb.56:                               ;   in Loop: Header=BB126_53 Depth=1
	v_lshl_add_u64 v[4:5], v[4:5], 3, s[16:17]
	global_load_dwordx2 v[106:107], v[4:5], off
.LBB126_57:                             ;   in Loop: Header=BB126_53 Depth=1
	s_or_b64 exec, exec, s[38:39]
.LBB126_58:                             ;   in Loop: Header=BB126_53 Depth=1
	s_or_b64 exec, exec, s[36:37]
	v_lshl_add_u64 v[4:5], v[102:103], 0, s[12:13]
	v_mov_b32_e32 v16, v2
	v_mov_b32_e32 v17, v2
	v_cmp_gt_i64_e32 vcc, s[8:9], v[4:5]
	v_mov_b32_e32 v3, v2
	v_mov_b32_e32 v4, v2
	;; [unrolled: 1-line block ×13, first 2 shown]
	v_mov_b64_e32 v[34:35], v[16:17]
	v_mov_b64_e32 v[32:33], v[14:15]
	;; [unrolled: 1-line block ×16, first 2 shown]
	s_and_saveexec_b64 s[36:37], vcc
	s_cbranch_execz .LBB126_60
; %bb.59:                               ;   in Loop: Header=BB126_53 Depth=1
	v_lshl_add_u64 v[4:5], v[68:69], 0, v[66:67]
	v_lshl_add_u64 v[6:7], v[70:71], 0, v[66:67]
	global_load_dwordx2 v[4:5], v[4:5], off
	v_mov_b32_e32 v8, v2
	global_load_dwordx2 v[20:21], v[6:7], off
	v_mov_b32_e32 v6, v2
	v_mov_b32_e32 v7, v2
	;; [unrolled: 1-line block ×27, first 2 shown]
.LBB126_60:                             ;   in Loop: Header=BB126_53 Depth=1
	s_or_b64 exec, exec, s[36:37]
	v_lshl_add_u64 v[104:105], v[102:103], 0, s[14:15]
	v_cmp_gt_i64_e32 vcc, s[8:9], v[104:105]
	s_and_saveexec_b64 s[36:37], vcc
	s_cbranch_execz .LBB126_62
; %bb.61:                               ;   in Loop: Header=BB126_53 Depth=1
	v_lshl_add_u64 v[6:7], v[96:97], 0, v[66:67]
	v_lshl_add_u64 v[22:23], v[98:99], 0, v[66:67]
	global_load_dwordx2 v[6:7], v[6:7], off
	s_nop 0
	global_load_dwordx2 v[22:23], v[22:23], off
.LBB126_62:                             ;   in Loop: Header=BB126_53 Depth=1
	s_or_b64 exec, exec, s[36:37]
	v_lshl_add_u64 v[104:105], v[102:103], 0, s[22:23]
	v_cmp_gt_i64_e32 vcc, s[8:9], v[104:105]
	s_and_saveexec_b64 s[36:37], vcc
	s_cbranch_execz .LBB126_64
; %bb.63:                               ;   in Loop: Header=BB126_53 Depth=1
	v_lshl_add_u64 v[8:9], v[92:93], 0, v[66:67]
	v_lshl_add_u64 v[24:25], v[94:95], 0, v[66:67]
	global_load_dwordx2 v[8:9], v[8:9], off
	s_nop 0
	global_load_dwordx2 v[24:25], v[24:25], off
.LBB126_64:                             ;   in Loop: Header=BB126_53 Depth=1
	;; [unrolled: 12-line block ×7, first 2 shown]
	s_or_b64 exec, exec, s[36:37]
	s_waitcnt vmcnt(0)
	ds_bpermute_b32 v104, v109, v106
	ds_bpermute_b32 v105, v109, v107
	ds_bpermute_b32 v110, v109, v106 offset:4
	ds_bpermute_b32 v111, v109, v107 offset:4
	v_mul_f64 v[4:5], v[20:21], v[4:5]
	ds_bpermute_b32 v20, v109, v106 offset:16
	s_waitcnt lgkmcnt(3)
	v_fma_f64 v[104:105], v[4:5], v[104:105], v[100:101]
	v_mul_f64 v[4:5], v[22:23], v[6:7]
	s_waitcnt lgkmcnt(1)
	v_fmac_f64_e32 v[104:105], v[4:5], v[110:111]
	ds_bpermute_b32 v4, v109, v106 offset:8
	ds_bpermute_b32 v5, v109, v107 offset:8
	v_mul_f64 v[6:7], v[24:25], v[8:9]
	ds_bpermute_b32 v8, v109, v106 offset:12
	ds_bpermute_b32 v9, v109, v107 offset:12
	;; [unrolled: 1-line block ×3, first 2 shown]
	s_waitcnt lgkmcnt(3)
	v_fmac_f64_e32 v[104:105], v[6:7], v[4:5]
	v_mul_f64 v[4:5], v[26:27], v[10:11]
	ds_bpermute_b32 v10, v109, v106 offset:28
	s_waitcnt lgkmcnt(2)
	v_fmac_f64_e32 v[104:105], v[4:5], v[8:9]
	v_mul_f64 v[4:5], v[28:29], v[12:13]
	s_waitcnt lgkmcnt(1)
	v_fmac_f64_e32 v[104:105], v[4:5], v[20:21]
	ds_bpermute_b32 v4, v109, v106 offset:20
	ds_bpermute_b32 v5, v109, v107 offset:20
	;; [unrolled: 1-line block ×5, first 2 shown]
	v_mul_f64 v[6:7], v[30:31], v[14:15]
	s_waitcnt lgkmcnt(3)
	v_fmac_f64_e32 v[104:105], v[6:7], v[4:5]
	v_mul_f64 v[4:5], v[32:33], v[16:17]
	s_waitcnt lgkmcnt(1)
	v_fmac_f64_e32 v[104:105], v[4:5], v[8:9]
	;; [unrolled: 3-line block ×3, first 2 shown]
	s_mov_b64 s[36:37], 0
.LBB126_75:                             ;   in Loop: Header=BB126_53 Depth=1
	s_and_b64 vcc, exec, s[36:37]
	s_cbranch_vccz .LBB126_81
; %bb.76:                               ;   in Loop: Header=BB126_53 Depth=1
	s_load_dword s33, s[4:5], 0x0
	v_mov_b64_e32 v[4:5], 0
	s_waitcnt lgkmcnt(0)
	s_cmp_lt_u32 s2, s33
	s_cselect_b32 s33, 12, 18
	s_add_u32 s36, s4, s33
	s_addc_u32 s37, s5, 0
	global_load_ushort v3, v2, s[36:37]
	s_waitcnt vmcnt(0)
	v_mad_u32_u24 v3, v1, v3, v108
	v_and_b32_e32 v6, 63, v3
	v_cmp_gt_u32_e32 vcc, 8, v6
	s_and_saveexec_b64 s[36:37], vcc
	s_cbranch_execz .LBB126_80
; %bb.77:                               ;   in Loop: Header=BB126_53 Depth=1
	v_mov_b32_e32 v7, v2
	v_lshl_add_u64 v[4:5], v[102:103], 0, v[6:7]
	v_lshl_add_u64 v[6:7], v[4:5], 0, s[12:13]
	v_cmp_gt_i64_e32 vcc, s[8:9], v[6:7]
	v_mov_b64_e32 v[4:5], 0
	s_and_saveexec_b64 s[38:39], vcc
	s_cbranch_execz .LBB126_79
; %bb.78:                               ;   in Loop: Header=BB126_53 Depth=1
	v_lshl_add_u64 v[4:5], v[6:7], 3, s[16:17]
	global_load_dwordx2 v[4:5], v[4:5], off
.LBB126_79:                             ;   in Loop: Header=BB126_53 Depth=1
	s_or_b64 exec, exec, s[38:39]
.LBB126_80:                             ;   in Loop: Header=BB126_53 Depth=1
	s_or_b64 exec, exec, s[36:37]
	v_lshl_add_u64 v[6:7], v[68:69], 0, v[66:67]
	v_lshl_add_u64 v[8:9], v[70:71], 0, v[66:67]
	global_load_dwordx2 v[6:7], v[6:7], off
	v_lshl_add_u64 v[10:11], v[38:39], 0, v[66:67]
	global_load_dwordx2 v[8:9], v[8:9], off
	;; [unrolled: 2-line block ×10, first 2 shown]
	v_lshl_add_u64 v[28:29], v[60:61], 0, v[66:67]
	v_lshl_add_u64 v[30:31], v[50:51], 0, v[66:67]
	v_lshl_add_u64 v[32:33], v[62:63], 0, v[66:67]
	global_load_dwordx2 v[26:27], v[26:27], off
	s_nop 0
	global_load_dwordx2 v[28:29], v[28:29], off
	s_nop 0
	;; [unrolled: 2-line block ×3, first 2 shown]
	global_load_dwordx2 v[32:33], v[32:33], off
	v_lshl_add_u64 v[34:35], v[54:55], 0, v[66:67]
	v_lshl_add_u64 v[102:103], v[64:65], 0, v[66:67]
	global_load_dwordx2 v[34:35], v[34:35], off
	s_nop 0
	global_load_dwordx2 v[102:103], v[102:103], off
	s_waitcnt vmcnt(16)
	ds_bpermute_b32 v104, v109, v4
	ds_bpermute_b32 v105, v109, v5
	ds_bpermute_b32 v106, v109, v4 offset:4
	ds_bpermute_b32 v107, v109, v5 offset:4
	;; [unrolled: 1-line block ×14, first 2 shown]
	s_waitcnt vmcnt(14)
	v_mul_f64 v[6:7], v[6:7], v[8:9]
	s_waitcnt lgkmcnt(14)
	v_fmac_f64_e32 v[100:101], v[6:7], v[104:105]
	s_waitcnt vmcnt(12)
	v_mul_f64 v[8:9], v[10:11], v[12:13]
	s_waitcnt lgkmcnt(12)
	v_fmac_f64_e32 v[100:101], v[8:9], v[106:107]
	;; [unrolled: 4-line block ×8, first 2 shown]
	v_mov_b64_e32 v[104:105], v[100:101]
.LBB126_81:                             ;   in Loop: Header=BB126_53 Depth=1
	s_add_u32 s18, s18, s3
	s_addc_u32 s19, s19, 0
	v_mov_b64_e32 v[4:5], s[8:9]
	s_add_u32 s20, s20, s3
	v_cmp_ge_i64_e32 vcc, s[18:19], v[4:5]
	v_lshl_add_u64 v[68:69], v[68:69], 0, s[6:7]
	v_lshl_add_u64 v[70:71], v[70:71], 0, s[6:7]
	s_addc_u32 s21, s21, 0
	v_lshl_add_u64 v[38:39], v[38:39], 0, s[6:7]
	v_lshl_add_u64 v[40:41], v[40:41], 0, s[6:7]
	;; [unrolled: 1-line block ×28, first 2 shown]
	s_cbranch_vccnz .LBB126_83
; %bb.82:                               ;   in Loop: Header=BB126_53 Depth=1
	v_mov_b64_e32 v[100:101], v[104:105]
	s_branch .LBB126_53
.LBB126_83:
	v_and_b32_e32 v1, 0x3ff, v0
	v_bfe_u32 v4, v0, 10, 10
	s_movk_i32 s3, 0x41
	v_mad_u32_u24 v2, v4, s3, v1
	v_bfe_u32 v0, v0, 6, 4
	v_lshl_add_u32 v5, v2, 3, 0
	v_mov_b32_e32 v2, 0
	v_add_u32_e32 v0, v0, v4
	v_mov_b32_e32 v3, v2
	v_cmp_gt_u32_e32 vcc, 64, v0
	ds_write_b64 v5, v[104:105]
	ds_write_b64 v5, v[2:3] offset:8320
	s_waitcnt lgkmcnt(0)
	s_barrier
	s_and_saveexec_b64 s[4:5], vcc
	s_cbranch_execz .LBB126_103
; %bb.84:
	s_load_dwordx2 s[4:5], s[0:1], 0x30
	v_and_b32_e32 v2, 63, v1
	v_cmp_gt_u32_e32 vcc, 16, v2
	v_mul_u32_u24_e32 v6, 0x41, v2
                                        ; implicit-def: $vgpr2_vgpr3
	s_and_saveexec_b64 s[0:1], vcc
; %bb.85:
	v_lshlrev_b32_e32 v2, 3, v0
	v_lshlrev_b32_e32 v3, 3, v6
	v_add3_u32 v2, 0, v2, v3
	ds_read_b64 v[2:3], v2
; %bb.86:
	s_or_b64 exec, exec, s[0:1]
	v_mbcnt_lo_u32_b32 v4, -1, 0
	v_mbcnt_hi_u32_b32 v10, -1, v4
	v_and_b32_e32 v4, 64, v10
	v_add_u32_e32 v11, 64, v4
	v_xor_b32_e32 v4, 8, v10
	v_cmp_lt_i32_e64 s[0:1], v4, v11
	v_xor_b32_e32 v8, 4, v10
	s_mov_b32 s3, 0
	v_cndmask_b32_e64 v4, v10, v4, s[0:1]
	v_lshlrev_b32_e32 v7, 2, v4
	s_waitcnt lgkmcnt(0)
	ds_bpermute_b32 v4, v7, v2
	ds_bpermute_b32 v5, v7, v3
	v_cmp_lt_i32_e64 s[0:1], v8, v11
	s_lshl_b64 s[6:7], s[2:3], 6
	s_cmp_eq_u64 s[4:5], 0
	s_cselect_b64 s[8:9], -1, 0
	s_waitcnt lgkmcnt(0)
	v_add_f64 v[2:3], v[2:3], v[4:5]
	v_cndmask_b32_e64 v4, v10, v8, s[0:1]
	v_lshlrev_b32_e32 v8, 2, v4
	ds_bpermute_b32 v4, v8, v2
	ds_bpermute_b32 v5, v8, v3
	s_waitcnt lgkmcnt(0)
	v_add_f64 v[2:3], v[2:3], v[4:5]
	v_xor_b32_e32 v4, 2, v10
	v_cmp_lt_i32_e64 s[0:1], v4, v11
	s_nop 1
	v_cndmask_b32_e64 v4, v10, v4, s[0:1]
	v_lshlrev_b32_e32 v9, 2, v4
	ds_bpermute_b32 v4, v9, v2
	ds_bpermute_b32 v5, v9, v3
	s_waitcnt lgkmcnt(0)
	v_add_f64 v[2:3], v[2:3], v[4:5]
	v_xor_b32_e32 v4, 1, v10
	v_cmp_lt_i32_e64 s[0:1], v4, v11
	s_nop 1
	v_cndmask_b32_e64 v4, v10, v4, s[0:1]
	v_lshlrev_b32_e32 v10, 2, v4
	ds_bpermute_b32 v4, v10, v2
	ds_bpermute_b32 v5, v10, v3
	v_cmp_ne_u32_e64 s[0:1], 0, v1
	s_waitcnt lgkmcnt(0)
	v_add_f64 v[2:3], v[2:3], v[4:5]
	v_or_b32_e32 v4, s6, v0
	v_mov_b32_e32 v5, s7
	v_cmp_le_i64_e64 s[2:3], s[10:11], v[4:5]
	s_or_b64 s[2:3], s[0:1], s[2:3]
	s_nor_b64 s[12:13], s[8:9], s[2:3]
	s_and_saveexec_b64 s[2:3], s[12:13]
	s_cbranch_execz .LBB126_88
; %bb.87:
	v_lshl_add_u64 v[4:5], v[4:5], 3, s[4:5]
	global_store_dwordx2 v[4:5], v[2:3], off
.LBB126_88:
	s_or_b64 exec, exec, s[2:3]
	v_cmp_gt_u32_e64 s[2:3], 48, v0
	s_and_b64 exec, exec, s[2:3]
	s_cbranch_execz .LBB126_103
; %bb.89:
	v_mov_b32_e32 v1, 0
	s_and_saveexec_b64 s[2:3], vcc
; %bb.90:
	v_lshlrev_b32_e32 v2, 3, v0
	v_lshlrev_b32_e32 v3, 3, v6
	v_add3_u32 v2, 0, v2, v3
	ds_read_b64 v[2:3], v2 offset:128
; %bb.91:
	s_or_b64 exec, exec, s[2:3]
	s_waitcnt lgkmcnt(0)
	ds_bpermute_b32 v4, v7, v2
	ds_bpermute_b32 v5, v7, v3
	v_add_u32_e32 v12, 16, v0
	v_mov_b32_e32 v13, v1
	v_lshl_add_u64 v[12:13], s[6:7], 0, v[12:13]
	v_cmp_le_i64_e64 s[2:3], s[10:11], v[12:13]
	s_waitcnt lgkmcnt(0)
	v_add_f64 v[2:3], v[2:3], v[4:5]
	ds_bpermute_b32 v4, v8, v2
	ds_bpermute_b32 v5, v8, v3
	s_or_b64 s[2:3], s[0:1], s[2:3]
	s_nor_b64 s[12:13], s[8:9], s[2:3]
	s_waitcnt lgkmcnt(0)
	v_add_f64 v[2:3], v[2:3], v[4:5]
	ds_bpermute_b32 v4, v9, v2
	ds_bpermute_b32 v5, v9, v3
	s_waitcnt lgkmcnt(0)
	v_add_f64 v[2:3], v[2:3], v[4:5]
	ds_bpermute_b32 v4, v10, v2
	ds_bpermute_b32 v5, v10, v3
	s_waitcnt lgkmcnt(0)
	v_add_f64 v[2:3], v[2:3], v[4:5]
	s_and_saveexec_b64 s[2:3], s[12:13]
	s_cbranch_execz .LBB126_93
; %bb.92:
	v_lshl_add_u64 v[4:5], s[6:7], 0, v[0:1]
	v_lshl_add_u64 v[4:5], v[4:5], 3, s[4:5]
	global_store_dwordx2 v[4:5], v[2:3], off offset:128
.LBB126_93:
	s_or_b64 exec, exec, s[2:3]
	v_cmp_gt_u32_e64 s[2:3], 32, v0
	s_and_b64 exec, exec, s[2:3]
	s_cbranch_execz .LBB126_103
; %bb.94:
	s_and_saveexec_b64 s[2:3], vcc
; %bb.95:
	v_lshlrev_b32_e32 v2, 3, v0
	v_lshlrev_b32_e32 v3, 3, v6
	v_add3_u32 v2, 0, v2, v3
	ds_read_b64 v[2:3], v2 offset:256
; %bb.96:
	s_or_b64 exec, exec, s[2:3]
	s_waitcnt lgkmcnt(0)
	ds_bpermute_b32 v4, v7, v2
	ds_bpermute_b32 v5, v7, v3
	v_add_u32_e32 v11, 32, v0
	v_mov_b32_e32 v13, s7
	v_or_b32_e32 v12, s6, v11
	v_cmp_le_i64_e64 s[2:3], s[10:11], v[12:13]
	s_waitcnt lgkmcnt(0)
	v_add_f64 v[2:3], v[2:3], v[4:5]
	ds_bpermute_b32 v4, v8, v2
	ds_bpermute_b32 v5, v8, v3
	s_or_b64 s[2:3], s[0:1], s[2:3]
	s_nor_b64 s[12:13], s[8:9], s[2:3]
	s_waitcnt lgkmcnt(0)
	v_add_f64 v[2:3], v[2:3], v[4:5]
	ds_bpermute_b32 v4, v9, v2
	ds_bpermute_b32 v5, v9, v3
	s_waitcnt lgkmcnt(0)
	v_add_f64 v[2:3], v[2:3], v[4:5]
	ds_bpermute_b32 v4, v10, v2
	ds_bpermute_b32 v5, v10, v3
	s_waitcnt lgkmcnt(0)
	v_add_f64 v[2:3], v[2:3], v[4:5]
	s_and_saveexec_b64 s[2:3], s[12:13]
	s_cbranch_execz .LBB126_98
; %bb.97:
	v_lshl_add_u64 v[4:5], s[6:7], 0, v[0:1]
	v_lshl_add_u64 v[4:5], v[4:5], 3, s[4:5]
	global_store_dwordx2 v[4:5], v[2:3], off offset:256
.LBB126_98:
	s_or_b64 exec, exec, s[2:3]
	v_cmp_gt_u32_e64 s[2:3], 16, v0
	s_and_b64 exec, exec, s[2:3]
	s_cbranch_execz .LBB126_103
; %bb.99:
	s_and_saveexec_b64 s[2:3], vcc
; %bb.100:
	v_lshlrev_b32_e32 v2, 3, v0
	v_lshlrev_b32_e32 v3, 3, v6
	v_add3_u32 v2, 0, v2, v3
	ds_read_b64 v[2:3], v2 offset:384
; %bb.101:
	s_or_b64 exec, exec, s[2:3]
	s_waitcnt lgkmcnt(0)
	ds_bpermute_b32 v4, v7, v2
	ds_bpermute_b32 v5, v7, v3
	v_add_u32_e32 v6, 48, v0
	v_or_b32_e32 v6, s6, v6
	v_mov_b32_e32 v7, s7
	v_cmp_le_i64_e32 vcc, s[10:11], v[6:7]
	s_waitcnt lgkmcnt(0)
	v_add_f64 v[2:3], v[2:3], v[4:5]
	ds_bpermute_b32 v4, v8, v2
	ds_bpermute_b32 v5, v8, v3
	s_or_b64 s[0:1], s[0:1], vcc
	s_nor_b64 s[0:1], s[8:9], s[0:1]
	s_waitcnt lgkmcnt(0)
	v_add_f64 v[2:3], v[2:3], v[4:5]
	ds_bpermute_b32 v4, v9, v2
	ds_bpermute_b32 v5, v9, v3
	s_waitcnt lgkmcnt(0)
	v_add_f64 v[2:3], v[2:3], v[4:5]
	ds_bpermute_b32 v4, v10, v2
	ds_bpermute_b32 v5, v10, v3
	s_and_saveexec_b64 s[2:3], s[0:1]
	s_xor_b64 s[2:3], exec, s[2:3]
	s_cbranch_execz .LBB126_103
; %bb.102:
	v_lshl_add_u64 v[0:1], s[6:7], 0, v[0:1]
	s_waitcnt lgkmcnt(0)
	v_add_f64 v[2:3], v[2:3], v[4:5]
	v_lshl_add_u64 v[0:1], v[0:1], 3, s[4:5]
	global_store_dwordx2 v[0:1], v[2:3], off offset:384
.LBB126_103:
	s_endpgm
	.section	.rodata,"a",@progbits
	.p2align	6, 0x0
	.amdhsa_kernel _ZN2at6native12_GLOBAL__N_135GammaBetaBackwardCUDAKernelTemplateIddLj64ELj16ELj128ELb0ELb0ELb1EEEvllPKT_S5_PKT0_S8_PS3_S9_
		.amdhsa_group_segment_fixed_size 0
		.amdhsa_private_segment_fixed_size 0
		.amdhsa_kernarg_size 320
		.amdhsa_user_sgpr_count 2
		.amdhsa_user_sgpr_dispatch_ptr 0
		.amdhsa_user_sgpr_queue_ptr 0
		.amdhsa_user_sgpr_kernarg_segment_ptr 1
		.amdhsa_user_sgpr_dispatch_id 0
		.amdhsa_user_sgpr_kernarg_preload_length 0
		.amdhsa_user_sgpr_kernarg_preload_offset 0
		.amdhsa_user_sgpr_private_segment_size 0
		.amdhsa_uses_dynamic_stack 0
		.amdhsa_enable_private_segment 0
		.amdhsa_system_sgpr_workgroup_id_x 1
		.amdhsa_system_sgpr_workgroup_id_y 1
		.amdhsa_system_sgpr_workgroup_id_z 0
		.amdhsa_system_sgpr_workgroup_info 0
		.amdhsa_system_vgpr_workitem_id 1
		.amdhsa_next_free_vgpr 120
		.amdhsa_next_free_sgpr 50
		.amdhsa_accum_offset 120
		.amdhsa_reserve_vcc 1
		.amdhsa_float_round_mode_32 0
		.amdhsa_float_round_mode_16_64 0
		.amdhsa_float_denorm_mode_32 3
		.amdhsa_float_denorm_mode_16_64 3
		.amdhsa_dx10_clamp 1
		.amdhsa_ieee_mode 1
		.amdhsa_fp16_overflow 0
		.amdhsa_tg_split 0
		.amdhsa_exception_fp_ieee_invalid_op 0
		.amdhsa_exception_fp_denorm_src 0
		.amdhsa_exception_fp_ieee_div_zero 0
		.amdhsa_exception_fp_ieee_overflow 0
		.amdhsa_exception_fp_ieee_underflow 0
		.amdhsa_exception_fp_ieee_inexact 0
		.amdhsa_exception_int_div_zero 0
	.end_amdhsa_kernel
	.section	.text._ZN2at6native12_GLOBAL__N_135GammaBetaBackwardCUDAKernelTemplateIddLj64ELj16ELj128ELb0ELb0ELb1EEEvllPKT_S5_PKT0_S8_PS3_S9_,"axG",@progbits,_ZN2at6native12_GLOBAL__N_135GammaBetaBackwardCUDAKernelTemplateIddLj64ELj16ELj128ELb0ELb0ELb1EEEvllPKT_S5_PKT0_S8_PS3_S9_,comdat
.Lfunc_end126:
	.size	_ZN2at6native12_GLOBAL__N_135GammaBetaBackwardCUDAKernelTemplateIddLj64ELj16ELj128ELb0ELb0ELb1EEEvllPKT_S5_PKT0_S8_PS3_S9_, .Lfunc_end126-_ZN2at6native12_GLOBAL__N_135GammaBetaBackwardCUDAKernelTemplateIddLj64ELj16ELj128ELb0ELb0ELb1EEEvllPKT_S5_PKT0_S8_PS3_S9_
                                        ; -- End function
	.set _ZN2at6native12_GLOBAL__N_135GammaBetaBackwardCUDAKernelTemplateIddLj64ELj16ELj128ELb0ELb0ELb1EEEvllPKT_S5_PKT0_S8_PS3_S9_.num_vgpr, 120
	.set _ZN2at6native12_GLOBAL__N_135GammaBetaBackwardCUDAKernelTemplateIddLj64ELj16ELj128ELb0ELb0ELb1EEEvllPKT_S5_PKT0_S8_PS3_S9_.num_agpr, 0
	.set _ZN2at6native12_GLOBAL__N_135GammaBetaBackwardCUDAKernelTemplateIddLj64ELj16ELj128ELb0ELb0ELb1EEEvllPKT_S5_PKT0_S8_PS3_S9_.numbered_sgpr, 50
	.set _ZN2at6native12_GLOBAL__N_135GammaBetaBackwardCUDAKernelTemplateIddLj64ELj16ELj128ELb0ELb0ELb1EEEvllPKT_S5_PKT0_S8_PS3_S9_.num_named_barrier, 0
	.set _ZN2at6native12_GLOBAL__N_135GammaBetaBackwardCUDAKernelTemplateIddLj64ELj16ELj128ELb0ELb0ELb1EEEvllPKT_S5_PKT0_S8_PS3_S9_.private_seg_size, 0
	.set _ZN2at6native12_GLOBAL__N_135GammaBetaBackwardCUDAKernelTemplateIddLj64ELj16ELj128ELb0ELb0ELb1EEEvllPKT_S5_PKT0_S8_PS3_S9_.uses_vcc, 1
	.set _ZN2at6native12_GLOBAL__N_135GammaBetaBackwardCUDAKernelTemplateIddLj64ELj16ELj128ELb0ELb0ELb1EEEvllPKT_S5_PKT0_S8_PS3_S9_.uses_flat_scratch, 0
	.set _ZN2at6native12_GLOBAL__N_135GammaBetaBackwardCUDAKernelTemplateIddLj64ELj16ELj128ELb0ELb0ELb1EEEvllPKT_S5_PKT0_S8_PS3_S9_.has_dyn_sized_stack, 0
	.set _ZN2at6native12_GLOBAL__N_135GammaBetaBackwardCUDAKernelTemplateIddLj64ELj16ELj128ELb0ELb0ELb1EEEvllPKT_S5_PKT0_S8_PS3_S9_.has_recursion, 0
	.set _ZN2at6native12_GLOBAL__N_135GammaBetaBackwardCUDAKernelTemplateIddLj64ELj16ELj128ELb0ELb0ELb1EEEvllPKT_S5_PKT0_S8_PS3_S9_.has_indirect_call, 0
	.section	.AMDGPU.csdata,"",@progbits
; Kernel info:
; codeLenInByte = 7572
; TotalNumSgprs: 56
; NumVgprs: 120
; NumAgprs: 0
; TotalNumVgprs: 120
; ScratchSize: 0
; MemoryBound: 1
; FloatMode: 240
; IeeeMode: 1
; LDSByteSize: 0 bytes/workgroup (compile time only)
; SGPRBlocks: 6
; VGPRBlocks: 14
; NumSGPRsForWavesPerEU: 56
; NumVGPRsForWavesPerEU: 120
; AccumOffset: 120
; Occupancy: 4
; WaveLimiterHint : 0
; COMPUTE_PGM_RSRC2:SCRATCH_EN: 0
; COMPUTE_PGM_RSRC2:USER_SGPR: 2
; COMPUTE_PGM_RSRC2:TRAP_HANDLER: 0
; COMPUTE_PGM_RSRC2:TGID_X_EN: 1
; COMPUTE_PGM_RSRC2:TGID_Y_EN: 1
; COMPUTE_PGM_RSRC2:TGID_Z_EN: 0
; COMPUTE_PGM_RSRC2:TIDIG_COMP_CNT: 1
; COMPUTE_PGM_RSRC3_GFX90A:ACCUM_OFFSET: 29
; COMPUTE_PGM_RSRC3_GFX90A:TG_SPLIT: 0
	.section	.text._ZN2at6native12_GLOBAL__N_135GammaBetaBackwardCUDAKernelTemplateIddLj64ELj16ELj256ELb0ELb1ELb1EEEvllPKT_S5_PKT0_S8_PS3_S9_,"axG",@progbits,_ZN2at6native12_GLOBAL__N_135GammaBetaBackwardCUDAKernelTemplateIddLj64ELj16ELj256ELb0ELb1ELb1EEEvllPKT_S5_PKT0_S8_PS3_S9_,comdat
	.globl	_ZN2at6native12_GLOBAL__N_135GammaBetaBackwardCUDAKernelTemplateIddLj64ELj16ELj256ELb0ELb1ELb1EEEvllPKT_S5_PKT0_S8_PS3_S9_ ; -- Begin function _ZN2at6native12_GLOBAL__N_135GammaBetaBackwardCUDAKernelTemplateIddLj64ELj16ELj256ELb0ELb1ELb1EEEvllPKT_S5_PKT0_S8_PS3_S9_
	.p2align	8
	.type	_ZN2at6native12_GLOBAL__N_135GammaBetaBackwardCUDAKernelTemplateIddLj64ELj16ELj256ELb0ELb1ELb1EEEvllPKT_S5_PKT0_S8_PS3_S9_,@function
_ZN2at6native12_GLOBAL__N_135GammaBetaBackwardCUDAKernelTemplateIddLj64ELj16ELj256ELb0ELb1ELb1EEEvllPKT_S5_PKT0_S8_PS3_S9_: ; @_ZN2at6native12_GLOBAL__N_135GammaBetaBackwardCUDAKernelTemplateIddLj64ELj16ELj256ELb0ELb1ELb1EEEvllPKT_S5_PKT0_S8_PS3_S9_
; %bb.0:
	s_load_dwordx4 s[4:7], s[0:1], 0x0
	s_lshl_b32 s14, s3, 8
	s_mov_b32 s15, 0
	v_mov_b64_e32 v[2:3], s[14:15]
	v_bfe_u32 v18, v0, 10, 10
	s_waitcnt lgkmcnt(0)
	v_cmp_gt_i64_e32 vcc, s[4:5], v[2:3]
	s_cbranch_vccnz .LBB127_2
; %bb.1:
	s_mov_b64 s[8:9], 0
	v_bfe_u32 v2, v0, 10, 10
	s_branch .LBB127_3
.LBB127_2:
	s_mov_b64 s[8:9], -1
                                        ; implicit-def: $vgpr2
.LBB127_3:
	s_load_dwordx2 s[12:13], s[0:1], 0x30
	v_and_b32_e32 v16, 0x3ff, v0
	v_mov_b64_e32 v[0:1], 0
	s_andn2_b64 vcc, exec, s[8:9]
	v_mbcnt_lo_u32_b32 v17, -1, 0
	s_cbranch_vccnz .LBB127_11
; %bb.4:
	s_load_dword s3, s[0:1], 0x4c
	s_load_dword s16, s[0:1], 0x44
	s_load_dwordx2 s[18:19], s[0:1], 0x28
	s_load_dwordx4 s[8:11], s[0:1], 0x10
	v_lshlrev_b32_e32 v0, 4, v18
	s_waitcnt lgkmcnt(0)
	s_and_b32 s0, s3, 0xffff
	v_mad_u32_u24 v1, v18, s0, v16
	v_and_b32_e32 v2, 63, v1
	v_mov_b32_e32 v1, 0
	v_mov_b32_e32 v3, v1
	;; [unrolled: 1-line block ×3, first 2 shown]
	v_lshl_add_u64 v[0:1], v[0:1], 0, s[14:15]
	v_cmp_gt_u32_e64 s[0:1], 16, v2
	v_mbcnt_hi_u32_b32 v4, -1, v17
	s_lshl_b32 s16, s16, 8
	v_lshl_add_u64 v[2:3], v[0:1], 0, v[2:3]
	v_mul_lo_u32 v8, s7, v0
	v_mul_lo_u32 v9, s6, v1
	v_mad_u64_u32 v[0:1], s[20:21], s6, v0, 0
	v_lshl_add_u32 v6, s2, 6, v16
	v_lshlrev_b32_e32 v4, 2, v4
	s_mul_i32 s3, s7, s16
	s_mul_hi_u32 s20, s6, s16
	s_mov_b32 s17, 0
	v_and_b32_e32 v19, 0x100, v4
	v_add3_u32 v1, v1, v9, v8
	v_lshlrev_b64 v[6:7], 3, v[6:7]
	s_add_i32 s21, s20, s3
	s_mul_i32 s20, s6, s16
	v_or_b32_e32 v20, 4, v19
	v_or_b32_e32 v21, 8, v19
	;; [unrolled: 1-line block ×15, first 2 shown]
	v_lshl_add_u64 v[4:5], v[2:3], 3, s[18:19]
	s_lshl_b64 s[18:19], s[16:17], 3
	v_lshl_add_u64 v[6:7], v[0:1], 3, v[6:7]
	s_lshl_b64 s[20:21], s[20:21], 3
	s_lshl_b64 s[6:7], s[6:7], 3
	v_mov_b64_e32 v[0:1], 0
	v_mov_b64_e32 v[8:9], s[4:5]
	s_branch .LBB127_7
.LBB127_5:                              ;   in Loop: Header=BB127_7 Depth=1
	s_or_b64 exec, exec, s[24:25]
.LBB127_6:                              ;   in Loop: Header=BB127_7 Depth=1
	s_or_b64 exec, exec, s[22:23]
	v_lshl_add_u64 v[12:13], s[8:9], 0, v[6:7]
	v_lshl_add_u64 v[14:15], s[10:11], 0, v[6:7]
	global_load_dwordx2 v[36:37], v[12:13], off
	global_load_dwordx2 v[38:39], v[14:15], off
	v_lshl_add_u64 v[12:13], v[12:13], 0, s[6:7]
	v_lshl_add_u64 v[14:15], v[14:15], 0, s[6:7]
	global_load_dwordx2 v[40:41], v[12:13], off
	global_load_dwordx2 v[42:43], v[14:15], off
	;; [unrolled: 4-line block ×5, first 2 shown]
	s_add_u32 s14, s14, s16
	s_addc_u32 s15, s15, 0
	v_cmp_lt_i64_e32 vcc, s[14:15], v[8:9]
	v_lshl_add_u64 v[4:5], v[4:5], 0, s[18:19]
	v_lshl_add_u64 v[2:3], v[2:3], 0, s[16:17]
	;; [unrolled: 1-line block ×3, first 2 shown]
	s_and_b64 vcc, exec, vcc
	s_waitcnt vmcnt(8)
	v_mul_f64 v[36:37], v[36:37], v[38:39]
	ds_bpermute_b32 v38, v19, v10
	ds_bpermute_b32 v39, v19, v11
	s_waitcnt vmcnt(6)
	v_mul_f64 v[40:41], v[40:41], v[42:43]
	s_waitcnt vmcnt(4)
	v_mul_f64 v[44:45], v[44:45], v[46:47]
	s_waitcnt lgkmcnt(0)
	v_fmac_f64_e32 v[0:1], v[36:37], v[38:39]
	v_lshl_add_u64 v[38:39], v[52:53], 0, s[6:7]
	v_lshl_add_u64 v[52:53], v[54:55], 0, s[6:7]
	global_load_dwordx2 v[54:55], v[38:39], off
	global_load_dwordx2 v[42:43], v[52:53], off
	ds_bpermute_b32 v36, v20, v10
	ds_bpermute_b32 v37, v20, v11
	v_lshl_add_u64 v[38:39], v[38:39], 0, s[6:7]
	s_waitcnt vmcnt(4)
	v_mul_f64 v[48:49], v[48:49], v[50:51]
	s_waitcnt vmcnt(2)
	v_mul_f64 v[12:13], v[12:13], v[14:15]
	s_waitcnt lgkmcnt(0)
	v_fmac_f64_e32 v[0:1], v[40:41], v[36:37]
	v_lshl_add_u64 v[40:41], v[52:53], 0, s[6:7]
	ds_bpermute_b32 v36, v21, v10
	ds_bpermute_b32 v37, v21, v11
	global_load_dwordx2 v[46:47], v[40:41], off
	global_load_dwordx2 v[52:53], v[38:39], off
	v_lshl_add_u64 v[38:39], v[38:39], 0, s[6:7]
	v_lshl_add_u64 v[40:41], v[40:41], 0, s[6:7]
	s_waitcnt lgkmcnt(0)
	v_fmac_f64_e32 v[0:1], v[44:45], v[36:37]
	ds_bpermute_b32 v36, v22, v10
	ds_bpermute_b32 v37, v22, v11
	global_load_dwordx2 v[44:45], v[38:39], off
	global_load_dwordx2 v[50:51], v[40:41], off
	v_lshl_add_u64 v[38:39], v[38:39], 0, s[6:7]
	v_lshl_add_u64 v[40:41], v[40:41], 0, s[6:7]
	s_waitcnt lgkmcnt(0)
	v_fmac_f64_e32 v[0:1], v[48:49], v[36:37]
	global_load_dwordx2 v[48:49], v[38:39], off
	global_load_dwordx2 v[14:15], v[40:41], off
	ds_bpermute_b32 v36, v23, v10
	ds_bpermute_b32 v37, v23, v11
	v_lshl_add_u64 v[38:39], v[38:39], 0, s[6:7]
	v_lshl_add_u64 v[40:41], v[40:41], 0, s[6:7]
	s_waitcnt lgkmcnt(0)
	v_fmac_f64_e32 v[0:1], v[12:13], v[36:37]
	global_load_dwordx2 v[12:13], v[38:39], off
	global_load_dwordx2 v[36:37], v[40:41], off
	v_lshl_add_u64 v[38:39], v[38:39], 0, s[6:7]
	v_lshl_add_u64 v[40:41], v[40:41], 0, s[6:7]
	s_waitcnt vmcnt(8)
	v_mul_f64 v[42:43], v[54:55], v[42:43]
	ds_bpermute_b32 v54, v24, v10
	ds_bpermute_b32 v55, v24, v11
	s_waitcnt lgkmcnt(0)
	v_fmac_f64_e32 v[0:1], v[42:43], v[54:55]
	ds_bpermute_b32 v42, v25, v10
	ds_bpermute_b32 v43, v25, v11
	;; [unrolled: 1-line block ×4, first 2 shown]
	s_waitcnt vmcnt(6)
	v_mul_f64 v[46:47], v[52:53], v[46:47]
	ds_bpermute_b32 v52, v27, v10
	s_waitcnt lgkmcnt(3)
	v_fmac_f64_e32 v[0:1], v[46:47], v[42:43]
	global_load_dwordx2 v[42:43], v[38:39], off
	global_load_dwordx2 v[46:47], v[40:41], off
	ds_bpermute_b32 v53, v27, v11
	v_lshl_add_u64 v[38:39], v[38:39], 0, s[6:7]
	v_lshl_add_u64 v[40:41], v[40:41], 0, s[6:7]
	s_waitcnt vmcnt(6)
	v_mul_f64 v[44:45], v[44:45], v[50:51]
	s_waitcnt lgkmcnt(2)
	v_fmac_f64_e32 v[0:1], v[44:45], v[54:55]
	global_load_dwordx2 v[44:45], v[38:39], off
	global_load_dwordx2 v[54:55], v[40:41], off
	v_lshl_add_u64 v[38:39], v[38:39], 0, s[6:7]
	v_lshl_add_u64 v[40:41], v[40:41], 0, s[6:7]
	s_waitcnt vmcnt(6)
	v_mul_f64 v[14:15], v[48:49], v[14:15]
	global_load_dwordx2 v[48:49], v[38:39], off
	s_waitcnt lgkmcnt(0)
	v_fmac_f64_e32 v[0:1], v[14:15], v[52:53]
	global_load_dwordx2 v[14:15], v[40:41], off
	ds_bpermute_b32 v50, v28, v10
	ds_bpermute_b32 v51, v28, v11
	v_lshl_add_u64 v[38:39], v[38:39], 0, s[6:7]
	v_lshl_add_u64 v[40:41], v[40:41], 0, s[6:7]
	global_load_dwordx2 v[52:53], v[38:39], off
	s_waitcnt vmcnt(7)
	v_mul_f64 v[12:13], v[12:13], v[36:37]
	global_load_dwordx2 v[36:37], v[40:41], off
	v_lshl_add_u64 v[38:39], v[38:39], 0, s[6:7]
	v_lshl_add_u64 v[40:41], v[40:41], 0, s[6:7]
	s_waitcnt lgkmcnt(0)
	v_fmac_f64_e32 v[0:1], v[12:13], v[50:51]
	global_load_dwordx2 v[12:13], v[38:39], off
	global_load_dwordx2 v[50:51], v[40:41], off
	v_lshl_add_u64 v[38:39], v[38:39], 0, s[6:7]
	v_lshl_add_u64 v[40:41], v[40:41], 0, s[6:7]
	global_load_dwordx2 v[38:39], v[38:39], off
	s_waitcnt vmcnt(9)
	v_mul_f64 v[42:43], v[42:43], v[46:47]
	global_load_dwordx2 v[40:41], v[40:41], off
	ds_bpermute_b32 v46, v29, v10
	ds_bpermute_b32 v47, v29, v11
	s_waitcnt vmcnt(8)
	v_mul_f64 v[44:45], v[44:45], v[54:55]
	s_waitcnt lgkmcnt(0)
	v_fmac_f64_e32 v[0:1], v[42:43], v[46:47]
	ds_bpermute_b32 v42, v30, v10
	ds_bpermute_b32 v43, v30, v11
	;; [unrolled: 1-line block ×4, first 2 shown]
	s_waitcnt vmcnt(6)
	v_mul_f64 v[14:15], v[48:49], v[14:15]
	s_waitcnt lgkmcnt(2)
	v_fmac_f64_e32 v[0:1], v[44:45], v[42:43]
	ds_bpermute_b32 v42, v33, v10
	s_waitcnt lgkmcnt(1)
	v_fmac_f64_e32 v[0:1], v[14:15], v[46:47]
	ds_bpermute_b32 v14, v32, v10
	ds_bpermute_b32 v15, v32, v11
	;; [unrolled: 1-line block ×5, first 2 shown]
	s_waitcnt vmcnt(4)
	v_mul_f64 v[36:37], v[52:53], v[36:37]
	s_waitcnt lgkmcnt(3)
	v_fmac_f64_e32 v[0:1], v[36:37], v[14:15]
	s_waitcnt vmcnt(2)
	v_mul_f64 v[12:13], v[12:13], v[50:51]
	s_waitcnt lgkmcnt(2)
	v_fmac_f64_e32 v[0:1], v[12:13], v[42:43]
	;; [unrolled: 4-line block ×3, first 2 shown]
	s_cbranch_vccz .LBB127_10
.LBB127_7:                              ; =>This Inner Loop Header: Depth=1
	v_mov_b64_e32 v[10:11], 0
	s_and_saveexec_b64 s[22:23], s[0:1]
	s_cbranch_execz .LBB127_6
; %bb.8:                                ;   in Loop: Header=BB127_7 Depth=1
	v_cmp_gt_i64_e32 vcc, s[4:5], v[2:3]
	v_mov_b64_e32 v[10:11], 0
	s_and_saveexec_b64 s[24:25], vcc
	s_cbranch_execz .LBB127_5
; %bb.9:                                ;   in Loop: Header=BB127_7 Depth=1
	global_load_dwordx2 v[10:11], v[4:5], off
	s_branch .LBB127_5
.LBB127_10:
	v_mov_b32_e32 v2, v18
.LBB127_11:
	s_movk_i32 s0, 0x41
	v_mad_u32_u24 v3, v2, s0, v16
	v_lshl_add_u32 v3, v3, 3, 0
	ds_write_b64 v3, v[0:1]
	v_mov_b32_e32 v0, 0
	v_mov_b32_e32 v1, v0
	ds_write_b64 v3, v[0:1] offset:8320
	v_lshrrev_b32_e32 v0, 6, v16
	v_add_u32_e32 v0, v0, v2
	v_cmp_gt_u32_e32 vcc, 64, v0
	s_waitcnt lgkmcnt(0)
	s_barrier
	s_and_saveexec_b64 s[0:1], vcc
	s_cbranch_execz .LBB127_31
; %bb.12:
	v_and_b32_e32 v1, 63, v16
	v_cmp_gt_u32_e32 vcc, 16, v1
	v_mul_u32_u24_e32 v4, 0x41, v1
                                        ; implicit-def: $vgpr2_vgpr3
	s_and_saveexec_b64 s[0:1], vcc
; %bb.13:
	v_lshlrev_b32_e32 v1, 3, v0
	v_lshlrev_b32_e32 v2, 3, v4
	v_add3_u32 v1, 0, v1, v2
	ds_read_b64 v[2:3], v1
; %bb.14:
	s_or_b64 exec, exec, s[0:1]
	v_mbcnt_hi_u32_b32 v1, -1, v17
	v_and_b32_e32 v5, 64, v1
	v_add_u32_e32 v10, 64, v5
	v_xor_b32_e32 v5, 8, v1
	v_cmp_lt_i32_e64 s[0:1], v5, v10
	v_xor_b32_e32 v8, 4, v1
	s_cmp_lg_u64 s[12:13], 0
	v_cndmask_b32_e64 v5, v1, v5, s[0:1]
	v_lshlrev_b32_e32 v5, 2, v5
	s_waitcnt lgkmcnt(0)
	ds_bpermute_b32 v6, v5, v2
	ds_bpermute_b32 v7, v5, v3
	v_cmp_lt_i32_e64 s[0:1], v8, v10
	s_mov_b32 s3, 0
	s_cselect_b64 s[6:7], -1, 0
	s_waitcnt lgkmcnt(0)
	v_add_f64 v[2:3], v[2:3], v[6:7]
	v_cndmask_b32_e64 v6, v1, v8, s[0:1]
	v_lshlrev_b32_e32 v6, 2, v6
	ds_bpermute_b32 v8, v6, v2
	ds_bpermute_b32 v9, v6, v3
	v_xor_b32_e32 v7, 2, v1
	v_cmp_lt_i32_e64 s[0:1], v7, v10
	s_waitcnt lgkmcnt(0)
	v_add_f64 v[2:3], v[2:3], v[8:9]
	v_cndmask_b32_e64 v7, v1, v7, s[0:1]
	v_lshlrev_b32_e32 v7, 2, v7
	ds_bpermute_b32 v8, v7, v2
	ds_bpermute_b32 v9, v7, v3
	v_cmp_eq_u32_e64 s[0:1], 0, v16
	s_waitcnt lgkmcnt(0)
	v_add_f64 v[2:3], v[2:3], v[8:9]
	v_xor_b32_e32 v8, 1, v1
	v_cmp_lt_i32_e64 s[4:5], v8, v10
	s_nop 1
	v_cndmask_b32_e64 v1, v1, v8, s[4:5]
	v_lshlrev_b32_e32 v8, 2, v1
	ds_bpermute_b32 v10, v8, v2
	ds_bpermute_b32 v11, v8, v3
	s_and_b64 s[4:5], s[0:1], s[6:7]
	s_lshl_b64 s[0:1], s[2:3], 9
	s_add_u32 s2, s12, s0
	s_addc_u32 s3, s13, s1
	s_waitcnt lgkmcnt(0)
	v_add_f64 v[2:3], v[2:3], v[10:11]
	s_and_saveexec_b64 s[0:1], s[4:5]
	s_cbranch_execz .LBB127_16
; %bb.15:
	v_mov_b32_e32 v1, 0
	v_lshl_add_u64 v[10:11], v[0:1], 3, s[2:3]
	global_store_dwordx2 v[10:11], v[2:3], off
.LBB127_16:
	s_or_b64 exec, exec, s[0:1]
	v_cmp_gt_u32_e64 s[0:1], 48, v0
	s_and_b64 exec, exec, s[0:1]
	s_cbranch_execz .LBB127_31
; %bb.17:
	s_and_saveexec_b64 s[0:1], vcc
; %bb.18:
	v_lshlrev_b32_e32 v1, 3, v0
	v_lshlrev_b32_e32 v2, 3, v4
	v_add3_u32 v1, 0, v1, v2
	ds_read_b64 v[2:3], v1 offset:128
; %bb.19:
	s_or_b64 exec, exec, s[0:1]
	s_waitcnt lgkmcnt(0)
	ds_bpermute_b32 v10, v5, v2
	ds_bpermute_b32 v11, v5, v3
	s_waitcnt lgkmcnt(0)
	v_add_f64 v[2:3], v[2:3], v[10:11]
	ds_bpermute_b32 v10, v6, v2
	ds_bpermute_b32 v11, v6, v3
	s_waitcnt lgkmcnt(0)
	v_add_f64 v[2:3], v[2:3], v[10:11]
	;; [unrolled: 4-line block ×4, first 2 shown]
	s_and_saveexec_b64 s[0:1], s[4:5]
	s_cbranch_execz .LBB127_21
; %bb.20:
	v_mov_b32_e32 v1, 0
	v_lshl_add_u64 v[10:11], v[0:1], 3, s[2:3]
	global_store_dwordx2 v[10:11], v[2:3], off offset:128
.LBB127_21:
	s_or_b64 exec, exec, s[0:1]
	v_cmp_gt_u32_e64 s[0:1], 32, v0
	s_and_b64 exec, exec, s[0:1]
	s_cbranch_execz .LBB127_31
; %bb.22:
	s_and_saveexec_b64 s[0:1], vcc
; %bb.23:
	v_lshlrev_b32_e32 v1, 3, v0
	v_lshlrev_b32_e32 v2, 3, v4
	v_add3_u32 v1, 0, v1, v2
	ds_read_b64 v[2:3], v1 offset:256
; %bb.24:
	s_or_b64 exec, exec, s[0:1]
	s_waitcnt lgkmcnt(0)
	ds_bpermute_b32 v10, v5, v2
	ds_bpermute_b32 v11, v5, v3
	s_waitcnt lgkmcnt(0)
	v_add_f64 v[2:3], v[2:3], v[10:11]
	ds_bpermute_b32 v10, v6, v2
	ds_bpermute_b32 v11, v6, v3
	s_waitcnt lgkmcnt(0)
	v_add_f64 v[2:3], v[2:3], v[10:11]
	;; [unrolled: 4-line block ×4, first 2 shown]
	s_and_saveexec_b64 s[0:1], s[4:5]
	s_cbranch_execz .LBB127_26
; %bb.25:
	v_mov_b32_e32 v1, 0
	v_lshl_add_u64 v[10:11], v[0:1], 3, s[2:3]
	global_store_dwordx2 v[10:11], v[2:3], off offset:256
.LBB127_26:
	s_or_b64 exec, exec, s[0:1]
	v_cmp_gt_u32_e64 s[0:1], 16, v0
	s_and_b64 exec, exec, s[0:1]
	s_cbranch_execz .LBB127_31
; %bb.27:
	s_and_saveexec_b64 s[0:1], vcc
; %bb.28:
	v_lshlrev_b32_e32 v1, 3, v0
	v_lshlrev_b32_e32 v2, 3, v4
	v_add3_u32 v1, 0, v1, v2
	ds_read_b64 v[2:3], v1 offset:384
; %bb.29:
	s_or_b64 exec, exec, s[0:1]
	s_waitcnt lgkmcnt(0)
	ds_bpermute_b32 v4, v5, v2
	ds_bpermute_b32 v5, v5, v3
	s_waitcnt lgkmcnt(0)
	v_add_f64 v[2:3], v[2:3], v[4:5]
	ds_bpermute_b32 v4, v6, v2
	ds_bpermute_b32 v5, v6, v3
	s_waitcnt lgkmcnt(0)
	v_add_f64 v[2:3], v[2:3], v[4:5]
	ds_bpermute_b32 v4, v7, v2
	ds_bpermute_b32 v5, v7, v3
	s_waitcnt lgkmcnt(0)
	v_add_f64 v[2:3], v[2:3], v[4:5]
	ds_bpermute_b32 v4, v8, v2
	ds_bpermute_b32 v5, v8, v3
	s_and_saveexec_b64 s[0:1], s[4:5]
	s_xor_b64 s[0:1], exec, s[0:1]
	s_cbranch_execz .LBB127_31
; %bb.30:
	v_mov_b32_e32 v1, 0
	s_waitcnt lgkmcnt(0)
	v_add_f64 v[2:3], v[2:3], v[4:5]
	v_lshl_add_u64 v[0:1], v[0:1], 3, s[2:3]
	global_store_dwordx2 v[0:1], v[2:3], off offset:384
.LBB127_31:
	s_endpgm
	.section	.rodata,"a",@progbits
	.p2align	6, 0x0
	.amdhsa_kernel _ZN2at6native12_GLOBAL__N_135GammaBetaBackwardCUDAKernelTemplateIddLj64ELj16ELj256ELb0ELb1ELb1EEEvllPKT_S5_PKT0_S8_PS3_S9_
		.amdhsa_group_segment_fixed_size 0
		.amdhsa_private_segment_fixed_size 0
		.amdhsa_kernarg_size 320
		.amdhsa_user_sgpr_count 2
		.amdhsa_user_sgpr_dispatch_ptr 0
		.amdhsa_user_sgpr_queue_ptr 0
		.amdhsa_user_sgpr_kernarg_segment_ptr 1
		.amdhsa_user_sgpr_dispatch_id 0
		.amdhsa_user_sgpr_kernarg_preload_length 0
		.amdhsa_user_sgpr_kernarg_preload_offset 0
		.amdhsa_user_sgpr_private_segment_size 0
		.amdhsa_uses_dynamic_stack 0
		.amdhsa_enable_private_segment 0
		.amdhsa_system_sgpr_workgroup_id_x 1
		.amdhsa_system_sgpr_workgroup_id_y 1
		.amdhsa_system_sgpr_workgroup_id_z 0
		.amdhsa_system_sgpr_workgroup_info 0
		.amdhsa_system_vgpr_workitem_id 1
		.amdhsa_next_free_vgpr 56
		.amdhsa_next_free_sgpr 26
		.amdhsa_accum_offset 56
		.amdhsa_reserve_vcc 1
		.amdhsa_float_round_mode_32 0
		.amdhsa_float_round_mode_16_64 0
		.amdhsa_float_denorm_mode_32 3
		.amdhsa_float_denorm_mode_16_64 3
		.amdhsa_dx10_clamp 1
		.amdhsa_ieee_mode 1
		.amdhsa_fp16_overflow 0
		.amdhsa_tg_split 0
		.amdhsa_exception_fp_ieee_invalid_op 0
		.amdhsa_exception_fp_denorm_src 0
		.amdhsa_exception_fp_ieee_div_zero 0
		.amdhsa_exception_fp_ieee_overflow 0
		.amdhsa_exception_fp_ieee_underflow 0
		.amdhsa_exception_fp_ieee_inexact 0
		.amdhsa_exception_int_div_zero 0
	.end_amdhsa_kernel
	.section	.text._ZN2at6native12_GLOBAL__N_135GammaBetaBackwardCUDAKernelTemplateIddLj64ELj16ELj256ELb0ELb1ELb1EEEvllPKT_S5_PKT0_S8_PS3_S9_,"axG",@progbits,_ZN2at6native12_GLOBAL__N_135GammaBetaBackwardCUDAKernelTemplateIddLj64ELj16ELj256ELb0ELb1ELb1EEEvllPKT_S5_PKT0_S8_PS3_S9_,comdat
.Lfunc_end127:
	.size	_ZN2at6native12_GLOBAL__N_135GammaBetaBackwardCUDAKernelTemplateIddLj64ELj16ELj256ELb0ELb1ELb1EEEvllPKT_S5_PKT0_S8_PS3_S9_, .Lfunc_end127-_ZN2at6native12_GLOBAL__N_135GammaBetaBackwardCUDAKernelTemplateIddLj64ELj16ELj256ELb0ELb1ELb1EEEvllPKT_S5_PKT0_S8_PS3_S9_
                                        ; -- End function
	.set _ZN2at6native12_GLOBAL__N_135GammaBetaBackwardCUDAKernelTemplateIddLj64ELj16ELj256ELb0ELb1ELb1EEEvllPKT_S5_PKT0_S8_PS3_S9_.num_vgpr, 56
	.set _ZN2at6native12_GLOBAL__N_135GammaBetaBackwardCUDAKernelTemplateIddLj64ELj16ELj256ELb0ELb1ELb1EEEvllPKT_S5_PKT0_S8_PS3_S9_.num_agpr, 0
	.set _ZN2at6native12_GLOBAL__N_135GammaBetaBackwardCUDAKernelTemplateIddLj64ELj16ELj256ELb0ELb1ELb1EEEvllPKT_S5_PKT0_S8_PS3_S9_.numbered_sgpr, 26
	.set _ZN2at6native12_GLOBAL__N_135GammaBetaBackwardCUDAKernelTemplateIddLj64ELj16ELj256ELb0ELb1ELb1EEEvllPKT_S5_PKT0_S8_PS3_S9_.num_named_barrier, 0
	.set _ZN2at6native12_GLOBAL__N_135GammaBetaBackwardCUDAKernelTemplateIddLj64ELj16ELj256ELb0ELb1ELb1EEEvllPKT_S5_PKT0_S8_PS3_S9_.private_seg_size, 0
	.set _ZN2at6native12_GLOBAL__N_135GammaBetaBackwardCUDAKernelTemplateIddLj64ELj16ELj256ELb0ELb1ELb1EEEvllPKT_S5_PKT0_S8_PS3_S9_.uses_vcc, 1
	.set _ZN2at6native12_GLOBAL__N_135GammaBetaBackwardCUDAKernelTemplateIddLj64ELj16ELj256ELb0ELb1ELb1EEEvllPKT_S5_PKT0_S8_PS3_S9_.uses_flat_scratch, 0
	.set _ZN2at6native12_GLOBAL__N_135GammaBetaBackwardCUDAKernelTemplateIddLj64ELj16ELj256ELb0ELb1ELb1EEEvllPKT_S5_PKT0_S8_PS3_S9_.has_dyn_sized_stack, 0
	.set _ZN2at6native12_GLOBAL__N_135GammaBetaBackwardCUDAKernelTemplateIddLj64ELj16ELj256ELb0ELb1ELb1EEEvllPKT_S5_PKT0_S8_PS3_S9_.has_recursion, 0
	.set _ZN2at6native12_GLOBAL__N_135GammaBetaBackwardCUDAKernelTemplateIddLj64ELj16ELj256ELb0ELb1ELb1EEEvllPKT_S5_PKT0_S8_PS3_S9_.has_indirect_call, 0
	.section	.AMDGPU.csdata,"",@progbits
; Kernel info:
; codeLenInByte = 2580
; TotalNumSgprs: 32
; NumVgprs: 56
; NumAgprs: 0
; TotalNumVgprs: 56
; ScratchSize: 0
; MemoryBound: 0
; FloatMode: 240
; IeeeMode: 1
; LDSByteSize: 0 bytes/workgroup (compile time only)
; SGPRBlocks: 3
; VGPRBlocks: 6
; NumSGPRsForWavesPerEU: 32
; NumVGPRsForWavesPerEU: 56
; AccumOffset: 56
; Occupancy: 8
; WaveLimiterHint : 0
; COMPUTE_PGM_RSRC2:SCRATCH_EN: 0
; COMPUTE_PGM_RSRC2:USER_SGPR: 2
; COMPUTE_PGM_RSRC2:TRAP_HANDLER: 0
; COMPUTE_PGM_RSRC2:TGID_X_EN: 1
; COMPUTE_PGM_RSRC2:TGID_Y_EN: 1
; COMPUTE_PGM_RSRC2:TGID_Z_EN: 0
; COMPUTE_PGM_RSRC2:TIDIG_COMP_CNT: 1
; COMPUTE_PGM_RSRC3_GFX90A:ACCUM_OFFSET: 13
; COMPUTE_PGM_RSRC3_GFX90A:TG_SPLIT: 0
	.section	.text._ZN2at6native12_GLOBAL__N_135GammaBetaBackwardCUDAKernelTemplateIddLj64ELj16ELj256ELb0ELb0ELb1EEEvllPKT_S5_PKT0_S8_PS3_S9_,"axG",@progbits,_ZN2at6native12_GLOBAL__N_135GammaBetaBackwardCUDAKernelTemplateIddLj64ELj16ELj256ELb0ELb0ELb1EEEvllPKT_S5_PKT0_S8_PS3_S9_,comdat
	.globl	_ZN2at6native12_GLOBAL__N_135GammaBetaBackwardCUDAKernelTemplateIddLj64ELj16ELj256ELb0ELb0ELb1EEEvllPKT_S5_PKT0_S8_PS3_S9_ ; -- Begin function _ZN2at6native12_GLOBAL__N_135GammaBetaBackwardCUDAKernelTemplateIddLj64ELj16ELj256ELb0ELb0ELb1EEEvllPKT_S5_PKT0_S8_PS3_S9_
	.p2align	8
	.type	_ZN2at6native12_GLOBAL__N_135GammaBetaBackwardCUDAKernelTemplateIddLj64ELj16ELj256ELb0ELb0ELb1EEEvllPKT_S5_PKT0_S8_PS3_S9_,@function
_ZN2at6native12_GLOBAL__N_135GammaBetaBackwardCUDAKernelTemplateIddLj64ELj16ELj256ELb0ELb0ELb1EEEvllPKT_S5_PKT0_S8_PS3_S9_: ; @_ZN2at6native12_GLOBAL__N_135GammaBetaBackwardCUDAKernelTemplateIddLj64ELj16ELj256ELb0ELb0ELb1EEEvllPKT_S5_PKT0_S8_PS3_S9_
; %bb.0:
	s_load_dwordx8 s[8:15], s[0:1], 0x0
	s_load_dwordx2 s[16:17], s[0:1], 0x28
	s_lshl_b32 s33, s2, 6
	s_or_b32 s4, s33, 63
	v_mov_b32_e32 v41, v0
	s_mov_b32 s19, 0
	v_mov_b32_e32 v0, s4
	v_mov_b32_e32 v1, 0
	s_lshl_b32 s18, s3, 8
	s_waitcnt lgkmcnt(0)
	v_cmp_le_i64_e32 vcc, s[10:11], v[0:1]
	v_mov_b64_e32 v[0:1], s[18:19]
	v_cmp_gt_i64_e64 s[4:5], s[8:9], v[0:1]
	s_nop 1
	v_cndmask_b32_e64 v0, 0, 1, s[4:5]
	v_cmp_ne_u32_e64 s[4:5], 1, v0
	s_cbranch_vccz .LBB128_81
; %bb.1:
	s_and_b64 vcc, exec, s[4:5]
	v_mov_b64_e32 v[68:69], 0
	s_cbranch_vccnz .LBB128_82
; %bb.2:
	v_and_b32_e32 v0, 0x3ff, v41
	v_mov_b32_e32 v2, 0
	v_bfe_u32 v3, v41, 10, 10
	v_add_u32_e32 v0, s33, v0
	v_mov_b32_e32 v1, v2
	v_lshlrev_b32_e32 v4, 4, v3
	v_mov_b32_e32 v5, v2
	v_cmp_gt_i64_e64 s[6:7], s[10:11], v[0:1]
	v_lshlrev_b64 v[38:39], 3, v[0:1]
	v_lshl_add_u64 v[0:1], v[4:5], 0, s[18:19]
	scratch_store_dwordx2 off, v[4:5], off offset:64 ; 8-byte Folded Spill
	v_mul_lo_u32 v3, s11, v0
	v_mul_lo_u32 v6, s10, v1
	v_mad_u64_u32 v[4:5], s[22:23], s10, v0, 0
	v_add3_u32 v5, v5, v6, v3
	v_lshlrev_b64 v[4:5], 3, v[4:5]
	v_lshl_add_u64 v[8:9], s[12:13], 0, v[4:5]
	v_lshl_add_u64 v[4:5], s[14:15], 0, v[4:5]
	scratch_store_dwordx2 off, v[4:5], off offset:8 ; 8-byte Folded Spill
	v_lshl_add_u64 v[4:5], v[0:1], 0, 15
	scratch_store_dwordx2 off, v[8:9], off  ; 8-byte Folded Spill
	v_mul_lo_u32 v7, s11, v4
	v_mul_lo_u32 v8, s10, v5
	v_mad_u64_u32 v[4:5], s[24:25], s10, v4, 0
	v_add3_u32 v5, v5, v8, v7
	v_lshlrev_b64 v[4:5], 3, v[4:5]
	v_lshl_add_u64 v[8:9], s[12:13], 0, v[4:5]
	v_lshl_add_u64 v[4:5], s[14:15], 0, v[4:5]
	scratch_store_dwordx2 off, v[4:5], off offset:24 ; 8-byte Folded Spill
	v_lshl_add_u64 v[4:5], v[0:1], 0, 14
	scratch_store_dwordx2 off, v[8:9], off offset:16 ; 8-byte Folded Spill
	v_mul_lo_u32 v7, s11, v4
	v_mul_lo_u32 v8, s10, v5
	v_mad_u64_u32 v[4:5], s[24:25], s10, v4, 0
	v_add3_u32 v5, v5, v8, v7
	v_lshlrev_b64 v[4:5], 3, v[4:5]
	v_lshl_add_u64 v[48:49], s[12:13], 0, v[4:5]
	v_lshl_add_u64 v[50:51], s[14:15], 0, v[4:5]
	v_lshl_add_u64 v[4:5], v[0:1], 0, 13
	v_mul_lo_u32 v7, s11, v4
	v_mul_lo_u32 v8, s10, v5
	v_mad_u64_u32 v[4:5], s[24:25], s10, v4, 0
	v_add3_u32 v5, v5, v8, v7
	v_lshlrev_b64 v[4:5], 3, v[4:5]
	v_lshl_add_u64 v[52:53], s[12:13], 0, v[4:5]
	v_lshl_add_u64 v[54:55], s[14:15], 0, v[4:5]
	v_lshl_add_u64 v[4:5], v[0:1], 0, 12
	;; [unrolled: 8-line block ×11, first 2 shown]
	v_mul_lo_u32 v7, s11, v4
	v_mul_lo_u32 v8, s10, v5
	v_mad_u64_u32 v[4:5], s[24:25], s10, v4, 0
	v_add3_u32 v5, v5, v8, v7
	s_load_dword s3, s[0:1], 0x44
	v_lshlrev_b64 v[4:5], 3, v[4:5]
	v_lshl_add_u64 v[92:93], s[12:13], 0, v[4:5]
	v_lshl_add_u64 v[94:95], s[14:15], 0, v[4:5]
	v_lshl_add_u64 v[4:5], v[0:1], 0, 2
	v_mul_lo_u32 v1, s11, v4
	v_mul_lo_u32 v7, s10, v5
	v_mad_u64_u32 v[4:5], s[24:25], s10, v4, 0
	v_add3_u32 v5, v5, v7, v1
	s_add_u32 s20, s0, 64
	v_lshlrev_b64 v[4:5], 3, v[4:5]
	s_addc_u32 s21, s1, 0
	s_waitcnt lgkmcnt(0)
	s_lshl_b32 s3, s3, 8
	v_lshl_add_u64 v[96:97], s[12:13], 0, v[4:5]
	v_lshl_add_u64 v[98:99], s[14:15], 0, v[4:5]
	v_mov_b64_e32 v[4:5], s[10:11]
	s_mul_i32 s22, s11, s3
	s_mul_hi_u32 s23, s10, s3
	v_mad_u64_u32 v[0:1], s[24:25], s10, v0, v[4:5]
	s_add_i32 s23, s23, s22
	s_mul_i32 s22, s10, s3
	v_add3_u32 v1, v3, v1, v6
	v_mbcnt_lo_u32_b32 v3, -1, 0
	s_lshl_b64 s[22:23], s[22:23], 3
	v_mbcnt_hi_u32_b32 v3, -1, v3
	v_lshlrev_b64 v[0:1], 3, v[0:1]
	s_add_u32 s24, s18, 0xff
	s_movk_i32 s26, 0xff01
	s_movk_i32 s28, 0xff02
	;; [unrolled: 1-line block ×16, first 2 shown]
	v_lshlrev_b32_e32 v3, 2, v3
	v_lshl_add_u64 v[100:101], s[12:13], 0, v[0:1]
	v_lshl_add_u64 v[102:103], s[14:15], 0, v[0:1]
	s_addc_u32 s25, 0, 0
	v_mov_b64_e32 v[0:1], 0
	s_mov_b32 s27, -1
	s_mov_b32 s29, -1
	;; [unrolled: 1-line block ×16, first 2 shown]
	v_and_b32_e32 v40, 0x100, v3
	s_mov_b64 s[60:61], s[18:19]
.LBB128_3:                              ; =>This Inner Loop Header: Depth=1
	v_mov_b64_e32 v[4:5], s[8:9]
	v_cmp_ge_i64_e32 vcc, s[24:25], v[4:5]
	scratch_load_dwordx2 v[4:5], off, off offset:64 ; 8-byte Folded Reload
	s_mov_b64 s[62:63], -1
	s_and_b64 vcc, exec, vcc
                                        ; implicit-def: $vgpr68_vgpr69
                                        ; implicit-def: $vgpr110_vgpr111
	s_waitcnt vmcnt(0)
	v_lshl_add_u64 v[106:107], v[4:5], 0, s[24:25]
                                        ; implicit-def: $vgpr4_vgpr5_vgpr6_vgpr7_vgpr8_vgpr9_vgpr10_vgpr11_vgpr12_vgpr13_vgpr14_vgpr15_vgpr16_vgpr17_vgpr18_vgpr19_vgpr20_vgpr21_vgpr22_vgpr23_vgpr24_vgpr25_vgpr26_vgpr27_vgpr28_vgpr29_vgpr30_vgpr31_vgpr32_vgpr33_vgpr34_vgpr35
                                        ; implicit-def: $vgpr4
	s_cbranch_vccz .LBB128_41
; %bb.4:                                ;   in Loop: Header=BB128_3 Depth=1
	s_load_dword s62, s[20:21], 0xc
	v_and_b32_e32 v3, 0x3ff, v41
	v_bfe_u32 v4, v41, 10, 10
	v_mov_b64_e32 v[68:69], 0
	v_mov_b64_e32 v[108:109], 0
	s_waitcnt lgkmcnt(0)
	s_and_b32 s62, s62, 0xffff
	v_mad_u32_u24 v3, v4, s62, v3
	v_and_b32_e32 v4, 63, v3
	v_cmp_gt_u32_e32 vcc, 16, v4
	s_and_saveexec_b64 s[62:63], vcc
	s_cbranch_execz .LBB128_8
; %bb.5:                                ;   in Loop: Header=BB128_3 Depth=1
	v_mov_b32_e32 v5, v2
	v_lshl_add_u64 v[4:5], v[106:107], 0, v[4:5]
	v_lshl_add_u64 v[4:5], v[4:5], 0, s[26:27]
	v_cmp_gt_i64_e32 vcc, s[8:9], v[4:5]
	v_mov_b64_e32 v[108:109], 0
	s_and_saveexec_b64 s[64:65], vcc
	s_cbranch_execz .LBB128_7
; %bb.6:                                ;   in Loop: Header=BB128_3 Depth=1
	v_lshl_add_u64 v[4:5], v[4:5], 3, s[16:17]
	global_load_dwordx2 v[108:109], v[4:5], off
.LBB128_7:                              ;   in Loop: Header=BB128_3 Depth=1
	s_or_b64 exec, exec, s[64:65]
.LBB128_8:                              ;   in Loop: Header=BB128_3 Depth=1
	s_or_b64 exec, exec, s[62:63]
	v_lshl_add_u64 v[4:5], v[106:107], 0, s[26:27]
	v_cmp_gt_i64_e32 vcc, s[8:9], v[4:5]
	v_mov_b32_e32 v4, v2
	v_mov_b32_e32 v5, v2
	;; [unrolled: 1-line block ×31, first 2 shown]
	v_mov_b64_e32 v[34:35], v[32:33]
	s_and_b64 s[64:65], s[6:7], vcc
	v_mov_b64_e32 v[32:33], v[30:31]
	v_mov_b64_e32 v[30:31], v[28:29]
	;; [unrolled: 1-line block ×15, first 2 shown]
	s_and_saveexec_b64 s[62:63], s[64:65]
	s_cbranch_execz .LBB128_10
; %bb.9:                                ;   in Loop: Header=BB128_3 Depth=1
	scratch_load_dwordx2 v[4:5], off, off   ; 8-byte Folded Reload
	v_mov_b32_e32 v8, v2
	v_mov_b32_e32 v9, v2
	;; [unrolled: 1-line block ×28, first 2 shown]
	s_waitcnt vmcnt(0)
	v_lshl_add_u64 v[4:5], v[4:5], 0, v[38:39]
	global_load_dwordx2 v[4:5], v[4:5], off
	s_nop 0
	scratch_load_dwordx2 v[6:7], off, off offset:8 ; 8-byte Folded Reload
	s_waitcnt vmcnt(0)
	v_lshl_add_u64 v[6:7], v[6:7], 0, v[38:39]
	global_load_dwordx2 v[68:69], v[6:7], off
	v_mov_b32_e32 v6, v2
	v_mov_b32_e32 v7, v2
.LBB128_10:                             ;   in Loop: Header=BB128_3 Depth=1
	s_or_b64 exec, exec, s[62:63]
	v_lshl_add_u64 v[36:37], v[106:107], 0, s[28:29]
	v_cmp_gt_i64_e32 vcc, s[8:9], v[36:37]
	s_and_b64 s[64:65], s[6:7], vcc
	v_mov_b64_e32 v[44:45], 0
	v_mov_b64_e32 v[36:37], 0
	scratch_store_dwordx2 off, v[36:37], off offset:32 ; 8-byte Folded Spill
	s_and_saveexec_b64 s[62:63], s[64:65]
	s_cbranch_execz .LBB128_12
; %bb.11:                               ;   in Loop: Header=BB128_3 Depth=1
	v_lshl_add_u64 v[6:7], v[100:101], 0, v[38:39]
	v_lshl_add_u64 v[36:37], v[102:103], 0, v[38:39]
	global_load_dwordx2 v[6:7], v[6:7], off
	s_nop 0
	global_load_dwordx2 v[36:37], v[36:37], off
	s_waitcnt vmcnt(0)
	scratch_store_dwordx2 off, v[36:37], off offset:32 ; 8-byte Folded Spill
.LBB128_12:                             ;   in Loop: Header=BB128_3 Depth=1
	s_or_b64 exec, exec, s[62:63]
	v_lshl_add_u64 v[36:37], v[106:107], 0, s[30:31]
	v_cmp_gt_i64_e32 vcc, s[8:9], v[36:37]
	s_and_b64 s[64:65], s[6:7], vcc
	s_and_saveexec_b64 s[62:63], s[64:65]
	s_cbranch_execz .LBB128_14
; %bb.13:                               ;   in Loop: Header=BB128_3 Depth=1
	v_lshl_add_u64 v[8:9], v[96:97], 0, v[38:39]
	v_lshl_add_u64 v[36:37], v[98:99], 0, v[38:39]
	global_load_dwordx2 v[8:9], v[8:9], off
	s_nop 0
	global_load_dwordx2 v[44:45], v[36:37], off
.LBB128_14:                             ;   in Loop: Header=BB128_3 Depth=1
	s_or_b64 exec, exec, s[62:63]
	v_lshl_add_u64 v[36:37], v[106:107], 0, s[34:35]
	v_cmp_gt_i64_e32 vcc, s[8:9], v[36:37]
	v_mov_b64_e32 v[36:37], 0
	s_and_b64 s[64:65], s[6:7], vcc
	scratch_store_dwordx2 off, v[36:37], off offset:40 ; 8-byte Folded Spill
	v_mov_b64_e32 v[36:37], 0
	scratch_store_dwordx2 off, v[36:37], off offset:48 ; 8-byte Folded Spill
	s_and_saveexec_b64 s[62:63], s[64:65]
	s_cbranch_execz .LBB128_16
; %bb.15:                               ;   in Loop: Header=BB128_3 Depth=1
	v_lshl_add_u64 v[10:11], v[92:93], 0, v[38:39]
	v_lshl_add_u64 v[36:37], v[94:95], 0, v[38:39]
	global_load_dwordx2 v[10:11], v[10:11], off
	s_nop 0
	global_load_dwordx2 v[36:37], v[36:37], off
	s_waitcnt vmcnt(0)
	scratch_store_dwordx2 off, v[36:37], off offset:48 ; 8-byte Folded Spill
.LBB128_16:                             ;   in Loop: Header=BB128_3 Depth=1
	s_or_b64 exec, exec, s[62:63]
	v_lshl_add_u64 v[36:37], v[106:107], 0, s[36:37]
	v_cmp_gt_i64_e32 vcc, s[8:9], v[36:37]
	s_and_b64 s[64:65], s[6:7], vcc
	s_and_saveexec_b64 s[62:63], s[64:65]
	s_cbranch_execz .LBB128_18
; %bb.17:                               ;   in Loop: Header=BB128_3 Depth=1
	v_lshl_add_u64 v[12:13], v[88:89], 0, v[38:39]
	v_lshl_add_u64 v[36:37], v[90:91], 0, v[38:39]
	global_load_dwordx2 v[12:13], v[12:13], off
	s_nop 0
	global_load_dwordx2 v[36:37], v[36:37], off
	s_waitcnt vmcnt(0)
	scratch_store_dwordx2 off, v[36:37], off offset:40 ; 8-byte Folded Spill
.LBB128_18:                             ;   in Loop: Header=BB128_3 Depth=1
	s_or_b64 exec, exec, s[62:63]
	v_lshl_add_u64 v[36:37], v[106:107], 0, s[38:39]
	v_cmp_gt_i64_e32 vcc, s[8:9], v[36:37]
	s_and_b64 s[64:65], s[6:7], vcc
	v_mov_b64_e32 v[36:37], 0
	v_mov_b64_e32 v[122:123], 0
	scratch_store_dwordx2 off, v[36:37], off offset:56 ; 8-byte Folded Spill
	s_and_saveexec_b64 s[62:63], s[64:65]
	s_cbranch_execz .LBB128_20
; %bb.19:                               ;   in Loop: Header=BB128_3 Depth=1
	v_lshl_add_u64 v[14:15], v[84:85], 0, v[38:39]
	v_lshl_add_u64 v[36:37], v[86:87], 0, v[38:39]
	global_load_dwordx2 v[14:15], v[14:15], off
	s_nop 0
	global_load_dwordx2 v[122:123], v[36:37], off
.LBB128_20:                             ;   in Loop: Header=BB128_3 Depth=1
	s_or_b64 exec, exec, s[62:63]
	v_lshl_add_u64 v[36:37], v[106:107], 0, s[40:41]
	v_cmp_gt_i64_e32 vcc, s[8:9], v[36:37]
	s_and_b64 s[64:65], s[6:7], vcc
	s_and_saveexec_b64 s[62:63], s[64:65]
	s_cbranch_execz .LBB128_22
; %bb.21:                               ;   in Loop: Header=BB128_3 Depth=1
	v_lshl_add_u64 v[16:17], v[80:81], 0, v[38:39]
	v_lshl_add_u64 v[36:37], v[82:83], 0, v[38:39]
	global_load_dwordx2 v[16:17], v[16:17], off
	s_nop 0
	global_load_dwordx2 v[36:37], v[36:37], off
	s_waitcnt vmcnt(0)
	scratch_store_dwordx2 off, v[36:37], off offset:56 ; 8-byte Folded Spill
.LBB128_22:                             ;   in Loop: Header=BB128_3 Depth=1
	s_or_b64 exec, exec, s[62:63]
	v_lshl_add_u64 v[36:37], v[106:107], 0, s[42:43]
	v_cmp_gt_i64_e32 vcc, s[8:9], v[36:37]
	s_and_b64 s[64:65], s[6:7], vcc
	v_mov_b64_e32 v[124:125], 0
	v_mov_b64_e32 v[126:127], 0
	s_and_saveexec_b64 s[62:63], s[64:65]
	s_cbranch_execz .LBB128_24
; %bb.23:                               ;   in Loop: Header=BB128_3 Depth=1
	v_lshl_add_u64 v[18:19], v[76:77], 0, v[38:39]
	v_lshl_add_u64 v[36:37], v[78:79], 0, v[38:39]
	global_load_dwordx2 v[18:19], v[18:19], off
	s_nop 0
	global_load_dwordx2 v[126:127], v[36:37], off
.LBB128_24:                             ;   in Loop: Header=BB128_3 Depth=1
	s_or_b64 exec, exec, s[62:63]
	v_lshl_add_u64 v[36:37], v[106:107], 0, s[44:45]
	v_cmp_gt_i64_e32 vcc, s[8:9], v[36:37]
	s_and_b64 s[64:65], s[6:7], vcc
	s_and_saveexec_b64 s[62:63], s[64:65]
	s_cbranch_execz .LBB128_26
; %bb.25:                               ;   in Loop: Header=BB128_3 Depth=1
	v_lshl_add_u64 v[20:21], v[72:73], 0, v[38:39]
	v_lshl_add_u64 v[36:37], v[74:75], 0, v[38:39]
	global_load_dwordx2 v[20:21], v[20:21], off
	s_nop 0
	global_load_dwordx2 v[124:125], v[36:37], off
.LBB128_26:                             ;   in Loop: Header=BB128_3 Depth=1
	s_or_b64 exec, exec, s[62:63]
	v_lshl_add_u64 v[36:37], v[106:107], 0, s[46:47]
	v_cmp_gt_i64_e32 vcc, s[8:9], v[36:37]
	s_and_b64 s[64:65], s[6:7], vcc
	v_mov_b64_e32 v[36:37], 0
	v_mov_b64_e32 v[112:113], 0
	s_and_saveexec_b64 s[62:63], s[64:65]
	s_cbranch_execz .LBB128_28
; %bb.27:                               ;   in Loop: Header=BB128_3 Depth=1
	v_lshl_add_u64 v[22:23], v[104:105], 0, v[38:39]
	v_lshl_add_u64 v[42:43], v[70:71], 0, v[38:39]
	global_load_dwordx2 v[22:23], v[22:23], off
	s_nop 0
	global_load_dwordx2 v[112:113], v[42:43], off
.LBB128_28:                             ;   in Loop: Header=BB128_3 Depth=1
	s_or_b64 exec, exec, s[62:63]
	v_lshl_add_u64 v[42:43], v[106:107], 0, s[48:49]
	v_cmp_gt_i64_e32 vcc, s[8:9], v[42:43]
	s_and_b64 s[64:65], s[6:7], vcc
	s_and_saveexec_b64 s[62:63], s[64:65]
	s_cbranch_execz .LBB128_30
; %bb.29:                               ;   in Loop: Header=BB128_3 Depth=1
	v_lshl_add_u64 v[24:25], v[64:65], 0, v[38:39]
	v_lshl_add_u64 v[36:37], v[66:67], 0, v[38:39]
	global_load_dwordx2 v[24:25], v[24:25], off
	s_nop 0
	global_load_dwordx2 v[36:37], v[36:37], off
.LBB128_30:                             ;   in Loop: Header=BB128_3 Depth=1
	;; [unrolled: 28-line block ×4, first 2 shown]
	s_or_b64 exec, exec, s[62:63]
	v_lshl_add_u64 v[42:43], v[106:107], 0, s[58:59]
	v_cmp_gt_i64_e32 vcc, s[8:9], v[42:43]
	s_and_b64 s[64:65], s[6:7], vcc
	v_mov_b64_e32 v[110:111], 0
	s_and_saveexec_b64 s[62:63], s[64:65]
	s_cbranch_execz .LBB128_40
; %bb.39:                               ;   in Loop: Header=BB128_3 Depth=1
	scratch_load_dwordx2 v[34:35], off, off offset:16 ; 8-byte Folded Reload
	s_waitcnt vmcnt(0)
	v_lshl_add_u64 v[34:35], v[34:35], 0, v[38:39]
	global_load_dwordx2 v[34:35], v[34:35], off
	s_nop 0
	scratch_load_dwordx2 v[42:43], off, off offset:24 ; 8-byte Folded Reload
	s_waitcnt vmcnt(0)
	v_lshl_add_u64 v[42:43], v[42:43], 0, v[38:39]
	global_load_dwordx2 v[110:111], v[42:43], off
.LBB128_40:                             ;   in Loop: Header=BB128_3 Depth=1
	s_or_b64 exec, exec, s[62:63]
	s_waitcnt vmcnt(4)
	ds_bpermute_b32 v42, v40, v108
	ds_bpermute_b32 v43, v40, v109
	v_mul_f64 v[4:5], v[68:69], v[4:5]
	s_mov_b64 s[62:63], 0
	s_waitcnt lgkmcnt(0)
	v_fma_f64 v[68:69], v[4:5], v[42:43], v[0:1]
	scratch_load_dwordx2 v[42:43], off, off offset:32 ; 8-byte Folded Reload
	ds_bpermute_b32 v4, v40, v108 offset:4
	ds_bpermute_b32 v5, v40, v109 offset:4
	s_waitcnt vmcnt(0)
	v_mul_f64 v[6:7], v[42:43], v[6:7]
	s_waitcnt lgkmcnt(0)
	v_fmac_f64_e32 v[68:69], v[6:7], v[4:5]
	ds_bpermute_b32 v4, v40, v108 offset:8
	ds_bpermute_b32 v5, v40, v109 offset:8
	v_mul_f64 v[6:7], v[44:45], v[8:9]
	s_waitcnt lgkmcnt(0)
	v_fmac_f64_e32 v[68:69], v[6:7], v[4:5]
	scratch_load_dwordx2 v[6:7], off, off offset:48 ; 8-byte Folded Reload
	ds_bpermute_b32 v4, v40, v108 offset:12
	ds_bpermute_b32 v5, v40, v109 offset:12
	s_waitcnt vmcnt(0)
	v_mul_f64 v[6:7], v[6:7], v[10:11]
	s_waitcnt lgkmcnt(0)
	v_fmac_f64_e32 v[68:69], v[6:7], v[4:5]
	scratch_load_dwordx2 v[6:7], off, off offset:40 ; 8-byte Folded Reload
	ds_bpermute_b32 v4, v40, v108 offset:16
	ds_bpermute_b32 v5, v40, v109 offset:16
	s_waitcnt vmcnt(0)
	v_mul_f64 v[6:7], v[6:7], v[12:13]
	s_waitcnt lgkmcnt(0)
	v_fmac_f64_e32 v[68:69], v[6:7], v[4:5]
	ds_bpermute_b32 v4, v40, v108 offset:20
	ds_bpermute_b32 v5, v40, v109 offset:20
	v_mul_f64 v[6:7], v[122:123], v[14:15]
	s_waitcnt lgkmcnt(0)
	v_fmac_f64_e32 v[68:69], v[6:7], v[4:5]
	scratch_load_dwordx2 v[6:7], off, off offset:56 ; 8-byte Folded Reload
	ds_bpermute_b32 v4, v40, v108 offset:24
	ds_bpermute_b32 v5, v40, v109 offset:24
	s_waitcnt vmcnt(0)
	v_mul_f64 v[6:7], v[6:7], v[16:17]
	s_waitcnt lgkmcnt(0)
	v_fmac_f64_e32 v[68:69], v[6:7], v[4:5]
	ds_bpermute_b32 v4, v40, v108 offset:28
	ds_bpermute_b32 v5, v40, v109 offset:28
	v_mul_f64 v[6:7], v[126:127], v[18:19]
	s_waitcnt lgkmcnt(0)
	v_fmac_f64_e32 v[68:69], v[6:7], v[4:5]
	ds_bpermute_b32 v4, v40, v108 offset:32
	ds_bpermute_b32 v5, v40, v109 offset:32
	;; [unrolled: 5-line block ×9, first 2 shown]
.LBB128_41:                             ;   in Loop: Header=BB128_3 Depth=1
	s_and_b64 vcc, exec, s[62:63]
	s_cbranch_vccz .LBB128_79
; %bb.42:                               ;   in Loop: Header=BB128_3 Depth=1
	s_load_dword s62, s[20:21], 0x0
	s_waitcnt lgkmcnt(0)
	v_and_b32_e32 v4, 0x3ff, v41
	v_bfe_u32 v5, v41, 10, 10
	v_mov_b64_e32 v[44:45], 0
	v_mov_b64_e32 v[68:69], 0
	s_cmp_lt_u32 s2, s62
	s_cselect_b32 s62, 12, 18
	s_add_u32 s62, s20, s62
	s_addc_u32 s63, s21, 0
	global_load_ushort v3, v2, s[62:63]
	s_waitcnt vmcnt(0)
	v_mad_u32_u24 v3, v5, v3, v4
	v_and_b32_e32 v4, 63, v3
	v_cmp_gt_u32_e32 vcc, 16, v4
	s_and_saveexec_b64 s[62:63], vcc
	s_cbranch_execz .LBB128_46
; %bb.43:                               ;   in Loop: Header=BB128_3 Depth=1
	v_mov_b32_e32 v5, v2
	v_lshl_add_u64 v[4:5], v[106:107], 0, v[4:5]
	v_lshl_add_u64 v[4:5], v[4:5], 0, s[26:27]
	v_cmp_gt_i64_e32 vcc, s[8:9], v[4:5]
	v_mov_b64_e32 v[68:69], 0
	s_and_saveexec_b64 s[64:65], vcc
	s_cbranch_execz .LBB128_45
; %bb.44:                               ;   in Loop: Header=BB128_3 Depth=1
	v_lshl_add_u64 v[4:5], v[4:5], 3, s[16:17]
	global_load_dwordx2 v[68:69], v[4:5], off
.LBB128_45:                             ;   in Loop: Header=BB128_3 Depth=1
	s_or_b64 exec, exec, s[64:65]
.LBB128_46:                             ;   in Loop: Header=BB128_3 Depth=1
	s_or_b64 exec, exec, s[62:63]
	v_mov_b32_e32 v4, v2
	v_mov_b32_e32 v5, v2
	;; [unrolled: 1-line block ×31, first 2 shown]
	v_mov_b64_e32 v[34:35], v[32:33]
	v_mov_b64_e32 v[32:33], v[30:31]
	v_mov_b64_e32 v[30:31], v[28:29]
	v_mov_b64_e32 v[28:29], v[26:27]
	v_mov_b64_e32 v[26:27], v[24:25]
	v_mov_b64_e32 v[24:25], v[22:23]
	v_mov_b64_e32 v[22:23], v[20:21]
	v_mov_b64_e32 v[20:21], v[18:19]
	v_mov_b64_e32 v[18:19], v[16:17]
	v_mov_b64_e32 v[16:17], v[14:15]
	v_mov_b64_e32 v[14:15], v[12:13]
	v_mov_b64_e32 v[12:13], v[10:11]
	v_mov_b64_e32 v[10:11], v[8:9]
	v_mov_b64_e32 v[8:9], v[6:7]
	v_mov_b64_e32 v[6:7], v[4:5]
	v_mov_b64_e32 v[4:5], v[2:3]
	s_and_saveexec_b64 s[62:63], s[6:7]
	s_cbranch_execz .LBB128_48
; %bb.47:                               ;   in Loop: Header=BB128_3 Depth=1
	scratch_load_dwordx2 v[4:5], off, off   ; 8-byte Folded Reload
	v_mov_b32_e32 v8, v2
	v_mov_b32_e32 v9, v2
	;; [unrolled: 1-line block ×28, first 2 shown]
	s_waitcnt vmcnt(0)
	v_lshl_add_u64 v[4:5], v[4:5], 0, v[38:39]
	global_load_dwordx2 v[4:5], v[4:5], off
	s_nop 0
	scratch_load_dwordx2 v[6:7], off, off offset:8 ; 8-byte Folded Reload
	s_waitcnt vmcnt(0)
	v_lshl_add_u64 v[6:7], v[6:7], 0, v[38:39]
	global_load_dwordx2 v[44:45], v[6:7], off
	v_mov_b32_e32 v6, v2
	v_mov_b32_e32 v7, v2
.LBB128_48:                             ;   in Loop: Header=BB128_3 Depth=1
	s_or_b64 exec, exec, s[62:63]
	v_mov_b64_e32 v[42:43], 0
	v_mov_b64_e32 v[36:37], 0
	scratch_store_dwordx2 off, v[36:37], off offset:32 ; 8-byte Folded Spill
	s_and_saveexec_b64 s[62:63], s[6:7]
	s_cbranch_execz .LBB128_50
; %bb.49:                               ;   in Loop: Header=BB128_3 Depth=1
	v_lshl_add_u64 v[6:7], v[100:101], 0, v[38:39]
	v_lshl_add_u64 v[36:37], v[102:103], 0, v[38:39]
	global_load_dwordx2 v[6:7], v[6:7], off
	s_nop 0
	global_load_dwordx2 v[36:37], v[36:37], off
	s_waitcnt vmcnt(0)
	scratch_store_dwordx2 off, v[36:37], off offset:32 ; 8-byte Folded Spill
.LBB128_50:                             ;   in Loop: Header=BB128_3 Depth=1
	s_or_b64 exec, exec, s[62:63]
	s_and_saveexec_b64 s[62:63], s[6:7]
	s_cbranch_execz .LBB128_52
; %bb.51:                               ;   in Loop: Header=BB128_3 Depth=1
	v_lshl_add_u64 v[8:9], v[96:97], 0, v[38:39]
	v_lshl_add_u64 v[36:37], v[98:99], 0, v[38:39]
	global_load_dwordx2 v[8:9], v[8:9], off
	s_nop 0
	global_load_dwordx2 v[42:43], v[36:37], off
.LBB128_52:                             ;   in Loop: Header=BB128_3 Depth=1
	s_or_b64 exec, exec, s[62:63]
	v_mov_b64_e32 v[36:37], 0
	scratch_store_dwordx2 off, v[36:37], off offset:40 ; 8-byte Folded Spill
	v_mov_b64_e32 v[36:37], 0
	s_and_saveexec_b64 s[62:63], s[6:7]
	s_cbranch_execz .LBB128_54
; %bb.53:                               ;   in Loop: Header=BB128_3 Depth=1
	v_lshl_add_u64 v[10:11], v[92:93], 0, v[38:39]
	v_lshl_add_u64 v[36:37], v[94:95], 0, v[38:39]
	global_load_dwordx2 v[10:11], v[10:11], off
	s_nop 0
	global_load_dwordx2 v[36:37], v[36:37], off
.LBB128_54:                             ;   in Loop: Header=BB128_3 Depth=1
	s_or_b64 exec, exec, s[62:63]
	s_and_saveexec_b64 s[62:63], s[6:7]
	s_cbranch_execz .LBB128_56
; %bb.55:                               ;   in Loop: Header=BB128_3 Depth=1
	v_lshl_add_u64 v[12:13], v[88:89], 0, v[38:39]
	v_lshl_add_u64 v[106:107], v[90:91], 0, v[38:39]
	global_load_dwordx2 v[12:13], v[12:13], off
	s_nop 0
	global_load_dwordx2 v[46:47], v[106:107], off
	s_waitcnt vmcnt(0)
	scratch_store_dwordx2 off, v[46:47], off offset:40 ; 8-byte Folded Spill
.LBB128_56:                             ;   in Loop: Header=BB128_3 Depth=1
	s_or_b64 exec, exec, s[62:63]
	v_mov_b64_e32 v[116:117], 0
	v_mov_b64_e32 v[118:119], 0
	s_and_saveexec_b64 s[62:63], s[6:7]
	s_cbranch_execz .LBB128_58
; %bb.57:                               ;   in Loop: Header=BB128_3 Depth=1
	v_lshl_add_u64 v[14:15], v[84:85], 0, v[38:39]
	v_lshl_add_u64 v[106:107], v[86:87], 0, v[38:39]
	global_load_dwordx2 v[14:15], v[14:15], off
	s_nop 0
	global_load_dwordx2 v[118:119], v[106:107], off
.LBB128_58:                             ;   in Loop: Header=BB128_3 Depth=1
	s_or_b64 exec, exec, s[62:63]
	s_and_saveexec_b64 s[62:63], s[6:7]
	s_cbranch_execz .LBB128_60
; %bb.59:                               ;   in Loop: Header=BB128_3 Depth=1
	v_lshl_add_u64 v[16:17], v[80:81], 0, v[38:39]
	v_lshl_add_u64 v[106:107], v[82:83], 0, v[38:39]
	global_load_dwordx2 v[16:17], v[16:17], off
	s_nop 0
	global_load_dwordx2 v[116:117], v[106:107], off
.LBB128_60:                             ;   in Loop: Header=BB128_3 Depth=1
	s_or_b64 exec, exec, s[62:63]
	v_mov_b64_e32 v[120:121], 0
	v_mov_b64_e32 v[122:123], 0
	s_and_saveexec_b64 s[62:63], s[6:7]
	s_cbranch_execz .LBB128_62
; %bb.61:                               ;   in Loop: Header=BB128_3 Depth=1
	v_lshl_add_u64 v[18:19], v[76:77], 0, v[38:39]
	v_lshl_add_u64 v[106:107], v[78:79], 0, v[38:39]
	global_load_dwordx2 v[18:19], v[18:19], off
	s_nop 0
	global_load_dwordx2 v[122:123], v[106:107], off
.LBB128_62:                             ;   in Loop: Header=BB128_3 Depth=1
	s_or_b64 exec, exec, s[62:63]
	s_and_saveexec_b64 s[62:63], s[6:7]
	s_cbranch_execz .LBB128_64
; %bb.63:                               ;   in Loop: Header=BB128_3 Depth=1
	v_lshl_add_u64 v[20:21], v[72:73], 0, v[38:39]
	v_lshl_add_u64 v[106:107], v[74:75], 0, v[38:39]
	global_load_dwordx2 v[20:21], v[20:21], off
	s_nop 0
	global_load_dwordx2 v[120:121], v[106:107], off
.LBB128_64:                             ;   in Loop: Header=BB128_3 Depth=1
	;; [unrolled: 22-line block ×5, first 2 shown]
	s_or_b64 exec, exec, s[62:63]
	s_waitcnt vmcnt(1)
	v_mov_b64_e32 v[46:47], v[42:43]
	v_mov_b64_e32 v[110:111], 0
	s_and_saveexec_b64 s[62:63], s[6:7]
	s_cbranch_execz .LBB128_78
; %bb.77:                               ;   in Loop: Header=BB128_3 Depth=1
	scratch_load_dwordx2 v[34:35], off, off offset:16 ; 8-byte Folded Reload
	s_waitcnt vmcnt(0)
	v_lshl_add_u64 v[34:35], v[34:35], 0, v[38:39]
	global_load_dwordx2 v[34:35], v[34:35], off
	s_nop 0
	scratch_load_dwordx2 v[42:43], off, off offset:24 ; 8-byte Folded Reload
	s_waitcnt vmcnt(0)
	v_lshl_add_u64 v[110:111], v[42:43], 0, v[38:39]
	global_load_dwordx2 v[110:111], v[110:111], off
.LBB128_78:                             ;   in Loop: Header=BB128_3 Depth=1
	s_or_b64 exec, exec, s[62:63]
	ds_bpermute_b32 v42, v40, v68
	ds_bpermute_b32 v43, v40, v69
	v_mul_f64 v[4:5], v[44:45], v[4:5]
	ds_bpermute_b32 v44, v40, v68 offset:4
	ds_bpermute_b32 v45, v40, v69 offset:4
	s_waitcnt lgkmcnt(2)
	v_fmac_f64_e32 v[0:1], v[4:5], v[42:43]
	scratch_load_dwordx2 v[4:5], off, off offset:32 ; 8-byte Folded Reload
	ds_bpermute_b32 v42, v40, v68 offset:12
	ds_bpermute_b32 v43, v40, v69 offset:12
	s_waitcnt vmcnt(0)
	v_mul_f64 v[4:5], v[4:5], v[6:7]
	ds_bpermute_b32 v6, v40, v68 offset:8
	ds_bpermute_b32 v7, v40, v69 offset:8
	s_waitcnt lgkmcnt(4)
	v_fmac_f64_e32 v[0:1], v[4:5], v[44:45]
	v_mul_f64 v[4:5], v[46:47], v[8:9]
	ds_bpermute_b32 v8, v40, v68 offset:20
	ds_bpermute_b32 v9, v40, v69 offset:20
	s_waitcnt lgkmcnt(2)
	v_fmac_f64_e32 v[0:1], v[4:5], v[6:7]
	scratch_load_dwordx2 v[6:7], off, off offset:40 ; 8-byte Folded Reload
	v_mul_f64 v[4:5], v[36:37], v[10:11]
	v_fmac_f64_e32 v[0:1], v[4:5], v[42:43]
	ds_bpermute_b32 v4, v40, v68 offset:16
	ds_bpermute_b32 v5, v40, v69 offset:16
	;; [unrolled: 1-line block ×4, first 2 shown]
	s_waitcnt vmcnt(0)
	v_mul_f64 v[6:7], v[6:7], v[12:13]
	s_waitcnt lgkmcnt(2)
	v_fmac_f64_e32 v[0:1], v[6:7], v[4:5]
	v_mul_f64 v[4:5], v[118:119], v[14:15]
	v_fmac_f64_e32 v[0:1], v[4:5], v[8:9]
	v_mul_f64 v[4:5], v[116:117], v[16:17]
	s_waitcnt lgkmcnt(0)
	v_fmac_f64_e32 v[0:1], v[4:5], v[10:11]
	ds_bpermute_b32 v4, v40, v68 offset:28
	ds_bpermute_b32 v5, v40, v69 offset:28
	;; [unrolled: 1-line block ×6, first 2 shown]
	v_mul_f64 v[6:7], v[122:123], v[18:19]
	s_waitcnt lgkmcnt(4)
	v_fmac_f64_e32 v[0:1], v[6:7], v[4:5]
	v_mul_f64 v[4:5], v[120:121], v[20:21]
	s_waitcnt lgkmcnt(2)
	v_fmac_f64_e32 v[0:1], v[4:5], v[8:9]
	;; [unrolled: 3-line block ×3, first 2 shown]
	ds_bpermute_b32 v4, v40, v68 offset:40
	ds_bpermute_b32 v5, v40, v69 offset:40
	;; [unrolled: 1-line block ×6, first 2 shown]
	v_mul_f64 v[6:7], v[124:125], v[24:25]
	s_waitcnt lgkmcnt(4)
	v_fmac_f64_e32 v[0:1], v[6:7], v[4:5]
	v_mul_f64 v[4:5], v[106:107], v[26:27]
	s_waitcnt lgkmcnt(2)
	v_fmac_f64_e32 v[0:1], v[4:5], v[8:9]
	v_mul_f64 v[4:5], v[108:109], v[28:29]
	ds_bpermute_b32 v6, v40, v68 offset:52
	ds_bpermute_b32 v7, v40, v69 offset:52
	s_waitcnt lgkmcnt(2)
	v_fmac_f64_e32 v[0:1], v[4:5], v[10:11]
	ds_bpermute_b32 v10, v40, v68 offset:56
	ds_bpermute_b32 v11, v40, v69 offset:56
	ds_bpermute_b32 v4, v40, v68 offset:60
	ds_bpermute_b32 v5, v40, v69 offset:60
	v_mul_f64 v[8:9], v[114:115], v[30:31]
	s_waitcnt lgkmcnt(4)
	v_fmac_f64_e32 v[0:1], v[8:9], v[6:7]
	v_mul_f64 v[6:7], v[112:113], v[32:33]
	s_waitcnt lgkmcnt(2)
	v_fmac_f64_e32 v[0:1], v[6:7], v[10:11]
	v_mov_b64_e32 v[68:69], v[0:1]
.LBB128_79:                             ;   in Loop: Header=BB128_3 Depth=1
	v_mul_f64 v[0:1], v[110:111], v[34:35]
	s_waitcnt lgkmcnt(0)
	v_fmac_f64_e32 v[68:69], v[0:1], v[4:5]
	scratch_load_dwordx2 v[0:1], off, off   ; 8-byte Folded Reload
	s_add_u32 s60, s60, s3
	s_addc_u32 s61, s61, 0
	s_add_u32 s24, s24, s3
	v_lshl_add_u64 v[48:49], v[48:49], 0, s[22:23]
	v_lshl_add_u64 v[50:51], v[50:51], 0, s[22:23]
	;; [unrolled: 1-line block ×28, first 2 shown]
	s_addc_u32 s25, s25, 0
	s_waitcnt vmcnt(0)
	v_lshl_add_u64 v[0:1], v[0:1], 0, s[22:23]
	scratch_store_dwordx2 off, v[0:1], off  ; 8-byte Folded Spill
	scratch_load_dwordx2 v[0:1], off, off offset:8 ; 8-byte Folded Reload
	s_waitcnt vmcnt(0)
	v_lshl_add_u64 v[0:1], v[0:1], 0, s[22:23]
	scratch_store_dwordx2 off, v[0:1], off offset:8 ; 8-byte Folded Spill
	scratch_load_dwordx2 v[0:1], off, off offset:16 ; 8-byte Folded Reload
	s_waitcnt vmcnt(0)
	v_lshl_add_u64 v[0:1], v[0:1], 0, s[22:23]
	scratch_store_dwordx2 off, v[0:1], off offset:16 ; 8-byte Folded Spill
	;; [unrolled: 4-line block ×3, first 2 shown]
	v_mov_b64_e32 v[0:1], s[8:9]
	v_cmp_lt_i64_e32 vcc, s[60:61], v[0:1]
	s_cbranch_vccz .LBB128_82
; %bb.80:                               ;   in Loop: Header=BB128_3 Depth=1
	v_mov_b64_e32 v[0:1], v[68:69]
	s_branch .LBB128_3
.LBB128_81:
                                        ; implicit-def: $vgpr68_vgpr69
	s_branch .LBB128_83
.LBB128_82:
	s_cbranch_execnz .LBB128_132
.LBB128_83:
	s_and_b64 vcc, exec, s[4:5]
	v_mov_b64_e32 v[68:69], 0
	s_cbranch_vccnz .LBB128_132
; %bb.84:
	v_mov_b32_e32 v2, 0
	v_bfe_u32 v18, v41, 10, 10
	v_lshlrev_b32_e32 v0, 7, v18
	v_mov_b32_e32 v1, v2
	v_lshl_add_u64 v[0:1], s[18:19], 3, v[0:1]
	v_lshl_add_u64 v[8:9], v[0:1], 0, 8
	v_mov_b64_e32 v[4:5], s[12:13]
	v_mad_u64_u32 v[6:7], s[4:5], s10, v8, v[4:5]
	v_mul_lo_u32 v3, s10, v9
	v_mul_lo_u32 v9, s11, v8
	v_add3_u32 v7, v9, v7, v3
	v_lshl_add_u64 v[10:11], v[0:1], 0, 16
	scratch_store_dwordx2 off, v[6:7], off  ; 8-byte Folded Spill
	v_mad_u64_u32 v[6:7], s[4:5], s10, v10, v[4:5]
	v_mul_lo_u32 v11, s10, v11
	v_mul_lo_u32 v16, s11, v10
	v_add3_u32 v7, v16, v7, v11
	v_lshl_add_u64 v[12:13], v[0:1], 0, 24
	scratch_store_dwordx2 off, v[6:7], off offset:8 ; 8-byte Folded Spill
	v_mad_u64_u32 v[6:7], s[4:5], s10, v12, v[4:5]
	v_mul_lo_u32 v13, s10, v13
	v_mul_lo_u32 v17, s11, v12
	v_add3_u32 v7, v17, v7, v13
	scratch_store_dwordx2 off, v[6:7], off offset:16 ; 8-byte Folded Spill
	v_mov_b64_e32 v[6:7], s[14:15]
	v_mad_u64_u32 v[20:21], s[4:5], s10, v8, v[6:7]
	v_lshl_add_u64 v[14:15], v[0:1], 0, 32
	v_add3_u32 v21, v9, v21, v3
	scratch_store_dwordx2 off, v[20:21], off offset:24 ; 8-byte Folded Spill
	v_mad_u64_u32 v[8:9], s[4:5], s10, v14, v[4:5]
	v_mad_u64_u32 v[20:21], s[4:5], s10, v10, v[6:7]
	v_mul_lo_u32 v3, s10, v15
	v_mul_lo_u32 v10, s11, v14
	v_add3_u32 v9, v10, v9, v3
	scratch_store_dwordx2 off, v[8:9], off offset:32 ; 8-byte Folded Spill
	v_mad_u64_u32 v[8:9], s[4:5], s10, v12, v[6:7]
	v_add3_u32 v9, v17, v9, v13
	scratch_store_dwordx2 off, v[8:9], off offset:48 ; 8-byte Folded Spill
	v_lshl_add_u64 v[8:9], v[0:1], 0, 40
	v_mad_u64_u32 v[12:13], s[4:5], s10, v14, v[6:7]
	v_add3_u32 v21, v16, v21, v11
	v_add3_u32 v13, v10, v13, v3
	v_mul_lo_u32 v3, s10, v9
	v_mul_lo_u32 v9, s11, v8
	v_mad_u64_u32 v[10:11], s[4:5], s10, v8, v[4:5]
	v_add3_u32 v11, v9, v11, v3
	scratch_store_dwordx2 off, v[10:11], off offset:64 ; 8-byte Folded Spill
	v_mad_u64_u32 v[10:11], s[4:5], s10, v8, v[6:7]
	v_add3_u32 v11, v9, v11, v3
	v_lshl_add_u64 v[8:9], v[0:1], 0, 48
	scratch_store_dwordx2 off, v[10:11], off offset:72 ; 8-byte Folded Spill
	v_mul_lo_u32 v3, s10, v9
	v_mul_lo_u32 v9, s11, v8
	v_mad_u64_u32 v[10:11], s[4:5], s10, v8, v[4:5]
	v_add3_u32 v11, v9, v11, v3
	scratch_store_dwordx2 off, v[10:11], off offset:80 ; 8-byte Folded Spill
	v_mad_u64_u32 v[10:11], s[4:5], s10, v8, v[6:7]
	v_add3_u32 v11, v9, v11, v3
	v_lshl_add_u64 v[8:9], v[0:1], 0, 56
	scratch_store_dwordx2 off, v[10:11], off offset:88 ; 8-byte Folded Spill
	;; [unrolled: 9-line block ×3, first 2 shown]
	v_mul_lo_u32 v3, s10, v9
	v_mul_lo_u32 v9, s11, v8
	v_mad_u64_u32 v[10:11], s[4:5], s10, v8, v[4:5]
	v_add3_u32 v11, v9, v11, v3
	scratch_store_dwordx2 off, v[10:11], off offset:112 ; 8-byte Folded Spill
	v_mad_u64_u32 v[10:11], s[4:5], s10, v8, v[6:7]
	s_mov_b64 s[4:5], 0x48
	v_add3_u32 v11, v9, v11, v3
	v_lshl_add_u64 v[8:9], v[0:1], 0, s[4:5]
	scratch_store_dwordx2 off, v[10:11], off offset:120 ; 8-byte Folded Spill
	v_mul_lo_u32 v3, s10, v9
	v_mul_lo_u32 v9, s11, v8
	v_mad_u64_u32 v[10:11], s[4:5], s10, v8, v[4:5]
	v_add3_u32 v11, v9, v11, v3
	scratch_store_dwordx2 off, v[10:11], off offset:128 ; 8-byte Folded Spill
	v_mad_u64_u32 v[10:11], s[4:5], s10, v8, v[6:7]
	s_mov_b64 s[4:5], 0x50
	v_add3_u32 v11, v9, v11, v3
	v_lshl_add_u64 v[8:9], v[0:1], 0, s[4:5]
	scratch_store_dwordx2 off, v[10:11], off offset:136 ; 8-byte Folded Spill
	;; [unrolled: 10-line block ×6, first 2 shown]
	v_mul_lo_u32 v3, s10, v9
	v_mul_lo_u32 v9, s11, v8
	v_mad_u64_u32 v[10:11], s[4:5], s10, v8, v[4:5]
	v_add3_u32 v11, v9, v11, v3
	scratch_store_dwordx2 off, v[10:11], off offset:208 ; 8-byte Folded Spill
	v_mad_u64_u32 v[10:11], s[4:5], s10, v8, v[6:7]
	s_mov_b64 s[4:5], 0x78
	s_nop 0
	v_lshl_add_u64 v[0:1], v[0:1], 0, s[4:5]
	v_mad_u64_u32 v[4:5], s[4:5], s10, v0, v[4:5]
	v_mad_u64_u32 v[94:95], s[4:5], s10, v0, v[6:7]
	v_mul_lo_u32 v1, s10, v1
	v_mul_lo_u32 v0, s11, v0
	v_add3_u32 v5, v0, v5, v1
	v_add3_u32 v95, v0, v95, v1
	v_lshlrev_b32_e32 v0, 4, v18
	v_mov_b32_e32 v1, v2
	v_lshl_add_u64 v[6:7], v[0:1], 0, s[18:19]
	scratch_store_dwordx2 off, v[0:1], off offset:296 ; 8-byte Folded Spill
	v_lshl_add_u64 v[0:1], v[6:7], 0, 15
	v_add3_u32 v11, v9, v11, v3
	scratch_store_dwordx2 off, v[4:5], off offset:224 ; 8-byte Folded Spill
	v_mul_lo_u32 v3, s11, v0
	v_mul_lo_u32 v4, s10, v1
	v_mad_u64_u32 v[0:1], s[4:5], s10, v0, 0
	v_add3_u32 v1, v1, v4, v3
	v_lshl_add_u64 v[4:5], v[6:7], 0, 14
	v_mul_lo_u32 v3, s11, v4
	v_mul_lo_u32 v8, s10, v5
	v_mad_u64_u32 v[4:5], s[4:5], s10, v4, 0
	v_add3_u32 v5, v5, v8, v3
	v_lshl_add_u64 v[8:9], v[6:7], 0, 13
	scratch_store_dwordx2 off, v[10:11], off offset:216 ; 8-byte Folded Spill
	v_mul_lo_u32 v3, s11, v8
	v_mul_lo_u32 v10, s10, v9
	v_mad_u64_u32 v[8:9], s[4:5], s10, v8, 0
	v_add3_u32 v9, v9, v10, v3
	v_lshl_add_u64 v[10:11], v[6:7], 0, 12
	scratch_store_dwordx2 off, v[12:13], off offset:56 ; 8-byte Folded Spill
	v_mul_lo_u32 v3, s11, v10
	v_mul_lo_u32 v12, s10, v11
	v_mad_u64_u32 v[10:11], s[4:5], s10, v10, 0
	v_add3_u32 v11, v11, v12, v3
	v_lshl_add_u64 v[12:13], v[6:7], 0, 11
	v_mul_lo_u32 v3, s11, v12
	v_mul_lo_u32 v14, s10, v13
	v_mad_u64_u32 v[12:13], s[4:5], s10, v12, 0
	v_add3_u32 v13, v13, v14, v3
	v_lshl_add_u64 v[14:15], v[6:7], 0, 10
	;; [unrolled: 5-line block ×3, first 2 shown]
	scratch_store_dword off, v18, off offset:304 ; 4-byte Folded Spill
	v_mul_lo_u32 v3, s11, v16
	v_mul_lo_u32 v18, s10, v17
	v_mad_u64_u32 v[16:17], s[4:5], s10, v16, 0
	v_add3_u32 v17, v17, v18, v3
	v_lshl_add_u64 v[18:19], v[6:7], 0, 8
	scratch_store_dwordx2 off, v[20:21], off offset:40 ; 8-byte Folded Spill
	v_mul_lo_u32 v3, s11, v18
	v_mul_lo_u32 v20, s10, v19
	v_mad_u64_u32 v[18:19], s[4:5], s10, v18, 0
	v_add3_u32 v19, v19, v20, v3
	v_lshl_add_u64 v[20:21], v[6:7], 0, 7
	v_mul_lo_u32 v3, s11, v20
	v_mul_lo_u32 v22, s10, v21
	v_mad_u64_u32 v[20:21], s[4:5], s10, v20, 0
	v_add3_u32 v21, v21, v22, v3
	v_lshl_add_u64 v[22:23], v[6:7], 0, 6
	;; [unrolled: 5-line block ×6, first 2 shown]
	v_mul_lo_u32 v3, s11, v30
	v_mul_lo_u32 v32, s10, v31
	v_mad_u64_u32 v[30:31], s[4:5], s10, v30, 0
	s_load_dword s3, s[0:1], 0x44
	v_lshlrev_b64 v[0:1], 3, v[0:1]
	v_add3_u32 v31, v31, v32, v3
	v_mov_b64_e32 v[32:33], s[10:11]
	v_lshl_add_u64 v[104:105], s[12:13], 0, v[0:1]
	v_lshl_add_u64 v[106:107], s[14:15], 0, v[0:1]
	v_lshlrev_b64 v[0:1], 3, v[4:5]
	v_lshlrev_b64 v[4:5], 3, v[18:19]
	v_mad_u64_u32 v[32:33], s[4:5], s10, v6, v[32:33]
	v_mul_lo_u32 v3, s11, v6
	v_mul_lo_u32 v34, s10, v7
	v_mad_u64_u32 v[6:7], s[4:5], s10, v6, 0
	v_lshl_add_u64 v[36:37], s[12:13], 0, v[4:5]
	v_lshl_add_u64 v[38:39], s[14:15], 0, v[4:5]
	v_lshlrev_b64 v[4:5], 3, v[20:21]
	v_add3_u32 v7, v7, v34, v3
	v_add3_u32 v33, v3, v33, v34
	scratch_store_dword off, v41, off offset:308 ; 4-byte Folded Spill
	v_and_b32_e32 v3, 0x3ff, v41
	v_lshl_add_u64 v[40:41], s[12:13], 0, v[4:5]
	v_lshl_add_u64 v[42:43], s[14:15], 0, v[4:5]
	v_lshlrev_b64 v[4:5], 3, v[22:23]
	s_add_u32 s4, s0, 64
	v_lshl_add_u64 v[108:109], s[12:13], 0, v[0:1]
	v_lshl_add_u64 v[110:111], s[14:15], 0, v[0:1]
	v_lshlrev_b64 v[0:1], 3, v[8:9]
	v_lshl_add_u64 v[44:45], s[12:13], 0, v[4:5]
	v_lshl_add_u64 v[46:47], s[14:15], 0, v[4:5]
	v_lshlrev_b64 v[4:5], 3, v[24:25]
	s_addc_u32 s5, s1, 0
	s_waitcnt lgkmcnt(0)
	s_lshl_b32 s3, s3, 8
	v_lshl_add_u64 v[112:113], s[12:13], 0, v[0:1]
	v_lshl_add_u64 v[114:115], s[14:15], 0, v[0:1]
	v_lshlrev_b64 v[0:1], 3, v[10:11]
	v_lshl_add_u64 v[48:49], s[12:13], 0, v[4:5]
	v_lshl_add_u64 v[50:51], s[14:15], 0, v[4:5]
	v_lshlrev_b64 v[4:5], 3, v[26:27]
	s_mul_i32 s6, s11, s3
	s_mul_hi_u32 s7, s10, s3
	v_lshl_add_u64 v[116:117], s[12:13], 0, v[0:1]
	v_lshl_add_u64 v[118:119], s[14:15], 0, v[0:1]
	v_lshlrev_b64 v[0:1], 3, v[12:13]
	v_lshl_add_u64 v[52:53], s[12:13], 0, v[4:5]
	v_lshl_add_u64 v[54:55], s[14:15], 0, v[4:5]
	v_lshlrev_b64 v[4:5], 3, v[28:29]
	v_mov_b32_e32 v89, v3
	v_add_u32_e32 v34, s33, v3
	s_add_i32 s7, s7, s6
	s_mul_i32 s6, s10, s3
	v_lshl_add_u64 v[120:121], s[12:13], 0, v[0:1]
	v_lshl_add_u64 v[122:123], s[14:15], 0, v[0:1]
	v_lshlrev_b64 v[0:1], 3, v[14:15]
	v_lshl_add_u64 v[56:57], s[12:13], 0, v[4:5]
	v_lshl_add_u64 v[58:59], s[14:15], 0, v[4:5]
	v_lshlrev_b64 v[4:5], 3, v[30:31]
	v_mbcnt_lo_u32_b32 v3, -1, 0
	v_lshlrev_b64 v[6:7], 3, v[6:7]
	s_lshl_b64 s[6:7], s[6:7], 3
	v_lshl_add_u64 v[124:125], s[12:13], 0, v[0:1]
	v_lshl_add_u64 v[126:127], s[14:15], 0, v[0:1]
	v_lshlrev_b64 v[0:1], 3, v[16:17]
	v_lshl_add_u64 v[60:61], s[12:13], 0, v[4:5]
	v_lshl_add_u64 v[62:63], s[14:15], 0, v[4:5]
	v_lshlrev_b64 v[4:5], 3, v[32:33]
	v_mbcnt_hi_u32_b32 v3, -1, v3
	v_mov_b32_e32 v35, v2
	v_lshl_add_u64 v[100:101], s[12:13], 0, v[6:7]
	v_lshl_add_u64 v[102:103], s[14:15], 0, v[6:7]
	s_add_u32 s20, s18, 0xff
	v_lshl_add_u64 v[96:97], s[12:13], 0, v[0:1]
	v_lshl_add_u64 v[0:1], s[14:15], 0, v[0:1]
	;; [unrolled: 1-line block ×4, first 2 shown]
	s_movk_i32 s12, 0xff01
	s_movk_i32 s14, 0xff02
	;; [unrolled: 1-line block ×16, first 2 shown]
	v_lshlrev_b32_e32 v3, 2, v3
	v_lshlrev_b64 v[98:99], 3, v[34:35]
	s_addc_u32 s21, 0, 0
	s_mov_b32 s13, -1
	s_mov_b32 s15, -1
	;; [unrolled: 1-line block ×16, first 2 shown]
	v_and_b32_e32 v88, 0x100, v3
	v_mov_b64_e32 v[70:71], 0
.LBB128_85:                             ; =>This Inner Loop Header: Depth=1
	v_mov_b64_e32 v[4:5], s[8:9]
	v_cmp_ge_i64_e32 vcc, s[20:21], v[4:5]
	scratch_load_dwordx2 v[4:5], off, off offset:296 ; 8-byte Folded Reload
	s_mov_b64 s[52:53], -1
                                        ; implicit-def: $vgpr68_vgpr69
	s_waitcnt vmcnt(0)
	v_lshl_add_u64 v[72:73], v[4:5], 0, s[20:21]
	s_cbranch_vccz .LBB128_123
; %bb.86:                               ;   in Loop: Header=BB128_85 Depth=1
	scratch_load_dword v3, off, off offset:304 ; 4-byte Folded Reload
	s_load_dword s33, s[4:5], 0xc
	v_mov_b64_e32 v[68:69], 0
	v_mov_b64_e32 v[74:75], 0
	s_waitcnt lgkmcnt(0)
	s_and_b32 s33, s33, 0xffff
	s_waitcnt vmcnt(0)
	v_mad_u32_u24 v3, v3, s33, v89
	v_and_b32_e32 v4, 63, v3
	v_cmp_gt_u32_e32 vcc, 16, v4
	s_and_saveexec_b64 s[52:53], vcc
	s_cbranch_execz .LBB128_90
; %bb.87:                               ;   in Loop: Header=BB128_85 Depth=1
	v_mov_b32_e32 v5, v2
	v_lshl_add_u64 v[4:5], v[72:73], 0, v[4:5]
	v_lshl_add_u64 v[4:5], v[4:5], 0, s[12:13]
	v_cmp_gt_i64_e32 vcc, s[8:9], v[4:5]
	v_mov_b64_e32 v[74:75], 0
	s_and_saveexec_b64 s[54:55], vcc
	s_cbranch_execz .LBB128_89
; %bb.88:                               ;   in Loop: Header=BB128_85 Depth=1
	v_lshl_add_u64 v[4:5], v[4:5], 3, s[16:17]
	global_load_dwordx2 v[74:75], v[4:5], off
.LBB128_89:                             ;   in Loop: Header=BB128_85 Depth=1
	s_or_b64 exec, exec, s[54:55]
.LBB128_90:                             ;   in Loop: Header=BB128_85 Depth=1
	s_or_b64 exec, exec, s[52:53]
	v_lshl_add_u64 v[4:5], v[72:73], 0, s[12:13]
	v_cmp_gt_i64_e32 vcc, s[8:9], v[4:5]
	v_mov_b32_e32 v4, v2
	v_mov_b32_e32 v5, v2
	;; [unrolled: 1-line block ×31, first 2 shown]
	v_mov_b64_e32 v[34:35], v[32:33]
	v_mov_b64_e32 v[32:33], v[30:31]
	;; [unrolled: 1-line block ×16, first 2 shown]
	s_and_saveexec_b64 s[52:53], vcc
	s_cbranch_execz .LBB128_92
; %bb.91:                               ;   in Loop: Header=BB128_85 Depth=1
	v_lshl_add_u64 v[4:5], v[100:101], 0, v[98:99]
	v_lshl_add_u64 v[6:7], v[102:103], 0, v[98:99]
	global_load_dwordx2 v[4:5], v[4:5], off
	v_mov_b32_e32 v8, v2
	global_load_dwordx2 v[68:69], v[6:7], off
	v_mov_b32_e32 v6, v2
	v_mov_b32_e32 v7, v2
	;; [unrolled: 1-line block ×29, first 2 shown]
.LBB128_92:                             ;   in Loop: Header=BB128_85 Depth=1
	s_or_b64 exec, exec, s[52:53]
	v_lshl_add_u64 v[76:77], v[72:73], 0, s[14:15]
	v_cmp_gt_i64_e32 vcc, s[8:9], v[76:77]
	v_mov_b64_e32 v[92:93], 0
	v_mov_b64_e32 v[76:77], 0
	scratch_store_dwordx2 off, v[76:77], off offset:232 ; 8-byte Folded Spill
	s_and_saveexec_b64 s[52:53], vcc
	s_cbranch_execz .LBB128_94
; %bb.93:                               ;   in Loop: Header=BB128_85 Depth=1
	v_lshl_add_u64 v[6:7], v[64:65], 0, v[98:99]
	v_lshl_add_u64 v[76:77], v[66:67], 0, v[98:99]
	global_load_dwordx2 v[6:7], v[6:7], off
	s_nop 0
	global_load_dwordx2 v[76:77], v[76:77], off
	s_waitcnt vmcnt(0)
	scratch_store_dwordx2 off, v[76:77], off offset:232 ; 8-byte Folded Spill
.LBB128_94:                             ;   in Loop: Header=BB128_85 Depth=1
	s_or_b64 exec, exec, s[52:53]
	v_lshl_add_u64 v[76:77], v[72:73], 0, s[22:23]
	v_cmp_gt_i64_e32 vcc, s[8:9], v[76:77]
	s_and_saveexec_b64 s[52:53], vcc
	s_cbranch_execz .LBB128_96
; %bb.95:                               ;   in Loop: Header=BB128_85 Depth=1
	v_lshl_add_u64 v[8:9], v[60:61], 0, v[98:99]
	v_lshl_add_u64 v[76:77], v[62:63], 0, v[98:99]
	global_load_dwordx2 v[8:9], v[8:9], off
	s_nop 0
	global_load_dwordx2 v[92:93], v[76:77], off
.LBB128_96:                             ;   in Loop: Header=BB128_85 Depth=1
	s_or_b64 exec, exec, s[52:53]
	v_lshl_add_u64 v[76:77], v[72:73], 0, s[24:25]
	v_cmp_gt_i64_e32 vcc, s[8:9], v[76:77]
	v_mov_b64_e32 v[76:77], 0
	scratch_store_dwordx2 off, v[76:77], off offset:240 ; 8-byte Folded Spill
	v_mov_b64_e32 v[76:77], 0
	scratch_store_dwordx2 off, v[76:77], off offset:248 ; 8-byte Folded Spill
	s_and_saveexec_b64 s[52:53], vcc
	s_cbranch_execz .LBB128_98
; %bb.97:                               ;   in Loop: Header=BB128_85 Depth=1
	v_lshl_add_u64 v[10:11], v[56:57], 0, v[98:99]
	v_lshl_add_u64 v[76:77], v[58:59], 0, v[98:99]
	global_load_dwordx2 v[10:11], v[10:11], off
	s_nop 0
	global_load_dwordx2 v[76:77], v[76:77], off
	s_waitcnt vmcnt(0)
	scratch_store_dwordx2 off, v[76:77], off offset:248 ; 8-byte Folded Spill
.LBB128_98:                             ;   in Loop: Header=BB128_85 Depth=1
	s_or_b64 exec, exec, s[52:53]
	v_lshl_add_u64 v[76:77], v[72:73], 0, s[26:27]
	v_cmp_gt_i64_e32 vcc, s[8:9], v[76:77]
	s_and_saveexec_b64 s[52:53], vcc
	s_cbranch_execz .LBB128_100
; %bb.99:                               ;   in Loop: Header=BB128_85 Depth=1
	v_lshl_add_u64 v[12:13], v[52:53], 0, v[98:99]
	v_lshl_add_u64 v[76:77], v[54:55], 0, v[98:99]
	global_load_dwordx2 v[12:13], v[12:13], off
	s_nop 0
	global_load_dwordx2 v[76:77], v[76:77], off
	s_waitcnt vmcnt(0)
	scratch_store_dwordx2 off, v[76:77], off offset:240 ; 8-byte Folded Spill
.LBB128_100:                            ;   in Loop: Header=BB128_85 Depth=1
	s_or_b64 exec, exec, s[52:53]
	v_lshl_add_u64 v[76:77], v[72:73], 0, s[28:29]
	v_cmp_gt_i64_e32 vcc, s[8:9], v[76:77]
	v_mov_b64_e32 v[76:77], 0
	scratch_store_dwordx2 off, v[76:77], off offset:256 ; 8-byte Folded Spill
	v_mov_b64_e32 v[76:77], 0
	scratch_store_dwordx2 off, v[76:77], off offset:264 ; 8-byte Folded Spill
	s_and_saveexec_b64 s[52:53], vcc
	s_cbranch_execz .LBB128_102
; %bb.101:                              ;   in Loop: Header=BB128_85 Depth=1
	v_lshl_add_u64 v[14:15], v[48:49], 0, v[98:99]
	v_lshl_add_u64 v[76:77], v[50:51], 0, v[98:99]
	global_load_dwordx2 v[14:15], v[14:15], off
	s_nop 0
	global_load_dwordx2 v[76:77], v[76:77], off
	s_waitcnt vmcnt(0)
	scratch_store_dwordx2 off, v[76:77], off offset:264 ; 8-byte Folded Spill
.LBB128_102:                            ;   in Loop: Header=BB128_85 Depth=1
	s_or_b64 exec, exec, s[52:53]
	v_lshl_add_u64 v[76:77], v[72:73], 0, s[30:31]
	v_cmp_gt_i64_e32 vcc, s[8:9], v[76:77]
	s_and_saveexec_b64 s[52:53], vcc
	s_cbranch_execz .LBB128_104
; %bb.103:                              ;   in Loop: Header=BB128_85 Depth=1
	v_lshl_add_u64 v[16:17], v[44:45], 0, v[98:99]
	v_lshl_add_u64 v[76:77], v[46:47], 0, v[98:99]
	global_load_dwordx2 v[16:17], v[16:17], off
	s_nop 0
	global_load_dwordx2 v[76:77], v[76:77], off
	s_waitcnt vmcnt(0)
	scratch_store_dwordx2 off, v[76:77], off offset:256 ; 8-byte Folded Spill
.LBB128_104:                            ;   in Loop: Header=BB128_85 Depth=1
	s_or_b64 exec, exec, s[52:53]
	v_lshl_add_u64 v[76:77], v[72:73], 0, s[34:35]
	v_cmp_gt_i64_e32 vcc, s[8:9], v[76:77]
	v_mov_b64_e32 v[76:77], 0
	scratch_store_dwordx2 off, v[76:77], off offset:272 ; 8-byte Folded Spill
	v_mov_b64_e32 v[76:77], 0
	scratch_store_dwordx2 off, v[76:77], off offset:280 ; 8-byte Folded Spill
	s_and_saveexec_b64 s[52:53], vcc
	s_cbranch_execz .LBB128_106
; %bb.105:                              ;   in Loop: Header=BB128_85 Depth=1
	v_lshl_add_u64 v[18:19], v[40:41], 0, v[98:99]
	v_lshl_add_u64 v[76:77], v[42:43], 0, v[98:99]
	global_load_dwordx2 v[18:19], v[18:19], off
	s_nop 0
	global_load_dwordx2 v[76:77], v[76:77], off
	s_waitcnt vmcnt(0)
	scratch_store_dwordx2 off, v[76:77], off offset:280 ; 8-byte Folded Spill
.LBB128_106:                            ;   in Loop: Header=BB128_85 Depth=1
	s_or_b64 exec, exec, s[52:53]
	v_lshl_add_u64 v[76:77], v[72:73], 0, s[36:37]
	v_cmp_gt_i64_e32 vcc, s[8:9], v[76:77]
	s_and_saveexec_b64 s[52:53], vcc
	s_cbranch_execz .LBB128_108
; %bb.107:                              ;   in Loop: Header=BB128_85 Depth=1
	v_lshl_add_u64 v[20:21], v[36:37], 0, v[98:99]
	v_lshl_add_u64 v[76:77], v[38:39], 0, v[98:99]
	global_load_dwordx2 v[20:21], v[20:21], off
	s_nop 0
	global_load_dwordx2 v[76:77], v[76:77], off
	s_waitcnt vmcnt(0)
	scratch_store_dwordx2 off, v[76:77], off offset:272 ; 8-byte Folded Spill
.LBB128_108:                            ;   in Loop: Header=BB128_85 Depth=1
	s_or_b64 exec, exec, s[52:53]
	v_lshl_add_u64 v[76:77], v[72:73], 0, s[38:39]
	v_cmp_gt_i64_e32 vcc, s[8:9], v[76:77]
	v_mov_b64_e32 v[76:77], 0
	scratch_store_dwordx2 off, v[76:77], off offset:288 ; 8-byte Folded Spill
	v_mov_b64_e32 v[76:77], 0
	s_and_saveexec_b64 s[52:53], vcc
	s_cbranch_execz .LBB128_110
; %bb.109:                              ;   in Loop: Header=BB128_85 Depth=1
	v_lshl_add_u64 v[22:23], v[96:97], 0, v[98:99]
	v_lshl_add_u64 v[76:77], v[0:1], 0, v[98:99]
	global_load_dwordx2 v[22:23], v[22:23], off
	s_nop 0
	global_load_dwordx2 v[76:77], v[76:77], off
.LBB128_110:                            ;   in Loop: Header=BB128_85 Depth=1
	s_or_b64 exec, exec, s[52:53]
	v_lshl_add_u64 v[78:79], v[72:73], 0, s[40:41]
	v_cmp_gt_i64_e32 vcc, s[8:9], v[78:79]
	s_and_saveexec_b64 s[52:53], vcc
	s_cbranch_execz .LBB128_112
; %bb.111:                              ;   in Loop: Header=BB128_85 Depth=1
	v_lshl_add_u64 v[24:25], v[124:125], 0, v[98:99]
	v_lshl_add_u64 v[78:79], v[126:127], 0, v[98:99]
	global_load_dwordx2 v[24:25], v[24:25], off
	s_nop 0
	global_load_dwordx2 v[78:79], v[78:79], off
	s_waitcnt vmcnt(0)
	scratch_store_dwordx2 off, v[78:79], off offset:288 ; 8-byte Folded Spill
.LBB128_112:                            ;   in Loop: Header=BB128_85 Depth=1
	s_or_b64 exec, exec, s[52:53]
	v_lshl_add_u64 v[78:79], v[72:73], 0, s[42:43]
	v_cmp_gt_i64_e32 vcc, s[8:9], v[78:79]
	v_mov_b64_e32 v[80:81], 0
	v_mov_b64_e32 v[82:83], 0
	s_and_saveexec_b64 s[52:53], vcc
	s_cbranch_execz .LBB128_114
; %bb.113:                              ;   in Loop: Header=BB128_85 Depth=1
	v_lshl_add_u64 v[26:27], v[120:121], 0, v[98:99]
	v_lshl_add_u64 v[78:79], v[122:123], 0, v[98:99]
	global_load_dwordx2 v[26:27], v[26:27], off
	s_nop 0
	global_load_dwordx2 v[82:83], v[78:79], off
.LBB128_114:                            ;   in Loop: Header=BB128_85 Depth=1
	s_or_b64 exec, exec, s[52:53]
	v_lshl_add_u64 v[78:79], v[72:73], 0, s[44:45]
	v_cmp_gt_i64_e32 vcc, s[8:9], v[78:79]
	s_and_saveexec_b64 s[52:53], vcc
	s_cbranch_execz .LBB128_116
; %bb.115:                              ;   in Loop: Header=BB128_85 Depth=1
	v_lshl_add_u64 v[28:29], v[116:117], 0, v[98:99]
	v_lshl_add_u64 v[78:79], v[118:119], 0, v[98:99]
	global_load_dwordx2 v[28:29], v[28:29], off
	s_nop 0
	global_load_dwordx2 v[80:81], v[78:79], off
.LBB128_116:                            ;   in Loop: Header=BB128_85 Depth=1
	s_or_b64 exec, exec, s[52:53]
	v_lshl_add_u64 v[78:79], v[72:73], 0, s[46:47]
	v_cmp_gt_i64_e32 vcc, s[8:9], v[78:79]
	v_mov_b64_e32 v[84:85], 0
	v_mov_b64_e32 v[78:79], 0
	s_and_saveexec_b64 s[52:53], vcc
	s_cbranch_execz .LBB128_118
; %bb.117:                              ;   in Loop: Header=BB128_85 Depth=1
	v_lshl_add_u64 v[30:31], v[112:113], 0, v[98:99]
	v_lshl_add_u64 v[78:79], v[114:115], 0, v[98:99]
	global_load_dwordx2 v[30:31], v[30:31], off
	s_nop 0
	global_load_dwordx2 v[78:79], v[78:79], off
.LBB128_118:                            ;   in Loop: Header=BB128_85 Depth=1
	s_or_b64 exec, exec, s[52:53]
	v_lshl_add_u64 v[86:87], v[72:73], 0, s[48:49]
	v_cmp_gt_i64_e32 vcc, s[8:9], v[86:87]
	s_and_saveexec_b64 s[52:53], vcc
	s_cbranch_execz .LBB128_120
; %bb.119:                              ;   in Loop: Header=BB128_85 Depth=1
	v_lshl_add_u64 v[32:33], v[108:109], 0, v[98:99]
	v_lshl_add_u64 v[84:85], v[110:111], 0, v[98:99]
	global_load_dwordx2 v[32:33], v[32:33], off
	s_nop 0
	global_load_dwordx2 v[84:85], v[84:85], off
.LBB128_120:                            ;   in Loop: Header=BB128_85 Depth=1
	s_or_b64 exec, exec, s[52:53]
	v_lshl_add_u64 v[86:87], v[72:73], 0, s[50:51]
	v_cmp_gt_i64_e32 vcc, s[8:9], v[86:87]
	v_mov_b64_e32 v[86:87], 0
	s_and_saveexec_b64 s[52:53], vcc
	s_cbranch_execz .LBB128_122
; %bb.121:                              ;   in Loop: Header=BB128_85 Depth=1
	v_lshl_add_u64 v[34:35], v[104:105], 0, v[98:99]
	v_lshl_add_u64 v[86:87], v[106:107], 0, v[98:99]
	global_load_dwordx2 v[34:35], v[34:35], off
	s_nop 0
	global_load_dwordx2 v[86:87], v[86:87], off
.LBB128_122:                            ;   in Loop: Header=BB128_85 Depth=1
	s_or_b64 exec, exec, s[52:53]
	s_waitcnt vmcnt(8)
	ds_bpermute_b32 v90, v88, v74
	ds_bpermute_b32 v91, v88, v75
	v_mul_f64 v[4:5], v[68:69], v[4:5]
	s_mov_b64 s[52:53], 0
	s_waitcnt lgkmcnt(0)
	v_fma_f64 v[68:69], v[4:5], v[90:91], v[70:71]
	scratch_load_dwordx2 v[90:91], off, off offset:232 ; 8-byte Folded Reload
	ds_bpermute_b32 v4, v88, v74 offset:4
	ds_bpermute_b32 v5, v88, v75 offset:4
	s_waitcnt vmcnt(0)
	v_mul_f64 v[6:7], v[90:91], v[6:7]
	s_waitcnt lgkmcnt(0)
	v_fmac_f64_e32 v[68:69], v[6:7], v[4:5]
	ds_bpermute_b32 v4, v88, v74 offset:8
	ds_bpermute_b32 v5, v88, v75 offset:8
	v_mul_f64 v[6:7], v[92:93], v[8:9]
	s_waitcnt lgkmcnt(0)
	v_fmac_f64_e32 v[68:69], v[6:7], v[4:5]
	scratch_load_dwordx2 v[6:7], off, off offset:248 ; 8-byte Folded Reload
	ds_bpermute_b32 v4, v88, v74 offset:12
	ds_bpermute_b32 v5, v88, v75 offset:12
	s_waitcnt vmcnt(0)
	v_mul_f64 v[6:7], v[6:7], v[10:11]
	s_waitcnt lgkmcnt(0)
	v_fmac_f64_e32 v[68:69], v[6:7], v[4:5]
	scratch_load_dwordx2 v[6:7], off, off offset:240 ; 8-byte Folded Reload
	ds_bpermute_b32 v4, v88, v74 offset:16
	ds_bpermute_b32 v5, v88, v75 offset:16
	s_waitcnt vmcnt(0)
	;; [unrolled: 7-line block ×6, first 2 shown]
	v_mul_f64 v[6:7], v[6:7], v[20:21]
	s_waitcnt lgkmcnt(0)
	v_fmac_f64_e32 v[68:69], v[6:7], v[4:5]
	ds_bpermute_b32 v4, v88, v74 offset:36
	ds_bpermute_b32 v5, v88, v75 offset:36
	v_mul_f64 v[6:7], v[76:77], v[22:23]
	s_waitcnt lgkmcnt(0)
	v_fmac_f64_e32 v[68:69], v[6:7], v[4:5]
	scratch_load_dwordx2 v[6:7], off, off offset:288 ; 8-byte Folded Reload
	ds_bpermute_b32 v4, v88, v74 offset:40
	ds_bpermute_b32 v5, v88, v75 offset:40
	s_waitcnt vmcnt(0)
	v_mul_f64 v[6:7], v[6:7], v[24:25]
	s_waitcnt lgkmcnt(0)
	v_fmac_f64_e32 v[68:69], v[6:7], v[4:5]
	ds_bpermute_b32 v4, v88, v74 offset:44
	ds_bpermute_b32 v5, v88, v75 offset:44
	v_mul_f64 v[6:7], v[82:83], v[26:27]
	s_waitcnt lgkmcnt(0)
	v_fmac_f64_e32 v[68:69], v[6:7], v[4:5]
	ds_bpermute_b32 v4, v88, v74 offset:48
	ds_bpermute_b32 v5, v88, v75 offset:48
	;; [unrolled: 5-line block ×5, first 2 shown]
	v_mul_f64 v[6:7], v[86:87], v[34:35]
	s_waitcnt lgkmcnt(0)
	v_fmac_f64_e32 v[68:69], v[6:7], v[4:5]
.LBB128_123:                            ;   in Loop: Header=BB128_85 Depth=1
	s_and_b64 vcc, exec, s[52:53]
	s_cbranch_vccz .LBB128_129
; %bb.124:                              ;   in Loop: Header=BB128_85 Depth=1
	s_load_dword s33, s[4:5], 0x0
	s_waitcnt lgkmcnt(0)
	s_cmp_lt_u32 s2, s33
	s_cselect_b32 s33, 12, 18
	s_add_u32 s52, s4, s33
	s_addc_u32 s53, s5, 0
	global_load_ushort v3, v2, s[52:53]
	scratch_load_dword v4, off, off offset:304 ; 4-byte Folded Reload
	s_waitcnt vmcnt(0)
	v_mad_u32_u24 v3, v4, v3, v89
	v_and_b32_e32 v6, 63, v3
	v_cmp_gt_u32_e32 vcc, 16, v6
	v_mov_b64_e32 v[4:5], 0
	s_and_saveexec_b64 s[52:53], vcc
	s_cbranch_execz .LBB128_128
; %bb.125:                              ;   in Loop: Header=BB128_85 Depth=1
	v_mov_b32_e32 v7, v2
	v_lshl_add_u64 v[4:5], v[72:73], 0, v[6:7]
	v_lshl_add_u64 v[6:7], v[4:5], 0, s[12:13]
	v_cmp_gt_i64_e32 vcc, s[8:9], v[6:7]
	v_mov_b64_e32 v[4:5], 0
	s_and_saveexec_b64 s[54:55], vcc
	s_cbranch_execz .LBB128_127
; %bb.126:                              ;   in Loop: Header=BB128_85 Depth=1
	v_lshl_add_u64 v[4:5], v[6:7], 3, s[16:17]
	global_load_dwordx2 v[4:5], v[4:5], off
.LBB128_127:                            ;   in Loop: Header=BB128_85 Depth=1
	s_or_b64 exec, exec, s[54:55]
.LBB128_128:                            ;   in Loop: Header=BB128_85 Depth=1
	s_or_b64 exec, exec, s[52:53]
	v_lshl_add_u64 v[6:7], v[100:101], 0, v[98:99]
	global_load_dwordx2 v[18:19], v[6:7], off
	v_lshl_add_u64 v[6:7], v[102:103], 0, v[98:99]
	global_load_dwordx2 v[20:21], v[6:7], off
	s_nop 0
	scratch_load_dwordx2 v[6:7], off, off   ; 8-byte Folded Reload
	scratch_load_dwordx2 v[8:9], off, off offset:24 ; 8-byte Folded Reload
	s_waitcnt vmcnt(4)
	ds_bpermute_b32 v80, v88, v4
	ds_bpermute_b32 v81, v88, v5
	ds_bpermute_b32 v90, v88, v4 offset:4
	ds_bpermute_b32 v91, v88, v5 offset:4
	s_waitcnt vmcnt(2)
	v_mul_f64 v[18:19], v[18:19], v[20:21]
	s_waitcnt vmcnt(1)
	v_lshl_add_u64 v[6:7], v[6:7], 0, v[98:99]
	s_waitcnt vmcnt(0)
	v_lshl_add_u64 v[8:9], v[8:9], 0, v[98:99]
	global_load_dwordx2 v[22:23], v[6:7], off
	global_load_dwordx2 v[24:25], v[8:9], off
	s_nop 0
	scratch_load_dwordx2 v[6:7], off, off offset:8 ; 8-byte Folded Reload
	scratch_load_dwordx2 v[8:9], off, off offset:40 ; 8-byte Folded Reload
	s_waitcnt lgkmcnt(2)
	v_fmac_f64_e32 v[70:71], v[18:19], v[80:81]
	s_waitcnt vmcnt(2)
	v_mul_f64 v[22:23], v[22:23], v[24:25]
	s_waitcnt vmcnt(1)
	v_lshl_add_u64 v[6:7], v[6:7], 0, v[98:99]
	s_waitcnt vmcnt(0)
	v_lshl_add_u64 v[8:9], v[8:9], 0, v[98:99]
	global_load_dwordx2 v[14:15], v[6:7], off
	global_load_dwordx2 v[16:17], v[8:9], off
	s_nop 0
	scratch_load_dwordx2 v[6:7], off, off offset:16 ; 8-byte Folded Reload
	scratch_load_dwordx2 v[8:9], off, off offset:48 ; 8-byte Folded Reload
	s_waitcnt lgkmcnt(0)
	v_fmac_f64_e32 v[70:71], v[22:23], v[90:91]
	s_waitcnt vmcnt(2)
	v_mul_f64 v[14:15], v[14:15], v[16:17]
	s_waitcnt vmcnt(1)
	v_lshl_add_u64 v[6:7], v[6:7], 0, v[98:99]
	s_waitcnt vmcnt(0)
	v_lshl_add_u64 v[8:9], v[8:9], 0, v[98:99]
	global_load_dwordx2 v[10:11], v[6:7], off
	global_load_dwordx2 v[12:13], v[8:9], off
	s_nop 0
	scratch_load_dwordx2 v[6:7], off, off offset:32 ; 8-byte Folded Reload
	scratch_load_dwordx2 v[8:9], off, off offset:56 ; 8-byte Folded Reload
	s_waitcnt vmcnt(2)
	v_mul_f64 v[10:11], v[10:11], v[12:13]
	s_waitcnt vmcnt(1)
	v_lshl_add_u64 v[6:7], v[6:7], 0, v[98:99]
	s_waitcnt vmcnt(0)
	v_lshl_add_u64 v[8:9], v[8:9], 0, v[98:99]
	global_load_dwordx2 v[6:7], v[6:7], off
	s_nop 0
	global_load_dwordx2 v[8:9], v[8:9], off
	s_nop 0
	scratch_load_dwordx2 v[26:27], off, off offset:64 ; 8-byte Folded Reload
	scratch_load_dwordx2 v[28:29], off, off offset:72 ; 8-byte Folded Reload
	scratch_load_dwordx2 v[30:31], off, off offset:80 ; 8-byte Folded Reload
	scratch_load_dwordx2 v[32:33], off, off offset:88 ; 8-byte Folded Reload
	scratch_load_dwordx2 v[34:35], off, off offset:96 ; 8-byte Folded Reload
	scratch_load_dwordx2 v[78:79], off, off offset:136 ; 8-byte Folded Reload
	scratch_load_dwordx2 v[82:83], off, off offset:144 ; 8-byte Folded Reload
	scratch_load_dwordx2 v[84:85], off, off offset:152 ; 8-byte Folded Reload
	scratch_load_dwordx2 v[20:21], off, off offset:160 ; 8-byte Folded Reload
	scratch_load_dwordx2 v[18:19], off, off offset:168 ; 8-byte Folded Reload
	scratch_load_dwordx2 v[68:69], off, off offset:104 ; 8-byte Folded Reload
	scratch_load_dwordx2 v[72:73], off, off offset:112 ; 8-byte Folded Reload
	scratch_load_dwordx2 v[74:75], off, off offset:120 ; 8-byte Folded Reload
	scratch_load_dwordx2 v[76:77], off, off offset:128 ; 8-byte Folded Reload
	s_waitcnt vmcnt(14)
	v_mul_f64 v[6:7], v[6:7], v[8:9]
	s_waitcnt vmcnt(13)
	v_lshl_add_u64 v[26:27], v[26:27], 0, v[98:99]
	s_waitcnt vmcnt(12)
	v_lshl_add_u64 v[28:29], v[28:29], 0, v[98:99]
	;; [unrolled: 2-line block ×10, first 2 shown]
	global_load_dwordx2 v[18:19], v[26:27], off
	global_load_dwordx2 v[20:21], v[28:29], off
	scratch_load_dwordx2 v[24:25], off, off offset:176 ; 8-byte Folded Reload
	scratch_load_dwordx2 v[22:23], off, off offset:184 ; 8-byte Folded Reload
	s_nop 0
	global_load_dwordx2 v[26:27], v[30:31], off
	global_load_dwordx2 v[28:29], v[32:33], off
	ds_bpermute_b32 v30, v88, v4 offset:8
	ds_bpermute_b32 v31, v88, v5 offset:8
	s_waitcnt vmcnt(9)
	v_lshl_add_u64 v[68:69], v[68:69], 0, v[98:99]
	global_load_dwordx2 v[32:33], v[34:35], off
	s_nop 0
	global_load_dwordx2 v[34:35], v[68:69], off
	scratch_load_dwordx2 v[16:17], off, off offset:192 ; 8-byte Folded Reload
	s_waitcnt vmcnt(11)
	v_lshl_add_u64 v[72:73], v[72:73], 0, v[98:99]
	s_waitcnt lgkmcnt(0)
	v_fmac_f64_e32 v[70:71], v[14:15], v[30:31]
	scratch_load_dwordx2 v[14:15], off, off offset:200 ; 8-byte Folded Reload
	s_waitcnt vmcnt(11)
	v_lshl_add_u64 v[74:75], v[74:75], 0, v[98:99]
	s_waitcnt vmcnt(10)
	v_lshl_add_u64 v[76:77], v[76:77], 0, v[98:99]
	global_load_dwordx2 v[30:31], v[72:73], off
	global_load_dwordx2 v[68:69], v[74:75], off
	s_nop 0
	global_load_dwordx2 v[72:73], v[76:77], off
	global_load_dwordx2 v[74:75], v[78:79], off
	ds_bpermute_b32 v76, v88, v4 offset:12
	ds_bpermute_b32 v77, v88, v5 offset:12
	global_load_dwordx2 v[78:79], v[82:83], off
	s_nop 0
	global_load_dwordx2 v[82:83], v[84:85], off
	scratch_load_dwordx2 v[12:13], off, off offset:208 ; 8-byte Folded Reload
	ds_bpermute_b32 v84, v88, v4 offset:16
	ds_bpermute_b32 v85, v88, v5 offset:16
	s_waitcnt lgkmcnt(2)
	v_fmac_f64_e32 v[70:71], v[10:11], v[76:77]
	scratch_load_dwordx2 v[10:11], off, off offset:216 ; 8-byte Folded Reload
	s_waitcnt lgkmcnt(0)
	v_fmac_f64_e32 v[70:71], v[6:7], v[84:85]
	v_lshl_add_u64 v[6:7], v[94:95], 0, v[98:99]
	ds_bpermute_b32 v84, v88, v4 offset:20
	ds_bpermute_b32 v85, v88, v5 offset:20
	s_waitcnt vmcnt(16)
	v_mul_f64 v[18:19], v[18:19], v[20:21]
	s_waitcnt vmcnt(15)
	v_lshl_add_u64 v[24:25], v[24:25], 0, v[98:99]
	s_waitcnt vmcnt(14)
	v_lshl_add_u64 v[22:23], v[22:23], 0, v[98:99]
	global_load_dwordx2 v[76:77], v[86:87], off
	s_nop 0
	global_load_dwordx2 v[80:81], v[80:81], off
	s_nop 0
	;; [unrolled: 2-line block ×3, first 2 shown]
	global_load_dwordx2 v[22:23], v[22:23], off
	ds_bpermute_b32 v20, v88, v4 offset:24
	ds_bpermute_b32 v21, v88, v5 offset:24
	s_waitcnt lgkmcnt(2)
	v_fmac_f64_e32 v[70:71], v[18:19], v[84:85]
	s_waitcnt vmcnt(16)
	v_mul_f64 v[18:19], v[26:27], v[28:29]
	s_waitcnt vmcnt(13)
	v_lshl_add_u64 v[16:17], v[16:17], 0, v[98:99]
	ds_bpermute_b32 v26, v88, v4 offset:32
	s_waitcnt lgkmcnt(1)
	v_fmac_f64_e32 v[70:71], v[18:19], v[20:21]
	s_waitcnt vmcnt(12)
	v_lshl_add_u64 v[14:15], v[14:15], 0, v[98:99]
	global_load_dwordx2 v[16:17], v[16:17], off
	s_nop 0
	global_load_dwordx2 v[14:15], v[14:15], off
	ds_bpermute_b32 v18, v88, v4 offset:28
	scratch_load_dwordx2 v[8:9], off, off offset:224 ; 8-byte Folded Reload
	ds_bpermute_b32 v19, v88, v5 offset:28
	ds_bpermute_b32 v27, v88, v5 offset:32
	;; [unrolled: 1-line block ×3, first 2 shown]
	s_waitcnt vmcnt(8)
	v_lshl_add_u64 v[12:13], v[12:13], 0, v[98:99]
	ds_bpermute_b32 v29, v88, v5 offset:36
	v_mul_f64 v[20:21], v[32:33], v[34:35]
	s_waitcnt lgkmcnt(3)
	v_fmac_f64_e32 v[70:71], v[20:21], v[18:19]
	s_waitcnt vmcnt(7)
	v_lshl_add_u64 v[10:11], v[10:11], 0, v[98:99]
	v_mul_f64 v[18:19], v[30:31], v[68:69]
	s_waitcnt lgkmcnt(2)
	v_fmac_f64_e32 v[70:71], v[18:19], v[26:27]
	v_mul_f64 v[18:19], v[72:73], v[74:75]
	s_waitcnt lgkmcnt(0)
	v_fmac_f64_e32 v[70:71], v[18:19], v[28:29]
	ds_bpermute_b32 v18, v88, v4 offset:40
	ds_bpermute_b32 v19, v88, v5 offset:40
	;; [unrolled: 1-line block ×6, first 2 shown]
	v_mul_f64 v[20:21], v[78:79], v[82:83]
	s_waitcnt lgkmcnt(4)
	v_fmac_f64_e32 v[70:71], v[20:21], v[18:19]
	s_waitcnt vmcnt(5)
	v_mul_f64 v[18:19], v[76:77], v[80:81]
	s_waitcnt lgkmcnt(2)
	v_fmac_f64_e32 v[70:71], v[18:19], v[26:27]
	s_waitcnt vmcnt(3)
	v_mul_f64 v[18:19], v[24:25], v[22:23]
	s_waitcnt lgkmcnt(0)
	v_fmac_f64_e32 v[70:71], v[18:19], v[28:29]
	ds_bpermute_b32 v18, v88, v4 offset:52
	ds_bpermute_b32 v19, v88, v5 offset:52
	s_waitcnt vmcnt(1)
	v_mul_f64 v[14:15], v[16:17], v[14:15]
	ds_bpermute_b32 v16, v88, v4 offset:56
	s_waitcnt vmcnt(0)
	v_lshl_add_u64 v[8:9], v[8:9], 0, v[98:99]
	global_load_dwordx2 v[12:13], v[12:13], off
	s_nop 0
	global_load_dwordx2 v[10:11], v[10:11], off
	s_nop 0
	;; [unrolled: 2-line block ×3, first 2 shown]
	global_load_dwordx2 v[6:7], v[6:7], off
	ds_bpermute_b32 v17, v88, v5 offset:56
	ds_bpermute_b32 v4, v88, v4 offset:60
	;; [unrolled: 1-line block ×3, first 2 shown]
	s_waitcnt lgkmcnt(4)
	v_fmac_f64_e32 v[70:71], v[14:15], v[18:19]
	s_waitcnt vmcnt(2)
	v_mul_f64 v[10:11], v[12:13], v[10:11]
	s_waitcnt lgkmcnt(2)
	v_fmac_f64_e32 v[70:71], v[10:11], v[16:17]
	s_waitcnt vmcnt(0)
	v_mul_f64 v[6:7], v[8:9], v[6:7]
	s_waitcnt lgkmcnt(0)
	v_fmac_f64_e32 v[70:71], v[6:7], v[4:5]
	v_mov_b64_e32 v[68:69], v[70:71]
.LBB128_129:                            ;   in Loop: Header=BB128_85 Depth=1
	s_add_u32 s18, s18, s3
	s_addc_u32 s19, s19, 0
	v_mov_b64_e32 v[4:5], s[8:9]
	v_cmp_ge_i64_e32 vcc, s[18:19], v[4:5]
	scratch_load_dwordx2 v[4:5], off, off   ; 8-byte Folded Reload
	s_add_u32 s20, s20, s3
	v_lshl_add_u64 v[100:101], v[100:101], 0, s[6:7]
	v_lshl_add_u64 v[102:103], v[102:103], 0, s[6:7]
	s_addc_u32 s21, s21, 0
	v_lshl_add_u64 v[94:95], v[94:95], 0, s[6:7]
	v_lshl_add_u64 v[104:105], v[104:105], 0, s[6:7]
	;; [unrolled: 1-line block ×31, first 2 shown]
	s_and_b64 vcc, exec, vcc
	s_waitcnt vmcnt(0)
	v_lshl_add_u64 v[4:5], v[4:5], 0, s[6:7]
	scratch_store_dwordx2 off, v[4:5], off  ; 8-byte Folded Spill
	scratch_load_dwordx2 v[4:5], off, off offset:8 ; 8-byte Folded Reload
	s_waitcnt vmcnt(0)
	v_lshl_add_u64 v[4:5], v[4:5], 0, s[6:7]
	scratch_store_dwordx2 off, v[4:5], off offset:8 ; 8-byte Folded Spill
	scratch_load_dwordx2 v[4:5], off, off offset:16 ; 8-byte Folded Reload
	s_waitcnt vmcnt(0)
	v_lshl_add_u64 v[4:5], v[4:5], 0, s[6:7]
	scratch_store_dwordx2 off, v[4:5], off offset:16 ; 8-byte Folded Spill
	;; [unrolled: 4-line block ×28, first 2 shown]
	s_cbranch_vccnz .LBB128_131
; %bb.130:                              ;   in Loop: Header=BB128_85 Depth=1
	v_mov_b64_e32 v[70:71], v[68:69]
	s_branch .LBB128_85
.LBB128_131:
	scratch_load_dword v41, off, off offset:308 ; 4-byte Folded Reload
.LBB128_132:
	s_waitcnt vmcnt(0)
	v_and_b32_e32 v1, 0x3ff, v41
	v_bfe_u32 v0, v41, 10, 10
	s_movk_i32 s3, 0x41
	v_mad_u32_u24 v2, v0, s3, v1
	v_lshl_add_u32 v4, v2, 3, 0
	v_mov_b32_e32 v2, 0
	v_mov_b32_e32 v3, v2
	ds_write_b64 v4, v[2:3] offset:8320
	v_bfe_u32 v2, v41, 6, 4
	v_add_u32_e32 v0, v2, v0
	v_cmp_gt_u32_e32 vcc, 64, v0
	ds_write_b64 v4, v[68:69]
	s_waitcnt lgkmcnt(0)
	s_barrier
	s_and_saveexec_b64 s[4:5], vcc
	s_cbranch_execz .LBB128_152
; %bb.133:
	s_load_dwordx2 s[4:5], s[0:1], 0x30
	v_and_b32_e32 v2, 63, v1
	v_cmp_gt_u32_e32 vcc, 16, v2
	v_mul_u32_u24_e32 v6, 0x41, v2
                                        ; implicit-def: $vgpr2_vgpr3
	s_and_saveexec_b64 s[0:1], vcc
; %bb.134:
	v_lshlrev_b32_e32 v2, 3, v0
	v_lshlrev_b32_e32 v3, 3, v6
	v_add3_u32 v2, 0, v2, v3
	ds_read_b64 v[2:3], v2
; %bb.135:
	s_or_b64 exec, exec, s[0:1]
	v_mbcnt_lo_u32_b32 v4, -1, 0
	v_mbcnt_hi_u32_b32 v10, -1, v4
	v_and_b32_e32 v4, 64, v10
	v_add_u32_e32 v11, 64, v4
	v_xor_b32_e32 v4, 8, v10
	v_cmp_lt_i32_e64 s[0:1], v4, v11
	v_xor_b32_e32 v8, 4, v10
	s_mov_b32 s3, 0
	v_cndmask_b32_e64 v4, v10, v4, s[0:1]
	v_lshlrev_b32_e32 v7, 2, v4
	s_waitcnt lgkmcnt(0)
	ds_bpermute_b32 v4, v7, v2
	ds_bpermute_b32 v5, v7, v3
	v_cmp_lt_i32_e64 s[0:1], v8, v11
	s_lshl_b64 s[6:7], s[2:3], 6
	s_cmp_eq_u64 s[4:5], 0
	s_cselect_b64 s[8:9], -1, 0
	s_waitcnt lgkmcnt(0)
	v_add_f64 v[2:3], v[2:3], v[4:5]
	v_cndmask_b32_e64 v4, v10, v8, s[0:1]
	v_lshlrev_b32_e32 v8, 2, v4
	ds_bpermute_b32 v4, v8, v2
	ds_bpermute_b32 v5, v8, v3
	s_waitcnt lgkmcnt(0)
	v_add_f64 v[2:3], v[2:3], v[4:5]
	v_xor_b32_e32 v4, 2, v10
	v_cmp_lt_i32_e64 s[0:1], v4, v11
	s_nop 1
	v_cndmask_b32_e64 v4, v10, v4, s[0:1]
	v_lshlrev_b32_e32 v9, 2, v4
	ds_bpermute_b32 v4, v9, v2
	ds_bpermute_b32 v5, v9, v3
	s_waitcnt lgkmcnt(0)
	v_add_f64 v[2:3], v[2:3], v[4:5]
	v_xor_b32_e32 v4, 1, v10
	v_cmp_lt_i32_e64 s[0:1], v4, v11
	s_nop 1
	v_cndmask_b32_e64 v4, v10, v4, s[0:1]
	v_lshlrev_b32_e32 v10, 2, v4
	ds_bpermute_b32 v4, v10, v2
	ds_bpermute_b32 v5, v10, v3
	v_cmp_ne_u32_e64 s[0:1], 0, v1
	s_waitcnt lgkmcnt(0)
	v_add_f64 v[2:3], v[2:3], v[4:5]
	v_or_b32_e32 v4, s6, v0
	v_mov_b32_e32 v5, s7
	v_cmp_le_i64_e64 s[2:3], s[10:11], v[4:5]
	s_or_b64 s[2:3], s[0:1], s[2:3]
	s_nor_b64 s[12:13], s[8:9], s[2:3]
	s_and_saveexec_b64 s[2:3], s[12:13]
	s_cbranch_execz .LBB128_137
; %bb.136:
	v_lshl_add_u64 v[4:5], v[4:5], 3, s[4:5]
	global_store_dwordx2 v[4:5], v[2:3], off
.LBB128_137:
	s_or_b64 exec, exec, s[2:3]
	v_cmp_gt_u32_e64 s[2:3], 48, v0
	s_and_b64 exec, exec, s[2:3]
	s_cbranch_execz .LBB128_152
; %bb.138:
	v_mov_b32_e32 v1, 0
	s_and_saveexec_b64 s[2:3], vcc
; %bb.139:
	v_lshlrev_b32_e32 v2, 3, v0
	v_lshlrev_b32_e32 v3, 3, v6
	v_add3_u32 v2, 0, v2, v3
	ds_read_b64 v[2:3], v2 offset:128
; %bb.140:
	s_or_b64 exec, exec, s[2:3]
	s_waitcnt lgkmcnt(0)
	ds_bpermute_b32 v4, v7, v2
	ds_bpermute_b32 v5, v7, v3
	v_add_u32_e32 v12, 16, v0
	v_mov_b32_e32 v13, v1
	v_lshl_add_u64 v[12:13], s[6:7], 0, v[12:13]
	v_cmp_le_i64_e64 s[2:3], s[10:11], v[12:13]
	s_waitcnt lgkmcnt(0)
	v_add_f64 v[2:3], v[2:3], v[4:5]
	ds_bpermute_b32 v4, v8, v2
	ds_bpermute_b32 v5, v8, v3
	s_or_b64 s[2:3], s[0:1], s[2:3]
	s_nor_b64 s[12:13], s[8:9], s[2:3]
	s_waitcnt lgkmcnt(0)
	v_add_f64 v[2:3], v[2:3], v[4:5]
	ds_bpermute_b32 v4, v9, v2
	ds_bpermute_b32 v5, v9, v3
	s_waitcnt lgkmcnt(0)
	v_add_f64 v[2:3], v[2:3], v[4:5]
	ds_bpermute_b32 v4, v10, v2
	ds_bpermute_b32 v5, v10, v3
	s_waitcnt lgkmcnt(0)
	v_add_f64 v[2:3], v[2:3], v[4:5]
	s_and_saveexec_b64 s[2:3], s[12:13]
	s_cbranch_execz .LBB128_142
; %bb.141:
	v_lshl_add_u64 v[4:5], s[6:7], 0, v[0:1]
	v_lshl_add_u64 v[4:5], v[4:5], 3, s[4:5]
	global_store_dwordx2 v[4:5], v[2:3], off offset:128
.LBB128_142:
	s_or_b64 exec, exec, s[2:3]
	v_cmp_gt_u32_e64 s[2:3], 32, v0
	s_and_b64 exec, exec, s[2:3]
	s_cbranch_execz .LBB128_152
; %bb.143:
	s_and_saveexec_b64 s[2:3], vcc
; %bb.144:
	v_lshlrev_b32_e32 v2, 3, v0
	v_lshlrev_b32_e32 v3, 3, v6
	v_add3_u32 v2, 0, v2, v3
	ds_read_b64 v[2:3], v2 offset:256
; %bb.145:
	s_or_b64 exec, exec, s[2:3]
	s_waitcnt lgkmcnt(0)
	ds_bpermute_b32 v4, v7, v2
	ds_bpermute_b32 v5, v7, v3
	v_add_u32_e32 v11, 32, v0
	v_mov_b32_e32 v13, s7
	v_or_b32_e32 v12, s6, v11
	v_cmp_le_i64_e64 s[2:3], s[10:11], v[12:13]
	s_waitcnt lgkmcnt(0)
	v_add_f64 v[2:3], v[2:3], v[4:5]
	ds_bpermute_b32 v4, v8, v2
	ds_bpermute_b32 v5, v8, v3
	s_or_b64 s[2:3], s[0:1], s[2:3]
	s_nor_b64 s[12:13], s[8:9], s[2:3]
	s_waitcnt lgkmcnt(0)
	v_add_f64 v[2:3], v[2:3], v[4:5]
	ds_bpermute_b32 v4, v9, v2
	ds_bpermute_b32 v5, v9, v3
	s_waitcnt lgkmcnt(0)
	v_add_f64 v[2:3], v[2:3], v[4:5]
	ds_bpermute_b32 v4, v10, v2
	ds_bpermute_b32 v5, v10, v3
	s_waitcnt lgkmcnt(0)
	v_add_f64 v[2:3], v[2:3], v[4:5]
	s_and_saveexec_b64 s[2:3], s[12:13]
	s_cbranch_execz .LBB128_147
; %bb.146:
	v_lshl_add_u64 v[4:5], s[6:7], 0, v[0:1]
	v_lshl_add_u64 v[4:5], v[4:5], 3, s[4:5]
	global_store_dwordx2 v[4:5], v[2:3], off offset:256
.LBB128_147:
	s_or_b64 exec, exec, s[2:3]
	v_cmp_gt_u32_e64 s[2:3], 16, v0
	s_and_b64 exec, exec, s[2:3]
	s_cbranch_execz .LBB128_152
; %bb.148:
	s_and_saveexec_b64 s[2:3], vcc
; %bb.149:
	v_lshlrev_b32_e32 v2, 3, v0
	v_lshlrev_b32_e32 v3, 3, v6
	v_add3_u32 v2, 0, v2, v3
	ds_read_b64 v[2:3], v2 offset:384
; %bb.150:
	s_or_b64 exec, exec, s[2:3]
	s_waitcnt lgkmcnt(0)
	ds_bpermute_b32 v4, v7, v2
	ds_bpermute_b32 v5, v7, v3
	v_add_u32_e32 v6, 48, v0
	v_or_b32_e32 v6, s6, v6
	v_mov_b32_e32 v7, s7
	v_cmp_le_i64_e32 vcc, s[10:11], v[6:7]
	s_waitcnt lgkmcnt(0)
	v_add_f64 v[2:3], v[2:3], v[4:5]
	ds_bpermute_b32 v4, v8, v2
	ds_bpermute_b32 v5, v8, v3
	s_or_b64 s[0:1], s[0:1], vcc
	s_nor_b64 s[0:1], s[8:9], s[0:1]
	s_waitcnt lgkmcnt(0)
	v_add_f64 v[2:3], v[2:3], v[4:5]
	ds_bpermute_b32 v4, v9, v2
	ds_bpermute_b32 v5, v9, v3
	s_waitcnt lgkmcnt(0)
	v_add_f64 v[2:3], v[2:3], v[4:5]
	ds_bpermute_b32 v4, v10, v2
	ds_bpermute_b32 v5, v10, v3
	s_and_saveexec_b64 s[2:3], s[0:1]
	s_xor_b64 s[2:3], exec, s[2:3]
	s_cbranch_execz .LBB128_152
; %bb.151:
	v_lshl_add_u64 v[0:1], s[6:7], 0, v[0:1]
	s_waitcnt lgkmcnt(0)
	v_add_f64 v[2:3], v[2:3], v[4:5]
	v_lshl_add_u64 v[0:1], v[0:1], 3, s[4:5]
	global_store_dwordx2 v[0:1], v[2:3], off offset:384
.LBB128_152:
	s_endpgm
	.section	.rodata,"a",@progbits
	.p2align	6, 0x0
	.amdhsa_kernel _ZN2at6native12_GLOBAL__N_135GammaBetaBackwardCUDAKernelTemplateIddLj64ELj16ELj256ELb0ELb0ELb1EEEvllPKT_S5_PKT0_S8_PS3_S9_
		.amdhsa_group_segment_fixed_size 0
		.amdhsa_private_segment_fixed_size 316
		.amdhsa_kernarg_size 320
		.amdhsa_user_sgpr_count 2
		.amdhsa_user_sgpr_dispatch_ptr 0
		.amdhsa_user_sgpr_queue_ptr 0
		.amdhsa_user_sgpr_kernarg_segment_ptr 1
		.amdhsa_user_sgpr_dispatch_id 0
		.amdhsa_user_sgpr_kernarg_preload_length 0
		.amdhsa_user_sgpr_kernarg_preload_offset 0
		.amdhsa_user_sgpr_private_segment_size 0
		.amdhsa_uses_dynamic_stack 0
		.amdhsa_enable_private_segment 1
		.amdhsa_system_sgpr_workgroup_id_x 1
		.amdhsa_system_sgpr_workgroup_id_y 1
		.amdhsa_system_sgpr_workgroup_id_z 0
		.amdhsa_system_sgpr_workgroup_info 0
		.amdhsa_system_vgpr_workitem_id 1
		.amdhsa_next_free_vgpr 128
		.amdhsa_next_free_sgpr 66
		.amdhsa_accum_offset 128
		.amdhsa_reserve_vcc 1
		.amdhsa_float_round_mode_32 0
		.amdhsa_float_round_mode_16_64 0
		.amdhsa_float_denorm_mode_32 3
		.amdhsa_float_denorm_mode_16_64 3
		.amdhsa_dx10_clamp 1
		.amdhsa_ieee_mode 1
		.amdhsa_fp16_overflow 0
		.amdhsa_tg_split 0
		.amdhsa_exception_fp_ieee_invalid_op 0
		.amdhsa_exception_fp_denorm_src 0
		.amdhsa_exception_fp_ieee_div_zero 0
		.amdhsa_exception_fp_ieee_overflow 0
		.amdhsa_exception_fp_ieee_underflow 0
		.amdhsa_exception_fp_ieee_inexact 0
		.amdhsa_exception_int_div_zero 0
	.end_amdhsa_kernel
	.section	.text._ZN2at6native12_GLOBAL__N_135GammaBetaBackwardCUDAKernelTemplateIddLj64ELj16ELj256ELb0ELb0ELb1EEEvllPKT_S5_PKT0_S8_PS3_S9_,"axG",@progbits,_ZN2at6native12_GLOBAL__N_135GammaBetaBackwardCUDAKernelTemplateIddLj64ELj16ELj256ELb0ELb0ELb1EEEvllPKT_S5_PKT0_S8_PS3_S9_,comdat
.Lfunc_end128:
	.size	_ZN2at6native12_GLOBAL__N_135GammaBetaBackwardCUDAKernelTemplateIddLj64ELj16ELj256ELb0ELb0ELb1EEEvllPKT_S5_PKT0_S8_PS3_S9_, .Lfunc_end128-_ZN2at6native12_GLOBAL__N_135GammaBetaBackwardCUDAKernelTemplateIddLj64ELj16ELj256ELb0ELb0ELb1EEEvllPKT_S5_PKT0_S8_PS3_S9_
                                        ; -- End function
	.set _ZN2at6native12_GLOBAL__N_135GammaBetaBackwardCUDAKernelTemplateIddLj64ELj16ELj256ELb0ELb0ELb1EEEvllPKT_S5_PKT0_S8_PS3_S9_.num_vgpr, 128
	.set _ZN2at6native12_GLOBAL__N_135GammaBetaBackwardCUDAKernelTemplateIddLj64ELj16ELj256ELb0ELb0ELb1EEEvllPKT_S5_PKT0_S8_PS3_S9_.num_agpr, 0
	.set _ZN2at6native12_GLOBAL__N_135GammaBetaBackwardCUDAKernelTemplateIddLj64ELj16ELj256ELb0ELb0ELb1EEEvllPKT_S5_PKT0_S8_PS3_S9_.numbered_sgpr, 66
	.set _ZN2at6native12_GLOBAL__N_135GammaBetaBackwardCUDAKernelTemplateIddLj64ELj16ELj256ELb0ELb0ELb1EEEvllPKT_S5_PKT0_S8_PS3_S9_.num_named_barrier, 0
	.set _ZN2at6native12_GLOBAL__N_135GammaBetaBackwardCUDAKernelTemplateIddLj64ELj16ELj256ELb0ELb0ELb1EEEvllPKT_S5_PKT0_S8_PS3_S9_.private_seg_size, 316
	.set _ZN2at6native12_GLOBAL__N_135GammaBetaBackwardCUDAKernelTemplateIddLj64ELj16ELj256ELb0ELb0ELb1EEEvllPKT_S5_PKT0_S8_PS3_S9_.uses_vcc, 1
	.set _ZN2at6native12_GLOBAL__N_135GammaBetaBackwardCUDAKernelTemplateIddLj64ELj16ELj256ELb0ELb0ELb1EEEvllPKT_S5_PKT0_S8_PS3_S9_.uses_flat_scratch, 0
	.set _ZN2at6native12_GLOBAL__N_135GammaBetaBackwardCUDAKernelTemplateIddLj64ELj16ELj256ELb0ELb0ELb1EEEvllPKT_S5_PKT0_S8_PS3_S9_.has_dyn_sized_stack, 0
	.set _ZN2at6native12_GLOBAL__N_135GammaBetaBackwardCUDAKernelTemplateIddLj64ELj16ELj256ELb0ELb0ELb1EEEvllPKT_S5_PKT0_S8_PS3_S9_.has_recursion, 0
	.set _ZN2at6native12_GLOBAL__N_135GammaBetaBackwardCUDAKernelTemplateIddLj64ELj16ELj256ELb0ELb0ELb1EEEvllPKT_S5_PKT0_S8_PS3_S9_.has_indirect_call, 0
	.section	.AMDGPU.csdata,"",@progbits
; Kernel info:
; codeLenInByte = 14612
; TotalNumSgprs: 72
; NumVgprs: 128
; NumAgprs: 0
; TotalNumVgprs: 128
; ScratchSize: 316
; MemoryBound: 0
; FloatMode: 240
; IeeeMode: 1
; LDSByteSize: 0 bytes/workgroup (compile time only)
; SGPRBlocks: 8
; VGPRBlocks: 15
; NumSGPRsForWavesPerEU: 72
; NumVGPRsForWavesPerEU: 128
; AccumOffset: 128
; Occupancy: 4
; WaveLimiterHint : 0
; COMPUTE_PGM_RSRC2:SCRATCH_EN: 1
; COMPUTE_PGM_RSRC2:USER_SGPR: 2
; COMPUTE_PGM_RSRC2:TRAP_HANDLER: 0
; COMPUTE_PGM_RSRC2:TGID_X_EN: 1
; COMPUTE_PGM_RSRC2:TGID_Y_EN: 1
; COMPUTE_PGM_RSRC2:TGID_Z_EN: 0
; COMPUTE_PGM_RSRC2:TIDIG_COMP_CNT: 1
; COMPUTE_PGM_RSRC3_GFX90A:ACCUM_OFFSET: 31
; COMPUTE_PGM_RSRC3_GFX90A:TG_SPLIT: 0
	.section	.text._ZN2at6native12_GLOBAL__N_135GammaBetaBackwardCUDAKernelTemplateIddLj32ELj1ELj32ELb1ELb1ELb1EEEvllPKT_S5_PKT0_S8_PS3_S9_,"axG",@progbits,_ZN2at6native12_GLOBAL__N_135GammaBetaBackwardCUDAKernelTemplateIddLj32ELj1ELj32ELb1ELb1ELb1EEEvllPKT_S5_PKT0_S8_PS3_S9_,comdat
	.globl	_ZN2at6native12_GLOBAL__N_135GammaBetaBackwardCUDAKernelTemplateIddLj32ELj1ELj32ELb1ELb1ELb1EEEvllPKT_S5_PKT0_S8_PS3_S9_ ; -- Begin function _ZN2at6native12_GLOBAL__N_135GammaBetaBackwardCUDAKernelTemplateIddLj32ELj1ELj32ELb1ELb1ELb1EEEvllPKT_S5_PKT0_S8_PS3_S9_
	.p2align	8
	.type	_ZN2at6native12_GLOBAL__N_135GammaBetaBackwardCUDAKernelTemplateIddLj32ELj1ELj32ELb1ELb1ELb1EEEvllPKT_S5_PKT0_S8_PS3_S9_,@function
_ZN2at6native12_GLOBAL__N_135GammaBetaBackwardCUDAKernelTemplateIddLj32ELj1ELj32ELb1ELb1ELb1EEEvllPKT_S5_PKT0_S8_PS3_S9_: ; @_ZN2at6native12_GLOBAL__N_135GammaBetaBackwardCUDAKernelTemplateIddLj32ELj1ELj32ELb1ELb1ELb1EEEvllPKT_S5_PKT0_S8_PS3_S9_
; %bb.0:
	s_load_dwordx4 s[8:11], s[0:1], 0x0
	s_load_dwordx2 s[16:17], s[0:1], 0x30
	s_lshl_b32 s18, s3, 5
	s_mov_b32 s19, 0
	v_mov_b64_e32 v[2:3], s[18:19]
	s_waitcnt lgkmcnt(0)
	v_cmp_le_i64_e32 vcc, s[8:9], v[2:3]
	s_mov_b32 s6, s3
	v_mov_b64_e32 v[4:5], 0
	v_bfe_u32 v2, v0, 10, 10
	s_cbranch_vccnz .LBB129_7
; %bb.1:
	s_load_dword s3, s[0:1], 0x4c
	s_load_dword s7, s[0:1], 0x44
	s_load_dwordx4 s[12:15], s[0:1], 0x10
	s_load_dwordx2 s[22:23], s[0:1], 0x28
	v_and_b32_e32 v1, 0x3ff, v0
	s_waitcnt lgkmcnt(0)
	s_and_b32 s3, s3, 0xffff
	v_mad_u32_u24 v3, v2, s3, v1
	v_lshlrev_b32_e32 v6, 5, v2
	v_mov_b32_e32 v7, 0
	v_lshl_or_b32 v10, s2, 5, v1
	v_mbcnt_lo_u32_b32 v1, -1, 0
	v_and_b32_e32 v4, 63, v3
	v_mov_b32_e32 v5, v7
	v_mbcnt_hi_u32_b32 v1, -1, v1
	s_lshl_b32 s20, s7, 5
	v_lshl_add_u64 v[12:13], v[6:7], 0, s[18:19]
	v_cmp_gt_u32_e64 s[4:5], 32, v4
	v_mov_b32_e32 v11, v7
	v_lshlrev_b32_e32 v1, 2, v1
	v_lshl_add_u64 v[6:7], v[12:13], 0, v[4:5]
	v_mul_lo_u32 v44, s11, v12
	v_mul_lo_u32 v13, s10, v13
	v_mad_u64_u32 v[4:5], s[24:25], s10, v12, 0
	s_mul_i32 s3, s11, s20
	s_mul_hi_u32 s7, s10, s20
	v_and_b32_e32 v1, 0x100, v1
	s_mov_b32 s21, s19
	v_add3_u32 v5, v5, v13, v44
	v_lshlrev_b64 v[10:11], 3, v[10:11]
	s_add_i32 s25, s7, s3
	s_mul_i32 s24, s10, s20
	v_or_b32_e32 v3, 4, v1
	v_or_b32_e32 v14, 8, v1
	;; [unrolled: 1-line block ×31, first 2 shown]
	v_lshl_add_u64 v[8:9], v[6:7], 3, s[22:23]
	s_lshl_b64 s[22:23], s[20:21], 3
	v_lshl_add_u64 v[10:11], v[4:5], 3, v[10:11]
	s_lshl_b64 s[24:25], s[24:25], 3
	s_lshl_b64 s[26:27], s[10:11], 3
	v_mov_b64_e32 v[4:5], 0
	s_branch .LBB129_4
.LBB129_2:                              ;   in Loop: Header=BB129_4 Depth=1
	s_or_b64 exec, exec, s[30:31]
.LBB129_3:                              ;   in Loop: Header=BB129_4 Depth=1
	s_or_b64 exec, exec, s[28:29]
	v_lshl_add_u64 v[44:45], s[12:13], 0, v[10:11]
	v_lshl_add_u64 v[48:49], s[14:15], 0, v[10:11]
	global_load_dwordx2 v[46:47], v[44:45], off
	global_load_dwordx2 v[50:51], v[48:49], off
	v_lshl_add_u64 v[44:45], v[44:45], 0, s[26:27]
	v_lshl_add_u64 v[48:49], v[48:49], 0, s[26:27]
	global_load_dwordx2 v[52:53], v[44:45], off
	global_load_dwordx2 v[54:55], v[48:49], off
	;; [unrolled: 4-line block ×3, first 2 shown]
	s_waitcnt vmcnt(6)
	ds_bpermute_b32 v60, v1, v12
	ds_bpermute_b32 v61, v1, v13
	v_lshl_add_u64 v[44:45], v[44:45], 0, s[26:27]
	v_lshl_add_u64 v[48:49], v[48:49], 0, s[26:27]
	s_add_u32 s18, s18, s20
	s_addc_u32 s19, s19, 0
	v_lshl_add_u64 v[8:9], v[8:9], 0, s[22:23]
	v_lshl_add_u64 v[6:7], v[6:7], 0, s[20:21]
	;; [unrolled: 1-line block ×3, first 2 shown]
	s_waitcnt vmcnt(4)
	v_mul_f64 v[46:47], v[46:47], v[50:51]
	global_load_dwordx2 v[50:51], v[44:45], off
	s_waitcnt lgkmcnt(0)
	v_fmac_f64_e32 v[4:5], v[46:47], v[60:61]
	global_load_dwordx2 v[46:47], v[48:49], off
	ds_bpermute_b32 v60, v3, v12
	ds_bpermute_b32 v61, v3, v13
	v_lshl_add_u64 v[44:45], v[44:45], 0, s[26:27]
	v_lshl_add_u64 v[48:49], v[48:49], 0, s[26:27]
	s_waitcnt vmcnt(4)
	v_mul_f64 v[52:53], v[52:53], v[54:55]
	global_load_dwordx2 v[54:55], v[44:45], off
	s_waitcnt lgkmcnt(0)
	v_fmac_f64_e32 v[4:5], v[52:53], v[60:61]
	global_load_dwordx2 v[52:53], v[48:49], off
	ds_bpermute_b32 v60, v14, v12
	ds_bpermute_b32 v61, v14, v13
	v_lshl_add_u64 v[44:45], v[44:45], 0, s[26:27]
	v_lshl_add_u64 v[48:49], v[48:49], 0, s[26:27]
	;; [unrolled: 10-line block ×25, first 2 shown]
	s_waitcnt vmcnt(4)
	v_mul_f64 v[52:53], v[54:55], v[52:53]
	global_load_dwordx2 v[54:55], v[44:45], off
	s_waitcnt lgkmcnt(0)
	v_fmac_f64_e32 v[4:5], v[52:53], v[60:61]
	ds_bpermute_b32 v60, v38, v12
	ds_bpermute_b32 v61, v38, v13
	global_load_dwordx2 v[52:53], v[48:49], off
	v_lshl_add_u64 v[44:45], v[44:45], 0, s[26:27]
	v_lshl_add_u64 v[48:49], v[48:49], 0, s[26:27]
	s_waitcnt vmcnt(4)
	v_mul_f64 v[56:57], v[58:59], v[56:57]
	s_waitcnt lgkmcnt(0)
	v_fmac_f64_e32 v[4:5], v[56:57], v[60:61]
	ds_bpermute_b32 v60, v39, v12
	ds_bpermute_b32 v61, v39, v13
	global_load_dwordx2 v[58:59], v[44:45], off
	global_load_dwordx2 v[56:57], v[48:49], off
	v_lshl_add_u64 v[44:45], v[44:45], 0, s[26:27]
	v_lshl_add_u64 v[48:49], v[48:49], 0, s[26:27]
	s_waitcnt vmcnt(4)
	v_mul_f64 v[46:47], v[50:51], v[46:47]
	global_load_dwordx2 v[50:51], v[44:45], off
	s_waitcnt lgkmcnt(0)
	v_fmac_f64_e32 v[4:5], v[46:47], v[60:61]
	global_load_dwordx2 v[46:47], v[48:49], off
	v_lshl_add_u64 v[44:45], v[44:45], 0, s[26:27]
	v_lshl_add_u64 v[48:49], v[48:49], 0, s[26:27]
	global_load_dwordx2 v[44:45], v[44:45], off
	ds_bpermute_b32 v60, v40, v12
	global_load_dwordx2 v[48:49], v[48:49], off
	ds_bpermute_b32 v61, v40, v13
	s_waitcnt vmcnt(6)
	v_mul_f64 v[52:53], v[54:55], v[52:53]
	s_waitcnt lgkmcnt(0)
	v_fmac_f64_e32 v[4:5], v[52:53], v[60:61]
	ds_bpermute_b32 v52, v41, v12
	ds_bpermute_b32 v53, v41, v13
	s_waitcnt vmcnt(4)
	v_mul_f64 v[54:55], v[58:59], v[56:57]
	ds_bpermute_b32 v56, v42, v12
	ds_bpermute_b32 v57, v42, v13
	;; [unrolled: 1-line block ×4, first 2 shown]
	s_waitcnt lgkmcnt(4)
	v_fmac_f64_e32 v[4:5], v[54:55], v[52:53]
	s_waitcnt vmcnt(2)
	v_mul_f64 v[46:47], v[50:51], v[46:47]
	s_waitcnt lgkmcnt(2)
	v_fmac_f64_e32 v[4:5], v[46:47], v[56:57]
	s_waitcnt vmcnt(0)
	v_mul_f64 v[44:45], v[44:45], v[48:49]
	s_waitcnt lgkmcnt(0)
	v_fmac_f64_e32 v[4:5], v[44:45], v[12:13]
	v_mov_b64_e32 v[12:13], s[8:9]
	v_cmp_lt_i64_e32 vcc, s[18:19], v[12:13]
	s_cbranch_vccz .LBB129_7
.LBB129_4:                              ; =>This Inner Loop Header: Depth=1
	v_mov_b64_e32 v[12:13], 0
	s_and_saveexec_b64 s[28:29], s[4:5]
	s_cbranch_execz .LBB129_3
; %bb.5:                                ;   in Loop: Header=BB129_4 Depth=1
	v_cmp_gt_i64_e32 vcc, s[8:9], v[6:7]
	v_mov_b64_e32 v[12:13], 0
	s_and_saveexec_b64 s[30:31], vcc
	s_cbranch_execz .LBB129_2
; %bb.6:                                ;   in Loop: Header=BB129_4 Depth=1
	global_load_dwordx2 v[12:13], v[8:9], off
	s_branch .LBB129_2
.LBB129_7:
	s_cmp_eq_u64 s[16:17], 0
	s_cbranch_scc1 .LBB129_9
; %bb.8:
	s_load_dword s0, s[0:1], 0x4c
	v_mov_b32_e32 v3, 0
	v_mov_b32_e32 v1, s6
	s_mov_b32 s3, 0
	v_and_b32_e32 v0, 0x3ff, v0
	s_waitcnt lgkmcnt(0)
	s_lshr_b32 s0, s0, 16
	v_mad_u64_u32 v[6:7], s[0:1], s0, v1, v[2:3]
	v_mul_lo_u32 v1, v7, s10
	v_mul_lo_u32 v2, v6, s11
	v_mad_u64_u32 v[6:7], s[0:1], v6, s10, 0
	v_add3_u32 v7, v7, v2, v1
	v_lshl_add_u64 v[6:7], v[6:7], 3, s[16:17]
	s_lshl_b64 s[0:1], s[2:3], 8
	v_lshl_add_u64 v[6:7], v[6:7], 0, s[0:1]
	v_lshlrev_b32_e32 v2, 3, v0
	v_lshl_add_u64 v[0:1], v[6:7], 0, v[2:3]
	global_store_dwordx2 v[0:1], v[4:5], off
.LBB129_9:
	s_endpgm
	.section	.rodata,"a",@progbits
	.p2align	6, 0x0
	.amdhsa_kernel _ZN2at6native12_GLOBAL__N_135GammaBetaBackwardCUDAKernelTemplateIddLj32ELj1ELj32ELb1ELb1ELb1EEEvllPKT_S5_PKT0_S8_PS3_S9_
		.amdhsa_group_segment_fixed_size 0
		.amdhsa_private_segment_fixed_size 0
		.amdhsa_kernarg_size 320
		.amdhsa_user_sgpr_count 2
		.amdhsa_user_sgpr_dispatch_ptr 0
		.amdhsa_user_sgpr_queue_ptr 0
		.amdhsa_user_sgpr_kernarg_segment_ptr 1
		.amdhsa_user_sgpr_dispatch_id 0
		.amdhsa_user_sgpr_kernarg_preload_length 0
		.amdhsa_user_sgpr_kernarg_preload_offset 0
		.amdhsa_user_sgpr_private_segment_size 0
		.amdhsa_uses_dynamic_stack 0
		.amdhsa_enable_private_segment 0
		.amdhsa_system_sgpr_workgroup_id_x 1
		.amdhsa_system_sgpr_workgroup_id_y 1
		.amdhsa_system_sgpr_workgroup_id_z 0
		.amdhsa_system_sgpr_workgroup_info 0
		.amdhsa_system_vgpr_workitem_id 1
		.amdhsa_next_free_vgpr 62
		.amdhsa_next_free_sgpr 32
		.amdhsa_accum_offset 64
		.amdhsa_reserve_vcc 1
		.amdhsa_float_round_mode_32 0
		.amdhsa_float_round_mode_16_64 0
		.amdhsa_float_denorm_mode_32 3
		.amdhsa_float_denorm_mode_16_64 3
		.amdhsa_dx10_clamp 1
		.amdhsa_ieee_mode 1
		.amdhsa_fp16_overflow 0
		.amdhsa_tg_split 0
		.amdhsa_exception_fp_ieee_invalid_op 0
		.amdhsa_exception_fp_denorm_src 0
		.amdhsa_exception_fp_ieee_div_zero 0
		.amdhsa_exception_fp_ieee_overflow 0
		.amdhsa_exception_fp_ieee_underflow 0
		.amdhsa_exception_fp_ieee_inexact 0
		.amdhsa_exception_int_div_zero 0
	.end_amdhsa_kernel
	.section	.text._ZN2at6native12_GLOBAL__N_135GammaBetaBackwardCUDAKernelTemplateIddLj32ELj1ELj32ELb1ELb1ELb1EEEvllPKT_S5_PKT0_S8_PS3_S9_,"axG",@progbits,_ZN2at6native12_GLOBAL__N_135GammaBetaBackwardCUDAKernelTemplateIddLj32ELj1ELj32ELb1ELb1ELb1EEEvllPKT_S5_PKT0_S8_PS3_S9_,comdat
.Lfunc_end129:
	.size	_ZN2at6native12_GLOBAL__N_135GammaBetaBackwardCUDAKernelTemplateIddLj32ELj1ELj32ELb1ELb1ELb1EEEvllPKT_S5_PKT0_S8_PS3_S9_, .Lfunc_end129-_ZN2at6native12_GLOBAL__N_135GammaBetaBackwardCUDAKernelTemplateIddLj32ELj1ELj32ELb1ELb1ELb1EEEvllPKT_S5_PKT0_S8_PS3_S9_
                                        ; -- End function
	.set _ZN2at6native12_GLOBAL__N_135GammaBetaBackwardCUDAKernelTemplateIddLj32ELj1ELj32ELb1ELb1ELb1EEEvllPKT_S5_PKT0_S8_PS3_S9_.num_vgpr, 62
	.set _ZN2at6native12_GLOBAL__N_135GammaBetaBackwardCUDAKernelTemplateIddLj32ELj1ELj32ELb1ELb1ELb1EEEvllPKT_S5_PKT0_S8_PS3_S9_.num_agpr, 0
	.set _ZN2at6native12_GLOBAL__N_135GammaBetaBackwardCUDAKernelTemplateIddLj32ELj1ELj32ELb1ELb1ELb1EEEvllPKT_S5_PKT0_S8_PS3_S9_.numbered_sgpr, 32
	.set _ZN2at6native12_GLOBAL__N_135GammaBetaBackwardCUDAKernelTemplateIddLj32ELj1ELj32ELb1ELb1ELb1EEEvllPKT_S5_PKT0_S8_PS3_S9_.num_named_barrier, 0
	.set _ZN2at6native12_GLOBAL__N_135GammaBetaBackwardCUDAKernelTemplateIddLj32ELj1ELj32ELb1ELb1ELb1EEEvllPKT_S5_PKT0_S8_PS3_S9_.private_seg_size, 0
	.set _ZN2at6native12_GLOBAL__N_135GammaBetaBackwardCUDAKernelTemplateIddLj32ELj1ELj32ELb1ELb1ELb1EEEvllPKT_S5_PKT0_S8_PS3_S9_.uses_vcc, 1
	.set _ZN2at6native12_GLOBAL__N_135GammaBetaBackwardCUDAKernelTemplateIddLj32ELj1ELj32ELb1ELb1ELb1EEEvllPKT_S5_PKT0_S8_PS3_S9_.uses_flat_scratch, 0
	.set _ZN2at6native12_GLOBAL__N_135GammaBetaBackwardCUDAKernelTemplateIddLj32ELj1ELj32ELb1ELb1ELb1EEEvllPKT_S5_PKT0_S8_PS3_S9_.has_dyn_sized_stack, 0
	.set _ZN2at6native12_GLOBAL__N_135GammaBetaBackwardCUDAKernelTemplateIddLj32ELj1ELj32ELb1ELb1ELb1EEEvllPKT_S5_PKT0_S8_PS3_S9_.has_recursion, 0
	.set _ZN2at6native12_GLOBAL__N_135GammaBetaBackwardCUDAKernelTemplateIddLj32ELj1ELj32ELb1ELb1ELb1EEEvllPKT_S5_PKT0_S8_PS3_S9_.has_indirect_call, 0
	.section	.AMDGPU.csdata,"",@progbits
; Kernel info:
; codeLenInByte = 2880
; TotalNumSgprs: 38
; NumVgprs: 62
; NumAgprs: 0
; TotalNumVgprs: 62
; ScratchSize: 0
; MemoryBound: 0
; FloatMode: 240
; IeeeMode: 1
; LDSByteSize: 0 bytes/workgroup (compile time only)
; SGPRBlocks: 4
; VGPRBlocks: 7
; NumSGPRsForWavesPerEU: 38
; NumVGPRsForWavesPerEU: 62
; AccumOffset: 64
; Occupancy: 8
; WaveLimiterHint : 0
; COMPUTE_PGM_RSRC2:SCRATCH_EN: 0
; COMPUTE_PGM_RSRC2:USER_SGPR: 2
; COMPUTE_PGM_RSRC2:TRAP_HANDLER: 0
; COMPUTE_PGM_RSRC2:TGID_X_EN: 1
; COMPUTE_PGM_RSRC2:TGID_Y_EN: 1
; COMPUTE_PGM_RSRC2:TGID_Z_EN: 0
; COMPUTE_PGM_RSRC2:TIDIG_COMP_CNT: 1
; COMPUTE_PGM_RSRC3_GFX90A:ACCUM_OFFSET: 15
; COMPUTE_PGM_RSRC3_GFX90A:TG_SPLIT: 0
	.section	.text._ZN2at6native12_GLOBAL__N_135GammaBetaBackwardCUDAKernelTemplateIddLj32ELj1ELj32ELb1ELb0ELb1EEEvllPKT_S5_PKT0_S8_PS3_S9_,"axG",@progbits,_ZN2at6native12_GLOBAL__N_135GammaBetaBackwardCUDAKernelTemplateIddLj32ELj1ELj32ELb1ELb0ELb1EEEvllPKT_S5_PKT0_S8_PS3_S9_,comdat
	.globl	_ZN2at6native12_GLOBAL__N_135GammaBetaBackwardCUDAKernelTemplateIddLj32ELj1ELj32ELb1ELb0ELb1EEEvllPKT_S5_PKT0_S8_PS3_S9_ ; -- Begin function _ZN2at6native12_GLOBAL__N_135GammaBetaBackwardCUDAKernelTemplateIddLj32ELj1ELj32ELb1ELb0ELb1EEEvllPKT_S5_PKT0_S8_PS3_S9_
	.p2align	8
	.type	_ZN2at6native12_GLOBAL__N_135GammaBetaBackwardCUDAKernelTemplateIddLj32ELj1ELj32ELb1ELb0ELb1EEEvllPKT_S5_PKT0_S8_PS3_S9_,@function
_ZN2at6native12_GLOBAL__N_135GammaBetaBackwardCUDAKernelTemplateIddLj32ELj1ELj32ELb1ELb0ELb1EEEvllPKT_S5_PKT0_S8_PS3_S9_: ; @_ZN2at6native12_GLOBAL__N_135GammaBetaBackwardCUDAKernelTemplateIddLj32ELj1ELj32ELb1ELb0ELb1EEEvllPKT_S5_PKT0_S8_PS3_S9_
; %bb.0:
	s_load_dwordx8 s[12:19], s[0:1], 0x0
	s_load_dwordx2 s[10:11], s[0:1], 0x28
	s_mov_b32 s8, s3
	s_lshl_b32 s3, s2, 5
	s_or_b32 s4, s3, 31
	v_mov_b32_e32 v69, v0
	s_mov_b32 s21, 0
	v_mov_b32_e32 v0, s4
	v_mov_b32_e32 v1, 0
	s_lshl_b32 s20, s8, 5
	s_waitcnt lgkmcnt(0)
	v_cmp_le_i64_e32 vcc, s[14:15], v[0:1]
	v_mov_b64_e32 v[0:1], s[20:21]
	v_cmp_gt_i64_e64 s[4:5], s[12:13], v[0:1]
	s_nop 1
	v_cndmask_b32_e64 v0, 0, 1, s[4:5]
	v_cmp_ne_u32_e64 s[4:5], 1, v0
	s_cbranch_vccz .LBB130_145
; %bb.1:
	s_and_b64 vcc, exec, s[4:5]
	v_mov_b64_e32 v[6:7], 0
	s_cbranch_vccnz .LBB130_147
; %bb.2:
	v_mov_b32_e32 v1, 0
	v_bfe_u32 v2, v69, 10, 10
	v_lshlrev_b32_e32 v4, 5, v2
	v_mov_b32_e32 v5, v1
	v_accvgpr_write_b32 a1, v2
	v_lshl_add_u64 v[2:3], v[4:5], 0, s[20:21]
	v_mul_lo_u32 v132, s15, v2
	v_mul_lo_u32 v133, s14, v3
	v_mad_u64_u32 v[6:7], s[26:27], s14, v2, 0
	v_add3_u32 v7, v7, v133, v132
	v_lshlrev_b64 v[6:7], 3, v[6:7]
	v_lshl_add_u64 v[8:9], s[16:17], 0, v[6:7]
	v_lshl_add_u64 v[10:11], s[18:19], 0, v[6:7]
	v_lshl_add_u64 v[6:7], v[2:3], 0, 31
	v_mul_lo_u32 v12, s15, v6
	v_mul_lo_u32 v13, s14, v7
	v_mad_u64_u32 v[6:7], s[30:31], s14, v6, 0
	v_add3_u32 v7, v7, v13, v12
	v_lshlrev_b64 v[6:7], 3, v[6:7]
	v_lshl_add_u64 v[12:13], s[16:17], 0, v[6:7]
	v_lshl_add_u64 v[14:15], s[18:19], 0, v[6:7]
	;; [unrolled: 8-line block ×15, first 2 shown]
	v_lshl_add_u64 v[6:7], v[2:3], 0, 17
	v_and_b32_e32 v0, 0x3ff, v69
	v_mov_b32_e32 v153, v69
	v_mul_lo_u32 v68, s15, v6
	v_mul_lo_u32 v69, s14, v7
	v_mad_u64_u32 v[6:7], s[30:31], s14, v6, 0
	v_add3_u32 v7, v7, v69, v68
	v_lshlrev_b64 v[6:7], 3, v[6:7]
	v_lshl_add_u64 v[68:69], s[16:17], 0, v[6:7]
	v_lshl_add_u64 v[70:71], s[18:19], 0, v[6:7]
	v_lshl_add_u64 v[6:7], v[2:3], 0, 16
	v_mul_lo_u32 v72, s15, v6
	v_mul_lo_u32 v73, s14, v7
	v_mad_u64_u32 v[6:7], s[30:31], s14, v6, 0
	v_add3_u32 v7, v7, v73, v72
	v_lshlrev_b64 v[6:7], 3, v[6:7]
	v_lshl_add_u64 v[72:73], s[16:17], 0, v[6:7]
	v_lshl_add_u64 v[74:75], s[18:19], 0, v[6:7]
	v_lshl_add_u64 v[6:7], v[2:3], 0, 15
	;; [unrolled: 8-line block ×15, first 2 shown]
	v_mul_lo_u32 v3, s15, v6
	v_mul_lo_u32 v128, s14, v7
	v_mad_u64_u32 v[6:7], s[30:31], s14, v6, 0
	v_add3_u32 v7, v7, v128, v3
	s_load_dword s9, s[0:1], 0x44
	v_lshlrev_b64 v[6:7], 3, v[6:7]
	v_lshl_add_u64 v[128:129], s[16:17], 0, v[6:7]
	v_lshl_add_u64 v[130:131], s[18:19], 0, v[6:7]
	v_mov_b64_e32 v[6:7], s[14:15]
	v_mad_u64_u32 v[2:3], s[30:31], s14, v2, v[6:7]
	v_add3_u32 v3, v132, v3, v133
	s_add_u32 s24, s0, 64
	v_lshlrev_b64 v[2:3], 3, v[2:3]
	s_addc_u32 s25, s1, 0
	s_waitcnt lgkmcnt(0)
	s_lshl_b32 s22, s9, 5
	v_lshl_add_u64 v[132:133], s[16:17], 0, v[2:3]
	v_lshl_add_u64 v[134:135], s[18:19], 0, v[2:3]
	v_mbcnt_lo_u32_b32 v2, -1, 0
	s_mul_i32 s9, s15, s22
	s_mul_hi_u32 s26, s14, s22
	v_mbcnt_hi_u32_b32 v2, -1, v2
	v_accvgpr_write_b32 a0, v0
	v_add_u32_e32 v0, s3, v0
	s_add_i32 s27, s26, s9
	s_mul_i32 s26, s14, s22
	v_lshlrev_b32_e32 v2, 2, v2
	s_mov_b32 s23, 0
	v_cmp_gt_i64_e64 s[6:7], s[14:15], v[0:1]
	v_accvgpr_write_b32 a3, v1
	v_lshlrev_b64 v[0:1], 3, v[0:1]
	s_lshl_b64 s[26:27], s[26:27], 3
	s_mov_b64 s[28:29], 31
	v_mov_b64_e32 v[136:137], 0
	v_and_b32_e32 v152, 0x100, v2
	s_mov_b64 s[30:31], s[20:21]
.LBB130_3:                              ; =>This Inner Loop Header: Depth=1
	s_add_u32 s34, s20, s28
	s_addc_u32 s35, 0, s29
	v_mov_b64_e32 v[2:3], s[12:13]
	v_cmp_ge_i64_e32 vcc, s[34:35], v[2:3]
	v_lshl_add_u64 v[138:139], s[20:21], 0, v[4:5]
	s_mov_b64 s[34:35], -1
                                        ; implicit-def: $vgpr6_vgpr7
                                        ; implicit-def: $vgpr142_vgpr143
                                        ; implicit-def: $vgpr2
	s_cbranch_vccz .LBB130_73
; %bb.4:                                ;   in Loop: Header=BB130_3 Depth=1
	s_load_dword s9, s[24:25], 0xc
	v_accvgpr_read_b32 v2, a0
	v_accvgpr_read_b32 v3, a1
	v_mov_b64_e32 v[154:155], 0
	v_mov_b64_e32 v[140:141], 0
	s_waitcnt lgkmcnt(0)
	s_and_b32 s9, s9, 0xffff
	v_mad_u32_u24 v2, v3, s9, v2
	v_and_b32_e32 v2, 63, v2
	v_accvgpr_read_b32 v3, a3
	v_accvgpr_write_b32 a2, v2
	v_accvgpr_write_b32 a3, v3
	v_cmp_gt_u32_e32 vcc, 32, v2
	s_and_saveexec_b64 s[34:35], vcc
	s_cbranch_execz .LBB130_8
; %bb.5:                                ;   in Loop: Header=BB130_3 Depth=1
	v_accvgpr_read_b32 v2, a2
	v_accvgpr_read_b32 v3, a3
	v_lshl_add_u64 v[2:3], v[138:139], 0, v[2:3]
	v_cmp_gt_i64_e32 vcc, s[12:13], v[2:3]
	v_mov_b64_e32 v[140:141], 0
	s_and_saveexec_b64 s[36:37], vcc
	s_cbranch_execz .LBB130_7
; %bb.6:                                ;   in Loop: Header=BB130_3 Depth=1
	v_lshl_add_u64 v[2:3], v[2:3], 3, s[10:11]
	global_load_dwordx2 v[140:141], v[2:3], off
.LBB130_7:                              ;   in Loop: Header=BB130_3 Depth=1
	s_or_b64 exec, exec, s[36:37]
.LBB130_8:                              ;   in Loop: Header=BB130_3 Depth=1
	s_or_b64 exec, exec, s[34:35]
	v_cmp_gt_i64_e32 vcc, s[12:13], v[138:139]
	v_accvgpr_write_b32 a6, 0
	s_and_b64 s[36:37], s[6:7], vcc
	v_accvgpr_write_b32 a7, 0
	s_and_saveexec_b64 s[34:35], s[36:37]
	s_cbranch_execz .LBB130_10
; %bb.9:                                ;   in Loop: Header=BB130_3 Depth=1
	v_lshl_add_u64 v[2:3], v[8:9], 0, v[0:1]
	global_load_dwordx2 v[154:155], v[2:3], off
	v_lshl_add_u64 v[2:3], v[10:11], 0, v[0:1]
	global_load_dwordx2 a[6:7], v[2:3], off
.LBB130_10:                             ;   in Loop: Header=BB130_3 Depth=1
	s_or_b64 exec, exec, s[34:35]
	v_lshl_add_u64 v[2:3], v[138:139], 0, 1
	v_cmp_gt_i64_e32 vcc, s[12:13], v[2:3]
	v_accvgpr_write_b32 a12, 0
	s_and_b64 s[36:37], s[6:7], vcc
	v_mov_b64_e32 v[6:7], 0
	v_mov_b64_e32 v[156:157], 0
	v_accvgpr_write_b32 a13, 0
	s_and_saveexec_b64 s[34:35], s[36:37]
	s_cbranch_execz .LBB130_12
; %bb.11:                               ;   in Loop: Header=BB130_3 Depth=1
	v_lshl_add_u64 v[2:3], v[132:133], 0, v[0:1]
	global_load_dwordx2 v[156:157], v[2:3], off
	v_lshl_add_u64 v[2:3], v[134:135], 0, v[0:1]
	global_load_dwordx2 a[12:13], v[2:3], off
.LBB130_12:                             ;   in Loop: Header=BB130_3 Depth=1
	s_or_b64 exec, exec, s[34:35]
	v_lshl_add_u64 v[2:3], v[138:139], 0, 2
	v_cmp_gt_i64_e32 vcc, s[12:13], v[2:3]
	v_accvgpr_write_b32 a16, 0
	s_and_b64 s[36:37], s[6:7], vcc
	v_accvgpr_write_b32 a17, 0
	s_and_saveexec_b64 s[34:35], s[36:37]
	s_cbranch_execz .LBB130_14
; %bb.13:                               ;   in Loop: Header=BB130_3 Depth=1
	v_lshl_add_u64 v[2:3], v[128:129], 0, v[0:1]
	global_load_dwordx2 v[6:7], v[2:3], off
	v_lshl_add_u64 v[2:3], v[130:131], 0, v[0:1]
	global_load_dwordx2 a[16:17], v[2:3], off
.LBB130_14:                             ;   in Loop: Header=BB130_3 Depth=1
	s_or_b64 exec, exec, s[34:35]
	v_lshl_add_u64 v[2:3], v[138:139], 0, 3
	v_cmp_gt_i64_e32 vcc, s[12:13], v[2:3]
	v_accvgpr_write_b32 a18, 0
	s_and_b64 s[36:37], s[6:7], vcc
	v_mov_b64_e32 v[158:159], 0
	v_accvgpr_write_b32 a19, 0
	v_mov_b64_e32 v[160:161], 0
	s_and_saveexec_b64 s[34:35], s[36:37]
	s_cbranch_execz .LBB130_16
; %bb.15:                               ;   in Loop: Header=BB130_3 Depth=1
	v_lshl_add_u64 v[2:3], v[124:125], 0, v[0:1]
	global_load_dwordx2 a[18:19], v[2:3], off
	v_lshl_add_u64 v[2:3], v[126:127], 0, v[0:1]
	global_load_dwordx2 v[160:161], v[2:3], off
.LBB130_16:                             ;   in Loop: Header=BB130_3 Depth=1
	s_or_b64 exec, exec, s[34:35]
	v_lshl_add_u64 v[2:3], v[138:139], 0, 4
	v_cmp_gt_i64_e32 vcc, s[12:13], v[2:3]
	v_accvgpr_write_b32 a20, 0
	s_and_b64 s[36:37], s[6:7], vcc
	v_accvgpr_write_b32 a21, 0
	s_and_saveexec_b64 s[34:35], s[36:37]
	s_cbranch_execz .LBB130_18
; %bb.17:                               ;   in Loop: Header=BB130_3 Depth=1
	v_lshl_add_u64 v[2:3], v[120:121], 0, v[0:1]
	global_load_dwordx2 v[158:159], v[2:3], off
	v_lshl_add_u64 v[2:3], v[122:123], 0, v[0:1]
	global_load_dwordx2 a[20:21], v[2:3], off
.LBB130_18:                             ;   in Loop: Header=BB130_3 Depth=1
	s_or_b64 exec, exec, s[34:35]
	v_lshl_add_u64 v[2:3], v[138:139], 0, 5
	v_cmp_gt_i64_e32 vcc, s[12:13], v[2:3]
	s_and_b64 s[36:37], s[6:7], vcc
	v_mov_b64_e32 v[162:163], 0
	v_mov_b64_e32 v[164:165], 0
	v_mov_b64_e32 v[166:167], 0
	s_and_saveexec_b64 s[34:35], s[36:37]
	s_cbranch_execz .LBB130_20
; %bb.19:                               ;   in Loop: Header=BB130_3 Depth=1
	v_lshl_add_u64 v[2:3], v[116:117], 0, v[0:1]
	global_load_dwordx2 v[164:165], v[2:3], off
	v_lshl_add_u64 v[2:3], v[118:119], 0, v[0:1]
	global_load_dwordx2 v[166:167], v[2:3], off
.LBB130_20:                             ;   in Loop: Header=BB130_3 Depth=1
	s_or_b64 exec, exec, s[34:35]
	v_lshl_add_u64 v[2:3], v[138:139], 0, 6
	v_cmp_gt_i64_e32 vcc, s[12:13], v[2:3]
	s_and_b64 s[36:37], s[6:7], vcc
	v_mov_b64_e32 v[176:177], 0
	s_and_saveexec_b64 s[34:35], s[36:37]
	s_cbranch_execz .LBB130_22
; %bb.21:                               ;   in Loop: Header=BB130_3 Depth=1
	v_lshl_add_u64 v[2:3], v[112:113], 0, v[0:1]
	global_load_dwordx2 v[162:163], v[2:3], off
	v_lshl_add_u64 v[2:3], v[114:115], 0, v[0:1]
	global_load_dwordx2 v[176:177], v[2:3], off
.LBB130_22:                             ;   in Loop: Header=BB130_3 Depth=1
	s_or_b64 exec, exec, s[34:35]
	v_lshl_add_u64 v[2:3], v[138:139], 0, 7
	v_cmp_gt_i64_e32 vcc, s[12:13], v[2:3]
	s_and_b64 s[36:37], s[6:7], vcc
	v_mov_b64_e32 v[168:169], 0
	v_mov_b64_e32 v[170:171], 0
	v_mov_b64_e32 v[172:173], 0
	s_and_saveexec_b64 s[34:35], s[36:37]
	s_cbranch_execz .LBB130_24
; %bb.23:                               ;   in Loop: Header=BB130_3 Depth=1
	v_lshl_add_u64 v[2:3], v[108:109], 0, v[0:1]
	global_load_dwordx2 v[170:171], v[2:3], off
	v_lshl_add_u64 v[2:3], v[110:111], 0, v[0:1]
	global_load_dwordx2 v[172:173], v[2:3], off
.LBB130_24:                             ;   in Loop: Header=BB130_3 Depth=1
	s_or_b64 exec, exec, s[34:35]
	v_lshl_add_u64 v[2:3], v[138:139], 0, 8
	v_cmp_gt_i64_e32 vcc, s[12:13], v[2:3]
	s_and_b64 s[36:37], s[6:7], vcc
	v_mov_b64_e32 v[178:179], 0
	;; [unrolled: 28-line block ×13, first 2 shown]
	s_and_saveexec_b64 s[34:35], s[36:37]
	s_cbranch_execz .LBB130_70
; %bb.69:                               ;   in Loop: Header=BB130_3 Depth=1
	v_lshl_add_u64 v[142:143], v[16:17], 0, v[0:1]
	global_load_dwordx2 v[144:145], v[142:143], off
	v_lshl_add_u64 v[142:143], v[18:19], 0, v[0:1]
	global_load_dwordx2 v[150:151], v[142:143], off
.LBB130_70:                             ;   in Loop: Header=BB130_3 Depth=1
	s_or_b64 exec, exec, s[34:35]
	v_lshl_add_u64 v[142:143], v[138:139], 0, 31
	s_waitcnt vmcnt(1)
	v_accvgpr_write_b32 a14, v158
	v_accvgpr_write_b32 a10, v156
	;; [unrolled: 1-line block ×3, first 2 shown]
	v_cmp_gt_i64_e32 vcc, s[12:13], v[142:143]
	v_accvgpr_write_b32 a15, v159
	v_accvgpr_write_b32 a11, v157
	v_mov_b64_e32 v[156:157], v[154:155]
	v_accvgpr_write_b32 a5, v7
	s_and_b64 s[36:37], s[6:7], vcc
	v_mov_b64_e32 v[142:143], 0
	s_and_saveexec_b64 s[34:35], s[36:37]
	s_cbranch_execz .LBB130_72
; %bb.71:                               ;   in Loop: Header=BB130_3 Depth=1
	v_lshl_add_u64 v[142:143], v[12:13], 0, v[0:1]
	v_lshl_add_u64 v[6:7], v[14:15], 0, v[0:1]
	global_load_dwordx2 v[142:143], v[142:143], off
	s_nop 0
	global_load_dwordx2 v[6:7], v[6:7], off
	s_waitcnt vmcnt(0)
	v_mul_f64 v[142:143], v[142:143], v[6:7]
.LBB130_72:                             ;   in Loop: Header=BB130_3 Depth=1
	s_or_b64 exec, exec, s[34:35]
	s_waitcnt vmcnt(0)
	ds_bpermute_b32 v6, v152, v140
	ds_bpermute_b32 v7, v152, v141
	v_accvgpr_read_b32 v155, a7
	v_accvgpr_read_b32 v154, a6
	v_mul_f64 v[154:155], v[156:157], v[154:155]
	v_accvgpr_read_b32 v157, a11
	s_waitcnt lgkmcnt(0)
	v_fma_f64 v[6:7], v[154:155], v[6:7], v[136:137]
	ds_bpermute_b32 v154, v152, v140 offset:4
	ds_bpermute_b32 v155, v152, v141 offset:4
	v_accvgpr_read_b32 v159, a13
	v_accvgpr_read_b32 v156, a10
	;; [unrolled: 1-line block ×3, first 2 shown]
	v_mul_f64 v[156:157], v[156:157], v[158:159]
	s_waitcnt lgkmcnt(0)
	v_fmac_f64_e32 v[6:7], v[156:157], v[154:155]
	ds_bpermute_b32 v154, v152, v140 offset:8
	ds_bpermute_b32 v155, v152, v141 offset:8
	v_accvgpr_read_b32 v157, a5
	v_accvgpr_read_b32 v159, a17
	;; [unrolled: 1-line block ×4, first 2 shown]
	v_mul_f64 v[156:157], v[156:157], v[158:159]
	s_waitcnt lgkmcnt(0)
	v_fmac_f64_e32 v[6:7], v[156:157], v[154:155]
	ds_bpermute_b32 v154, v152, v140 offset:12
	ds_bpermute_b32 v155, v152, v141 offset:12
	v_accvgpr_read_b32 v157, a19
	v_accvgpr_read_b32 v156, a18
	v_mul_f64 v[156:157], v[156:157], v[160:161]
	v_accvgpr_read_b32 v159, a21
	s_waitcnt lgkmcnt(0)
	v_fmac_f64_e32 v[6:7], v[156:157], v[154:155]
	ds_bpermute_b32 v154, v152, v140 offset:16
	ds_bpermute_b32 v155, v152, v141 offset:16
	v_accvgpr_read_b32 v157, a15
	v_accvgpr_read_b32 v156, a14
	;; [unrolled: 1-line block ×3, first 2 shown]
	v_mul_f64 v[156:157], v[156:157], v[158:159]
	s_waitcnt lgkmcnt(0)
	v_fmac_f64_e32 v[6:7], v[156:157], v[154:155]
	ds_bpermute_b32 v154, v152, v140 offset:20
	ds_bpermute_b32 v155, v152, v141 offset:20
	v_mul_f64 v[156:157], v[164:165], v[166:167]
	v_mul_f64 v[2:3], v[252:253], v[2:3]
	;; [unrolled: 1-line block ×4, first 2 shown]
	s_waitcnt lgkmcnt(0)
	v_fmac_f64_e32 v[6:7], v[156:157], v[154:155]
	ds_bpermute_b32 v154, v152, v140 offset:24
	ds_bpermute_b32 v155, v152, v141 offset:24
	v_mul_f64 v[156:157], v[162:163], v[176:177]
	s_mov_b64 s[34:35], 0
	s_waitcnt lgkmcnt(0)
	v_fmac_f64_e32 v[6:7], v[156:157], v[154:155]
	ds_bpermute_b32 v154, v152, v140 offset:28
	ds_bpermute_b32 v155, v152, v141 offset:28
	v_mul_f64 v[156:157], v[170:171], v[172:173]
	s_waitcnt lgkmcnt(0)
	v_fmac_f64_e32 v[6:7], v[156:157], v[154:155]
	ds_bpermute_b32 v154, v152, v140 offset:32
	ds_bpermute_b32 v155, v152, v141 offset:32
	v_mul_f64 v[156:157], v[168:169], v[178:179]
	;; [unrolled: 5-line block ×20, first 2 shown]
	s_waitcnt lgkmcnt(0)
	v_fmac_f64_e32 v[6:7], v[156:157], v[154:155]
	ds_bpermute_b32 v154, v152, v140 offset:108
	ds_bpermute_b32 v155, v152, v141 offset:108
	s_waitcnt lgkmcnt(0)
	v_fmac_f64_e32 v[6:7], v[2:3], v[154:155]
	ds_bpermute_b32 v2, v152, v140 offset:112
	ds_bpermute_b32 v3, v152, v141 offset:112
	v_mul_f64 v[154:155], v[246:247], v[254:255]
	s_waitcnt lgkmcnt(0)
	v_fmac_f64_e32 v[6:7], v[154:155], v[2:3]
	ds_bpermute_b32 v2, v152, v140 offset:116
	ds_bpermute_b32 v3, v152, v141 offset:116
	s_waitcnt lgkmcnt(0)
	v_fmac_f64_e32 v[6:7], v[146:147], v[2:3]
	ds_bpermute_b32 v2, v152, v140 offset:120
	ds_bpermute_b32 v3, v152, v141 offset:120
	;; [unrolled: 4-line block ×3, first 2 shown]
.LBB130_73:                             ;   in Loop: Header=BB130_3 Depth=1
	s_and_b64 vcc, exec, s[34:35]
	s_cbranch_vccz .LBB130_143
; %bb.74:                               ;   in Loop: Header=BB130_3 Depth=1
	s_load_dword s9, s[24:25], 0x0
	v_accvgpr_read_b32 v7, a3
	s_waitcnt lgkmcnt(0)
	v_accvgpr_read_b32 v3, a0
	v_accvgpr_read_b32 v6, a1
	v_mov_b64_e32 v[148:149], 0
	s_cmp_lt_u32 s2, s9
	s_cselect_b32 s9, 12, 18
	s_add_u32 s34, s24, s9
	s_addc_u32 s35, s25, 0
	global_load_ushort v2, v7, s[34:35]
	s_waitcnt vmcnt(0)
	v_mad_u32_u24 v2, v6, v2, v3
	v_and_b32_e32 v6, 63, v2
	v_accvgpr_write_b32 a2, v6
	v_accvgpr_write_b32 a3, v7
	v_cmp_gt_u32_e32 vcc, 32, v6
	v_mov_b64_e32 v[6:7], 0
	s_and_saveexec_b64 s[34:35], vcc
	s_cbranch_execz .LBB130_78
; %bb.75:                               ;   in Loop: Header=BB130_3 Depth=1
	v_accvgpr_read_b32 v2, a2
	v_accvgpr_read_b32 v3, a3
	v_lshl_add_u64 v[2:3], v[138:139], 0, v[2:3]
	v_cmp_gt_i64_e32 vcc, s[12:13], v[2:3]
	v_mov_b64_e32 v[6:7], 0
	s_and_saveexec_b64 s[36:37], vcc
	s_cbranch_execz .LBB130_77
; %bb.76:                               ;   in Loop: Header=BB130_3 Depth=1
	v_lshl_add_u64 v[2:3], v[2:3], 3, s[10:11]
	global_load_dwordx2 v[6:7], v[2:3], off
.LBB130_77:                             ;   in Loop: Header=BB130_3 Depth=1
	s_or_b64 exec, exec, s[36:37]
.LBB130_78:                             ;   in Loop: Header=BB130_3 Depth=1
	s_or_b64 exec, exec, s[34:35]
	v_mov_b64_e32 v[146:147], 0
	s_and_saveexec_b64 s[34:35], s[6:7]
	s_cbranch_execz .LBB130_80
; %bb.79:                               ;   in Loop: Header=BB130_3 Depth=1
	v_lshl_add_u64 v[2:3], v[8:9], 0, v[0:1]
	global_load_dwordx2 v[148:149], v[2:3], off
	v_lshl_add_u64 v[2:3], v[10:11], 0, v[0:1]
	global_load_dwordx2 v[146:147], v[2:3], off
.LBB130_80:                             ;   in Loop: Header=BB130_3 Depth=1
	s_or_b64 exec, exec, s[34:35]
	v_accvgpr_write_b32 a10, 0
	v_accvgpr_write_b32 a12, 0
	v_mov_b64_e32 v[150:151], 0
	v_accvgpr_write_b32 a11, 0
	v_accvgpr_write_b32 a13, 0
	s_and_saveexec_b64 s[34:35], s[6:7]
	s_cbranch_execz .LBB130_82
; %bb.81:                               ;   in Loop: Header=BB130_3 Depth=1
	v_lshl_add_u64 v[2:3], v[132:133], 0, v[0:1]
	global_load_dwordx2 a[10:11], v[2:3], off
	v_lshl_add_u64 v[2:3], v[134:135], 0, v[0:1]
	global_load_dwordx2 a[12:13], v[2:3], off
.LBB130_82:                             ;   in Loop: Header=BB130_3 Depth=1
	s_or_b64 exec, exec, s[34:35]
	v_accvgpr_write_b32 a14, 0
	v_accvgpr_write_b32 a15, 0
	s_and_saveexec_b64 s[34:35], s[6:7]
	s_cbranch_execz .LBB130_84
; %bb.83:                               ;   in Loop: Header=BB130_3 Depth=1
	v_lshl_add_u64 v[2:3], v[128:129], 0, v[0:1]
	global_load_dwordx2 v[150:151], v[2:3], off
	v_lshl_add_u64 v[2:3], v[130:131], 0, v[0:1]
	global_load_dwordx2 a[14:15], v[2:3], off
.LBB130_84:                             ;   in Loop: Header=BB130_3 Depth=1
	s_or_b64 exec, exec, s[34:35]
	v_accvgpr_write_b32 a8, 0
	v_accvgpr_write_b32 a9, 0
	v_mov_b64_e32 v[158:159], 0
	v_mov_b64_e32 v[160:161], 0
	s_and_saveexec_b64 s[34:35], s[6:7]
	s_cbranch_execz .LBB130_86
; %bb.85:                               ;   in Loop: Header=BB130_3 Depth=1
	v_lshl_add_u64 v[2:3], v[124:125], 0, v[0:1]
	global_load_dwordx2 v[158:159], v[2:3], off
	v_lshl_add_u64 v[2:3], v[126:127], 0, v[0:1]
	global_load_dwordx2 v[160:161], v[2:3], off
.LBB130_86:                             ;   in Loop: Header=BB130_3 Depth=1
	s_or_b64 exec, exec, s[34:35]
	v_mov_b64_e32 v[154:155], 0
	s_and_saveexec_b64 s[34:35], s[6:7]
	s_cbranch_execz .LBB130_88
; %bb.87:                               ;   in Loop: Header=BB130_3 Depth=1
	v_lshl_add_u64 v[2:3], v[120:121], 0, v[0:1]
	global_load_dwordx2 a[8:9], v[2:3], off
	v_lshl_add_u64 v[2:3], v[122:123], 0, v[0:1]
	global_load_dwordx2 v[154:155], v[2:3], off
.LBB130_88:                             ;   in Loop: Header=BB130_3 Depth=1
	s_or_b64 exec, exec, s[34:35]
	v_mov_b64_e32 v[156:157], 0
	v_mov_b64_e32 v[164:165], 0
	v_mov_b64_e32 v[168:169], 0
	s_and_saveexec_b64 s[34:35], s[6:7]
	s_cbranch_execz .LBB130_90
; %bb.89:                               ;   in Loop: Header=BB130_3 Depth=1
	v_lshl_add_u64 v[2:3], v[116:117], 0, v[0:1]
	global_load_dwordx2 v[164:165], v[2:3], off
	v_lshl_add_u64 v[2:3], v[118:119], 0, v[0:1]
	global_load_dwordx2 v[168:169], v[2:3], off
.LBB130_90:                             ;   in Loop: Header=BB130_3 Depth=1
	s_or_b64 exec, exec, s[34:35]
	v_mov_b64_e32 v[174:175], 0
	s_and_saveexec_b64 s[34:35], s[6:7]
	s_cbranch_execz .LBB130_92
; %bb.91:                               ;   in Loop: Header=BB130_3 Depth=1
	v_lshl_add_u64 v[2:3], v[112:113], 0, v[0:1]
	global_load_dwordx2 v[156:157], v[2:3], off
	v_lshl_add_u64 v[2:3], v[114:115], 0, v[0:1]
	global_load_dwordx2 v[174:175], v[2:3], off
.LBB130_92:                             ;   in Loop: Header=BB130_3 Depth=1
	s_or_b64 exec, exec, s[34:35]
	v_mov_b64_e32 v[162:163], 0
	;; [unrolled: 22-line block ×3, first 2 shown]
	v_mov_b64_e32 v[182:183], 0
	v_mov_b64_e32 v[184:185], 0
	s_and_saveexec_b64 s[34:35], s[6:7]
	s_cbranch_execz .LBB130_98
; %bb.97:                               ;   in Loop: Header=BB130_3 Depth=1
	v_lshl_add_u64 v[2:3], v[100:101], 0, v[0:1]
	global_load_dwordx2 v[182:183], v[2:3], off
	v_lshl_add_u64 v[2:3], v[102:103], 0, v[0:1]
	global_load_dwordx2 v[184:185], v[2:3], off
.LBB130_98:                             ;   in Loop: Header=BB130_3 Depth=1
	s_or_b64 exec, exec, s[34:35]
	v_mov_b64_e32 v[178:179], 0
	s_and_saveexec_b64 s[34:35], s[6:7]
	s_cbranch_execz .LBB130_100
; %bb.99:                               ;   in Loop: Header=BB130_3 Depth=1
	v_lshl_add_u64 v[2:3], v[96:97], 0, v[0:1]
	global_load_dwordx2 v[166:167], v[2:3], off
	v_lshl_add_u64 v[2:3], v[98:99], 0, v[0:1]
	global_load_dwordx2 v[178:179], v[2:3], off
.LBB130_100:                            ;   in Loop: Header=BB130_3 Depth=1
	s_or_b64 exec, exec, s[34:35]
	v_mov_b64_e32 v[180:181], 0
	v_mov_b64_e32 v[188:189], 0
	v_mov_b64_e32 v[192:193], 0
	s_and_saveexec_b64 s[34:35], s[6:7]
	s_cbranch_execz .LBB130_102
; %bb.101:                              ;   in Loop: Header=BB130_3 Depth=1
	v_lshl_add_u64 v[2:3], v[92:93], 0, v[0:1]
	global_load_dwordx2 v[188:189], v[2:3], off
	v_lshl_add_u64 v[2:3], v[94:95], 0, v[0:1]
	global_load_dwordx2 v[192:193], v[2:3], off
.LBB130_102:                            ;   in Loop: Header=BB130_3 Depth=1
	s_or_b64 exec, exec, s[34:35]
	v_mov_b64_e32 v[198:199], 0
	s_and_saveexec_b64 s[34:35], s[6:7]
	s_cbranch_execz .LBB130_104
; %bb.103:                              ;   in Loop: Header=BB130_3 Depth=1
	v_lshl_add_u64 v[2:3], v[88:89], 0, v[0:1]
	global_load_dwordx2 v[180:181], v[2:3], off
	v_lshl_add_u64 v[2:3], v[90:91], 0, v[0:1]
	global_load_dwordx2 v[198:199], v[2:3], off
.LBB130_104:                            ;   in Loop: Header=BB130_3 Depth=1
	s_or_b64 exec, exec, s[34:35]
	v_mov_b64_e32 v[186:187], 0
	v_mov_b64_e32 v[194:195], 0
	v_mov_b64_e32 v[196:197], 0
	s_and_saveexec_b64 s[34:35], s[6:7]
	s_cbranch_execz .LBB130_106
; %bb.105:                              ;   in Loop: Header=BB130_3 Depth=1
	v_lshl_add_u64 v[2:3], v[84:85], 0, v[0:1]
	global_load_dwordx2 v[194:195], v[2:3], off
	v_lshl_add_u64 v[2:3], v[86:87], 0, v[0:1]
	global_load_dwordx2 v[196:197], v[2:3], off
.LBB130_106:                            ;   in Loop: Header=BB130_3 Depth=1
	s_or_b64 exec, exec, s[34:35]
	v_mov_b64_e32 v[200:201], 0
	s_and_saveexec_b64 s[34:35], s[6:7]
	s_cbranch_execz .LBB130_108
; %bb.107:                              ;   in Loop: Header=BB130_3 Depth=1
	v_lshl_add_u64 v[2:3], v[80:81], 0, v[0:1]
	global_load_dwordx2 v[186:187], v[2:3], off
	v_lshl_add_u64 v[2:3], v[82:83], 0, v[0:1]
	global_load_dwordx2 v[200:201], v[2:3], off
.LBB130_108:                            ;   in Loop: Header=BB130_3 Depth=1
	;; [unrolled: 22-line block ×10, first 2 shown]
	s_or_b64 exec, exec, s[34:35]
	s_waitcnt vmcnt(1)
	v_accvgpr_write_b32 a6, v150
	v_accvgpr_write_b32 a7, v151
	v_mov_b64_e32 v[150:151], v[148:149]
	v_mov_b64_e32 v[142:143], 0
	s_and_saveexec_b64 s[34:35], s[6:7]
	s_cbranch_execz .LBB130_142
; %bb.141:                              ;   in Loop: Header=BB130_3 Depth=1
	v_lshl_add_u64 v[142:143], v[12:13], 0, v[0:1]
	v_lshl_add_u64 v[148:149], v[14:15], 0, v[0:1]
	global_load_dwordx2 v[142:143], v[142:143], off
	s_nop 0
	global_load_dwordx2 v[148:149], v[148:149], off
	s_waitcnt vmcnt(0)
	v_mul_f64 v[142:143], v[142:143], v[148:149]
.LBB130_142:                            ;   in Loop: Header=BB130_3 Depth=1
	s_or_b64 exec, exec, s[34:35]
	s_waitcnt vmcnt(0)
	ds_bpermute_b32 v148, v152, v6
	ds_bpermute_b32 v149, v152, v7
	v_mul_f64 v[150:151], v[150:151], v[146:147]
	v_accvgpr_read_b32 v147, a13
	v_accvgpr_read_b32 v146, a12
	v_mul_f64 v[2:3], v[238:239], v[2:3]
	s_waitcnt lgkmcnt(0)
	v_fmac_f64_e32 v[136:137], v[150:151], v[148:149]
	ds_bpermute_b32 v148, v152, v6 offset:4
	ds_bpermute_b32 v149, v152, v7 offset:4
	v_accvgpr_read_b32 v151, a11
	v_accvgpr_read_b32 v150, a10
	v_mul_f64 v[150:151], v[150:151], v[146:147]
	v_accvgpr_read_b32 v147, a15
	s_waitcnt lgkmcnt(0)
	v_fmac_f64_e32 v[136:137], v[150:151], v[148:149]
	ds_bpermute_b32 v148, v152, v6 offset:8
	ds_bpermute_b32 v149, v152, v7 offset:8
	v_accvgpr_read_b32 v151, a7
	v_accvgpr_read_b32 v150, a6
	;; [unrolled: 1-line block ×3, first 2 shown]
	v_mul_f64 v[146:147], v[150:151], v[146:147]
	s_waitcnt lgkmcnt(0)
	v_fmac_f64_e32 v[136:137], v[146:147], v[148:149]
	ds_bpermute_b32 v146, v152, v6 offset:12
	ds_bpermute_b32 v147, v152, v7 offset:12
	v_mul_f64 v[148:149], v[158:159], v[160:161]
	v_mul_f64 v[138:139], v[140:141], v[138:139]
	s_waitcnt lgkmcnt(0)
	v_fmac_f64_e32 v[136:137], v[148:149], v[146:147]
	ds_bpermute_b32 v146, v152, v6 offset:16
	ds_bpermute_b32 v147, v152, v7 offset:16
	v_accvgpr_read_b32 v149, a9
	v_accvgpr_read_b32 v148, a8
	v_mul_f64 v[148:149], v[148:149], v[154:155]
	s_waitcnt lgkmcnt(0)
	v_fmac_f64_e32 v[136:137], v[148:149], v[146:147]
	ds_bpermute_b32 v146, v152, v6 offset:20
	ds_bpermute_b32 v147, v152, v7 offset:20
	v_mul_f64 v[148:149], v[164:165], v[168:169]
	s_waitcnt lgkmcnt(0)
	v_fmac_f64_e32 v[136:137], v[148:149], v[146:147]
	ds_bpermute_b32 v146, v152, v6 offset:24
	ds_bpermute_b32 v147, v152, v7 offset:24
	;; [unrolled: 5-line block ×24, first 2 shown]
	s_waitcnt lgkmcnt(0)
	v_fmac_f64_e32 v[136:137], v[2:3], v[146:147]
	ds_bpermute_b32 v2, v152, v6 offset:116
	ds_bpermute_b32 v3, v152, v7 offset:116
	s_waitcnt lgkmcnt(0)
	v_fmac_f64_e32 v[136:137], v[138:139], v[2:3]
	ds_bpermute_b32 v2, v152, v6 offset:120
	ds_bpermute_b32 v3, v152, v7 offset:120
	v_mul_f64 v[138:139], v[250:251], v[144:145]
	s_waitcnt lgkmcnt(0)
	v_fmac_f64_e32 v[136:137], v[138:139], v[2:3]
	ds_bpermute_b32 v2, v152, v6 offset:124
	ds_bpermute_b32 v3, v152, v7 offset:124
	v_mov_b64_e32 v[6:7], v[136:137]
.LBB130_143:                            ;   in Loop: Header=BB130_3 Depth=1
	s_add_u32 s30, s30, s22
	s_waitcnt lgkmcnt(0)
	v_fmac_f64_e32 v[6:7], v[142:143], v[2:3]
	s_addc_u32 s31, s31, 0
	v_mov_b64_e32 v[2:3], s[12:13]
	s_add_u32 s28, s28, s22
	v_cmp_lt_i64_e32 vcc, s[30:31], v[2:3]
	v_lshl_add_u64 v[8:9], v[8:9], 0, s[26:27]
	v_lshl_add_u64 v[10:11], v[10:11], 0, s[26:27]
	;; [unrolled: 1-line block ×65, first 2 shown]
	s_addc_u32 s29, 0, s29
	s_cbranch_vccz .LBB130_146
; %bb.144:                              ;   in Loop: Header=BB130_3 Depth=1
	v_mov_b64_e32 v[136:137], v[6:7]
	s_branch .LBB130_3
.LBB130_145:
                                        ; implicit-def: $vgpr6_vgpr7
	s_load_dwordx2 s[6:7], s[0:1], 0x30
	s_branch .LBB130_148
.LBB130_146:
	v_mov_b32_e32 v69, v153
.LBB130_147:
	s_load_dwordx2 s[6:7], s[0:1], 0x30
	s_cbranch_execnz .LBB130_228
.LBB130_148:
	s_and_b64 vcc, exec, s[4:5]
	v_mov_b64_e32 v[6:7], 0
	s_cbranch_vccnz .LBB130_228
; %bb.149:
	v_and_b32_e32 v0, 0x3ff, v69
	v_add_u32_e32 v130, s3, v0
	v_mov_b32_e32 v131, 0
	v_bfe_u32 v31, v69, 10, 10
	v_lshlrev_b64 v[4:5], 3, v[130:131]
	v_lshlrev_b32_e32 v130, 8, v31
	v_accvgpr_write_b32 a0, v0
	v_lshl_add_u64 v[0:1], s[20:21], 3, v[130:131]
	v_lshl_add_u64 v[8:9], v[0:1], 0, 8
	v_mov_b64_e32 v[2:3], s[16:17]
	v_lshl_add_u64 v[10:11], v[0:1], 0, 16
	v_lshl_add_u64 v[12:13], v[0:1], 0, 24
	;; [unrolled: 1-line block ×7, first 2 shown]
	v_mov_b64_e32 v[6:7], s[18:19]
	v_mad_u64_u32 v[74:75], s[4:5], s14, v8, v[2:3]
	v_mad_u64_u32 v[76:77], s[4:5], s14, v10, v[2:3]
	;; [unrolled: 1-line block ×9, first 2 shown]
	v_mul_lo_u32 v9, s14, v9
	v_mul_lo_u32 v24, s15, v8
	s_mov_b64 s[4:5], 0x48
	v_add3_u32 v75, v24, v75, v9
	v_add3_u32 v91, v24, v91, v9
	v_lshl_add_u64 v[8:9], v[0:1], 0, s[4:5]
	v_mad_u64_u32 v[94:95], s[4:5], s14, v12, v[6:7]
	v_mad_u64_u32 v[96:97], s[4:5], s14, v8, v[2:3]
	v_mad_u64_u32 v[98:99], s[4:5], s14, v14, v[6:7]
	v_mul_lo_u32 v11, s14, v11
	v_mul_lo_u32 v25, s15, v10
	v_mad_u64_u32 v[92:93], s[22:23], s14, v10, v[6:7]
	s_mov_b64 s[4:5], 0x50
	v_add3_u32 v77, v25, v77, v11
	v_add3_u32 v93, v25, v93, v11
	v_lshl_add_u64 v[10:11], v[0:1], 0, s[4:5]
	v_mad_u64_u32 v[102:103], s[4:5], s14, v18, v[6:7]
	v_mad_u64_u32 v[104:105], s[4:5], s14, v10, v[2:3]
	;; [unrolled: 1-line block ×3, first 2 shown]
	v_mul_lo_u32 v13, s14, v13
	v_mul_lo_u32 v26, s15, v12
	s_mov_b64 s[4:5], 0x58
	v_add3_u32 v79, v26, v79, v13
	v_add3_u32 v95, v26, v95, v13
	v_lshl_add_u64 v[12:13], v[0:1], 0, s[4:5]
	v_mul_lo_u32 v27, s15, v14
	v_mul_lo_u32 v9, s14, v9
	;; [unrolled: 1-line block ×3, first 2 shown]
	v_mad_u64_u32 v[110:111], s[4:5], s14, v8, v[6:7]
	v_mad_u64_u32 v[112:113], s[4:5], s14, v12, v[2:3]
	;; [unrolled: 1-line block ×3, first 2 shown]
	v_add3_u32 v97, v14, v97, v9
	v_add3_u32 v111, v14, v111, v9
	v_mul_lo_u32 v8, s14, v13
	v_mul_lo_u32 v9, s15, v12
	s_mov_b64 s[4:5], 0x60
	v_mad_u64_u32 v[116:117], s[22:23], s14, v12, v[6:7]
	v_add3_u32 v113, v9, v113, v8
	v_add3_u32 v117, v9, v117, v8
	v_lshl_add_u64 v[8:9], v[0:1], 0, s[4:5]
	v_mul_lo_u32 v15, s14, v15
	v_mad_u64_u32 v[118:119], s[4:5], s14, v8, v[2:3]
	v_mad_u64_u32 v[120:121], s[4:5], s14, v8, v[6:7]
	v_add3_u32 v81, v27, v81, v15
	v_add3_u32 v99, v27, v99, v15
	v_mul_lo_u32 v15, s15, v10
	v_mul_lo_u32 v9, s14, v9
	;; [unrolled: 1-line block ×3, first 2 shown]
	s_mov_b64 s[4:5], 0x68
	v_add3_u32 v119, v10, v119, v9
	v_add3_u32 v121, v10, v121, v9
	v_lshl_add_u64 v[8:9], v[0:1], 0, s[4:5]
	v_mul_lo_u32 v9, s14, v9
	v_mul_lo_u32 v10, s15, v8
	v_mad_u64_u32 v[12:13], s[4:5], s14, v8, v[2:3]
	v_add3_u32 v13, v10, v13, v9
	v_accvgpr_write_b32 a53, v13
	v_accvgpr_write_b32 a52, v12
	v_mad_u64_u32 v[12:13], s[4:5], s14, v8, v[6:7]
	v_add3_u32 v13, v10, v13, v9
	s_mov_b64 s[4:5], 0x70
	v_accvgpr_write_b32 a55, v13
	v_lshl_add_u64 v[8:9], v[0:1], 0, s[4:5]
	v_accvgpr_write_b32 a54, v12
	v_mul_lo_u32 v9, s14, v9
	v_mul_lo_u32 v10, s15, v8
	v_mad_u64_u32 v[12:13], s[4:5], s14, v8, v[2:3]
	v_add3_u32 v13, v10, v13, v9
	v_accvgpr_write_b32 a57, v13
	v_accvgpr_write_b32 a56, v12
	v_mad_u64_u32 v[12:13], s[4:5], s14, v8, v[6:7]
	v_add3_u32 v13, v10, v13, v9
	s_mov_b64 s[4:5], 0x78
	v_accvgpr_write_b32 a59, v13
	v_lshl_add_u64 v[8:9], v[0:1], 0, s[4:5]
	v_accvgpr_write_b32 a58, v12
	;; [unrolled: 12-line block ×16, first 2 shown]
	v_mul_lo_u32 v9, s14, v9
	v_mul_lo_u32 v10, s15, v8
	v_mad_u64_u32 v[12:13], s[4:5], s14, v8, v[2:3]
	v_add3_u32 v13, v10, v13, v9
	v_accvgpr_write_b32 a117, v13
	v_accvgpr_write_b32 a116, v12
	v_mad_u64_u32 v[12:13], s[4:5], s14, v8, v[6:7]
	s_mov_b64 s[4:5], 0xf0
	v_add3_u32 v13, v10, v13, v9
	v_lshl_add_u64 v[8:9], v[0:1], 0, s[4:5]
	v_mad_u64_u32 v[122:123], s[4:5], s14, v8, v[2:3]
	v_mad_u64_u32 v[124:125], s[4:5], s14, v8, v[6:7]
	s_mov_b64 s[4:5], 0xf8
	s_nop 0
	v_lshl_add_u64 v[0:1], v[0:1], 0, s[4:5]
	v_lshlrev_b32_e32 v130, 5, v31
	v_mad_u64_u32 v[100:101], s[22:23], s14, v16, v[6:7]
	v_mad_u64_u32 v[108:109], s[22:23], s14, v22, v[6:7]
	;; [unrolled: 1-line block ×4, first 2 shown]
	v_mul_lo_u32 v1, s14, v1
	v_mul_lo_u32 v0, s15, v0
	v_lshl_add_u64 v[6:7], v[130:131], 0, s[20:21]
	v_add3_u32 v127, v0, v127, v1
	v_add3_u32 v129, v0, v129, v1
	v_lshl_add_u64 v[0:1], v[6:7], 0, 31
	v_mul_lo_u32 v2, s15, v0
	v_mul_lo_u32 v3, s14, v1
	v_mad_u64_u32 v[0:1], s[4:5], s14, v0, 0
	v_mul_lo_u32 v9, s14, v9
	v_mul_lo_u32 v10, s15, v8
	v_add3_u32 v1, v1, v3, v2
	v_lshl_add_u64 v[2:3], v[6:7], 0, 30
	v_add3_u32 v123, v10, v123, v9
	v_add3_u32 v125, v10, v125, v9
	v_mul_lo_u32 v8, s15, v2
	v_mul_lo_u32 v9, s14, v3
	v_mad_u64_u32 v[2:3], s[4:5], s14, v2, 0
	v_mul_lo_u32 v11, s14, v11
	v_add3_u32 v3, v3, v9, v8
	v_lshl_add_u64 v[8:9], v[6:7], 0, 29
	v_add3_u32 v105, v15, v105, v11
	v_add3_u32 v115, v15, v115, v11
	v_mul_lo_u32 v10, s15, v8
	v_mul_lo_u32 v11, s14, v9
	v_mad_u64_u32 v[8:9], s[4:5], s14, v8, 0
	v_accvgpr_write_b32 a119, v13
	v_add3_u32 v9, v9, v11, v10
	v_lshl_add_u64 v[10:11], v[6:7], 0, 28
	v_accvgpr_write_b32 a118, v12
	v_mul_lo_u32 v12, s15, v10
	v_mul_lo_u32 v13, s14, v11
	v_mad_u64_u32 v[10:11], s[4:5], s14, v10, 0
	v_add3_u32 v11, v11, v13, v12
	v_lshl_add_u64 v[12:13], v[6:7], 0, 27
	v_mul_lo_u32 v14, s15, v12
	v_mul_lo_u32 v15, s14, v13
	v_mad_u64_u32 v[12:13], s[4:5], s14, v12, 0
	v_mul_lo_u32 v17, s14, v17
	v_mul_lo_u32 v28, s15, v16
	v_add3_u32 v13, v13, v15, v14
	v_lshl_add_u64 v[14:15], v[6:7], 0, 26
	v_add3_u32 v83, v28, v83, v17
	v_add3_u32 v101, v28, v101, v17
	v_mul_lo_u32 v16, s15, v14
	v_mul_lo_u32 v17, s14, v15
	v_mad_u64_u32 v[14:15], s[4:5], s14, v14, 0
	v_mul_lo_u32 v19, s14, v19
	v_mul_lo_u32 v29, s15, v18
	v_add3_u32 v15, v15, v17, v16
	v_lshl_add_u64 v[16:17], v[6:7], 0, 25
	v_add3_u32 v85, v29, v85, v19
	v_add3_u32 v103, v29, v103, v19
	;; [unrolled: 9-line block ×4, first 2 shown]
	v_mul_lo_u32 v22, s15, v20
	v_mul_lo_u32 v23, s14, v21
	v_mad_u64_u32 v[20:21], s[4:5], s14, v20, 0
	v_add3_u32 v21, v21, v23, v22
	v_lshl_add_u64 v[22:23], v[6:7], 0, 22
	v_mul_lo_u32 v24, s15, v22
	v_mul_lo_u32 v25, s14, v23
	v_mad_u64_u32 v[22:23], s[4:5], s14, v22, 0
	v_add3_u32 v23, v23, v25, v24
	v_lshl_add_u64 v[24:25], v[6:7], 0, 21
	;; [unrolled: 5-line block ×4, first 2 shown]
	v_accvgpr_write_b32 a1, v31
	v_mul_lo_u32 v30, s15, v28
	v_mul_lo_u32 v31, s14, v29
	v_mad_u64_u32 v[28:29], s[4:5], s14, v28, 0
	v_add3_u32 v29, v29, v31, v30
	v_lshl_add_u64 v[30:31], v[6:7], 0, 18
	v_mul_lo_u32 v32, s15, v30
	v_mul_lo_u32 v33, s14, v31
	v_mad_u64_u32 v[30:31], s[4:5], s14, v30, 0
	v_add3_u32 v31, v31, v33, v32
	v_lshl_add_u64 v[32:33], v[6:7], 0, 17
	;; [unrolled: 5-line block ×6, first 2 shown]
	v_lshlrev_b64 v[0:1], 3, v[0:1]
	v_mul_lo_u32 v42, s15, v40
	v_mul_lo_u32 v43, s14, v41
	v_mad_u64_u32 v[40:41], s[4:5], s14, v40, 0
	v_lshl_add_u64 v[136:137], s[16:17], 0, v[0:1]
	v_lshl_add_u64 v[138:139], s[18:19], 0, v[0:1]
	v_lshlrev_b64 v[0:1], 3, v[2:3]
	v_add3_u32 v41, v41, v43, v42
	v_lshl_add_u64 v[42:43], v[6:7], 0, 12
	v_lshl_add_u64 v[140:141], s[16:17], 0, v[0:1]
	v_lshl_add_u64 v[142:143], s[18:19], 0, v[0:1]
	v_lshlrev_b64 v[0:1], 3, v[8:9]
	v_mul_lo_u32 v44, s15, v42
	v_mul_lo_u32 v45, s14, v43
	v_mad_u64_u32 v[42:43], s[4:5], s14, v42, 0
	v_lshl_add_u64 v[144:145], s[16:17], 0, v[0:1]
	v_lshl_add_u64 v[146:147], s[18:19], 0, v[0:1]
	v_lshlrev_b64 v[0:1], 3, v[10:11]
	v_add3_u32 v43, v43, v45, v44
	v_lshl_add_u64 v[44:45], v[6:7], 0, 11
	v_lshl_add_u64 v[148:149], s[16:17], 0, v[0:1]
	v_lshl_add_u64 v[150:151], s[18:19], 0, v[0:1]
	;; [unrolled: 11-line block ×11, first 2 shown]
	v_lshlrev_b64 v[0:1], 3, v[48:49]
	v_mul_lo_u32 v64, s15, v62
	v_mul_lo_u32 v65, s14, v63
	v_mad_u64_u32 v[62:63], s[4:5], s14, v62, 0
	s_load_dword s3, s[0:1], 0x44
	v_lshl_add_u64 v[224:225], s[16:17], 0, v[0:1]
	v_lshl_add_u64 v[226:227], s[18:19], 0, v[0:1]
	v_lshlrev_b64 v[0:1], 3, v[50:51]
	v_add3_u32 v63, v63, v65, v64
	v_mov_b64_e32 v[64:65], s[14:15]
	v_lshl_add_u64 v[228:229], s[16:17], 0, v[0:1]
	v_lshl_add_u64 v[230:231], s[18:19], 0, v[0:1]
	v_lshlrev_b64 v[0:1], 3, v[52:53]
	v_mad_u64_u32 v[64:65], s[4:5], s14, v6, v[64:65]
	v_mul_lo_u32 v66, s15, v6
	v_mul_lo_u32 v67, s14, v7
	v_mad_u64_u32 v[6:7], s[4:5], s14, v6, 0
	v_lshl_add_u64 v[232:233], s[16:17], 0, v[0:1]
	v_lshl_add_u64 v[234:235], s[18:19], 0, v[0:1]
	v_lshlrev_b64 v[0:1], 3, v[54:55]
	v_add3_u32 v7, v7, v67, v66
	v_lshl_add_u64 v[236:237], s[16:17], 0, v[0:1]
	v_lshl_add_u64 v[238:239], s[18:19], 0, v[0:1]
	v_lshlrev_b64 v[0:1], 3, v[56:57]
	s_add_u32 s22, s0, 64
	v_lshlrev_b64 v[6:7], 3, v[6:7]
	v_lshl_add_u64 v[240:241], s[16:17], 0, v[0:1]
	v_lshl_add_u64 v[242:243], s[18:19], 0, v[0:1]
	v_lshlrev_b64 v[0:1], 3, v[58:59]
	s_addc_u32 s23, s1, 0
	s_waitcnt lgkmcnt(0)
	s_lshl_b32 s4, s3, 5
	v_lshl_add_u64 v[132:133], s[16:17], 0, v[6:7]
	v_lshl_add_u64 v[134:135], s[18:19], 0, v[6:7]
	;; [unrolled: 1-line block ×4, first 2 shown]
	v_lshlrev_b64 v[0:1], 3, v[60:61]
	v_mbcnt_lo_u32_b32 v6, -1, 0
	v_add3_u32 v65, v66, v65, v67
	s_mul_i32 s3, s15, s4
	s_mul_hi_u32 s9, s14, s4
	v_lshl_add_u64 v[248:249], s[16:17], 0, v[0:1]
	v_lshl_add_u64 v[250:251], s[18:19], 0, v[0:1]
	v_lshlrev_b64 v[0:1], 3, v[62:63]
	v_mbcnt_hi_u32_b32 v6, -1, v6
	s_add_i32 s25, s9, s3
	s_mul_i32 s24, s14, s4
	v_lshl_add_u64 v[252:253], s[16:17], 0, v[0:1]
	v_lshl_add_u64 v[254:255], s[18:19], 0, v[0:1]
	v_lshlrev_b64 v[0:1], 3, v[64:65]
	v_lshlrev_b32_e32 v6, 2, v6
	v_accvgpr_write_b32 a3, v131
	s_mov_b32 s5, 0
	s_lshl_b64 s[24:25], s[24:25], 3
	s_mov_b64 s[26:27], 31
	v_lshl_add_u64 v[2:3], s[16:17], 0, v[0:1]
	v_lshl_add_u64 v[0:1], s[18:19], 0, v[0:1]
	v_and_b32_e32 v68, 0x100, v6
	s_mov_b64 s[16:17], s[20:21]
	v_mov_b64_e32 v[8:9], 0
.LBB130_150:                            ; =>This Inner Loop Header: Depth=1
	s_add_u32 s18, s20, s26
	s_addc_u32 s19, 0, s27
	v_mov_b64_e32 v[6:7], s[12:13]
	v_cmp_ge_i64_e32 vcc, s[18:19], v[6:7]
	v_lshl_add_u64 v[10:11], s[20:21], 0, v[130:131]
	s_mov_b64 s[18:19], -1
                                        ; implicit-def: $vgpr6_vgpr7
	s_cbranch_vccz .LBB130_220
; %bb.151:                              ;   in Loop: Header=BB130_150 Depth=1
	s_load_dword s3, s[22:23], 0xc
	v_accvgpr_read_b32 v6, a0
	v_accvgpr_read_b32 v7, a1
	v_mov_b64_e32 v[72:73], 0
	v_mov_b64_e32 v[12:13], 0
	s_waitcnt lgkmcnt(0)
	s_and_b32 s3, s3, 0xffff
	v_mad_u32_u24 v6, v7, s3, v6
	v_and_b32_e32 v6, 63, v6
	v_accvgpr_read_b32 v7, a3
	v_accvgpr_write_b32 a2, v6
	v_accvgpr_write_b32 a3, v7
	v_cmp_gt_u32_e32 vcc, 32, v6
	s_and_saveexec_b64 s[18:19], vcc
	s_cbranch_execz .LBB130_155
; %bb.152:                              ;   in Loop: Header=BB130_150 Depth=1
	v_accvgpr_read_b32 v7, a3
	v_accvgpr_read_b32 v6, a2
	v_lshl_add_u64 v[6:7], v[10:11], 0, v[6:7]
	v_cmp_gt_i64_e32 vcc, s[12:13], v[6:7]
	v_mov_b64_e32 v[12:13], 0
	s_and_saveexec_b64 s[28:29], vcc
	s_cbranch_execz .LBB130_154
; %bb.153:                              ;   in Loop: Header=BB130_150 Depth=1
	v_lshl_add_u64 v[6:7], v[6:7], 3, s[10:11]
	global_load_dwordx2 v[12:13], v[6:7], off
.LBB130_154:                            ;   in Loop: Header=BB130_150 Depth=1
	s_or_b64 exec, exec, s[28:29]
.LBB130_155:                            ;   in Loop: Header=BB130_150 Depth=1
	s_or_b64 exec, exec, s[18:19]
	v_cmp_gt_i64_e32 vcc, s[12:13], v[10:11]
	v_mov_b64_e32 v[6:7], 0
	s_and_saveexec_b64 s[18:19], vcc
	s_cbranch_execz .LBB130_157
; %bb.156:                              ;   in Loop: Header=BB130_150 Depth=1
	v_lshl_add_u64 v[6:7], v[132:133], 0, v[4:5]
	global_load_dwordx2 v[72:73], v[6:7], off
	v_lshl_add_u64 v[6:7], v[134:135], 0, v[4:5]
	global_load_dwordx2 v[6:7], v[6:7], off
.LBB130_157:                            ;   in Loop: Header=BB130_150 Depth=1
	s_or_b64 exec, exec, s[18:19]
	v_lshl_add_u64 v[14:15], v[10:11], 0, 1
	v_accvgpr_write_b32 a10, 0
	v_cmp_gt_i64_e32 vcc, s[12:13], v[14:15]
	v_mov_b64_e32 v[64:65], 0
	v_mov_b64_e32 v[70:71], 0
	v_accvgpr_write_b32 a11, 0
	s_and_saveexec_b64 s[18:19], vcc
	s_cbranch_execz .LBB130_159
; %bb.158:                              ;   in Loop: Header=BB130_150 Depth=1
	v_lshl_add_u64 v[14:15], v[2:3], 0, v[4:5]
	global_load_dwordx2 v[70:71], v[14:15], off
	v_lshl_add_u64 v[14:15], v[0:1], 0, v[4:5]
	global_load_dwordx2 a[10:11], v[14:15], off
.LBB130_159:                            ;   in Loop: Header=BB130_150 Depth=1
	s_or_b64 exec, exec, s[18:19]
	v_lshl_add_u64 v[14:15], v[10:11], 0, 2
	v_cmp_gt_i64_e32 vcc, s[12:13], v[14:15]
	v_mov_b64_e32 v[26:27], 0
	s_and_saveexec_b64 s[18:19], vcc
	s_cbranch_execz .LBB130_161
; %bb.160:                              ;   in Loop: Header=BB130_150 Depth=1
	v_lshl_add_u64 v[14:15], v[252:253], 0, v[4:5]
	global_load_dwordx2 v[64:65], v[14:15], off
	v_lshl_add_u64 v[14:15], v[254:255], 0, v[4:5]
	global_load_dwordx2 v[26:27], v[14:15], off
.LBB130_161:                            ;   in Loop: Header=BB130_150 Depth=1
	s_or_b64 exec, exec, s[18:19]
	v_lshl_add_u64 v[14:15], v[10:11], 0, 3
	v_accvgpr_write_b32 a8, 0
	v_accvgpr_write_b32 a16, 0
	v_accvgpr_write_b32 a20, 0
	v_cmp_gt_i64_e32 vcc, s[12:13], v[14:15]
	v_accvgpr_write_b32 a9, 0
	v_accvgpr_write_b32 a17, 0
	v_accvgpr_write_b32 a21, 0
	s_and_saveexec_b64 s[18:19], vcc
	s_cbranch_execz .LBB130_163
; %bb.162:                              ;   in Loop: Header=BB130_150 Depth=1
	v_lshl_add_u64 v[14:15], v[248:249], 0, v[4:5]
	global_load_dwordx2 a[16:17], v[14:15], off
	v_lshl_add_u64 v[14:15], v[250:251], 0, v[4:5]
	global_load_dwordx2 a[20:21], v[14:15], off
.LBB130_163:                            ;   in Loop: Header=BB130_150 Depth=1
	s_or_b64 exec, exec, s[18:19]
	v_lshl_add_u64 v[14:15], v[10:11], 0, 4
	v_accvgpr_write_b32 a14, 0
	v_cmp_gt_i64_e32 vcc, s[12:13], v[14:15]
	v_accvgpr_write_b32 a15, 0
	s_and_saveexec_b64 s[18:19], vcc
	s_cbranch_execz .LBB130_165
; %bb.164:                              ;   in Loop: Header=BB130_150 Depth=1
	v_lshl_add_u64 v[14:15], v[244:245], 0, v[4:5]
	global_load_dwordx2 a[8:9], v[14:15], off
	v_lshl_add_u64 v[14:15], v[246:247], 0, v[4:5]
	global_load_dwordx2 a[14:15], v[14:15], off
.LBB130_165:                            ;   in Loop: Header=BB130_150 Depth=1
	s_or_b64 exec, exec, s[18:19]
	v_lshl_add_u64 v[14:15], v[10:11], 0, 5
	v_accvgpr_write_b32 a18, 0
	v_accvgpr_write_b32 a22, 0
	v_accvgpr_write_b32 a26, 0
	v_cmp_gt_i64_e32 vcc, s[12:13], v[14:15]
	v_accvgpr_write_b32 a19, 0
	v_accvgpr_write_b32 a23, 0
	v_accvgpr_write_b32 a27, 0
	s_and_saveexec_b64 s[18:19], vcc
	s_cbranch_execz .LBB130_167
; %bb.166:                              ;   in Loop: Header=BB130_150 Depth=1
	v_lshl_add_u64 v[14:15], v[240:241], 0, v[4:5]
	global_load_dwordx2 a[22:23], v[14:15], off
	v_lshl_add_u64 v[14:15], v[242:243], 0, v[4:5]
	global_load_dwordx2 a[26:27], v[14:15], off
.LBB130_167:                            ;   in Loop: Header=BB130_150 Depth=1
	s_or_b64 exec, exec, s[18:19]
	v_lshl_add_u64 v[14:15], v[10:11], 0, 6
	v_accvgpr_write_b32 a34, 0
	v_cmp_gt_i64_e32 vcc, s[12:13], v[14:15]
	v_accvgpr_write_b32 a35, 0
	;; [unrolled: 30-line block ×7, first 2 shown]
	s_and_saveexec_b64 s[18:19], vcc
	s_cbranch_execz .LBB130_189
; %bb.188:                              ;   in Loop: Header=BB130_150 Depth=1
	v_lshl_add_u64 v[14:15], v[196:197], 0, v[4:5]
	global_load_dwordx2 a[122:123], v[14:15], off
	v_lshl_add_u64 v[14:15], v[198:199], 0, v[4:5]
	global_load_dwordx2 a[130:131], v[14:15], off
.LBB130_189:                            ;   in Loop: Header=BB130_150 Depth=1
	s_or_b64 exec, exec, s[18:19]
	v_lshl_add_u64 v[14:15], v[10:11], 0, 17
	v_accvgpr_write_b32 a134, 0
	v_accvgpr_write_b32 a138, 0
	v_cmp_gt_i64_e32 vcc, s[12:13], v[14:15]
	v_accvgpr_write_b32 a135, 0
	v_accvgpr_write_b32 a139, 0
	v_mov_b64_e32 v[20:21], 0
	s_and_saveexec_b64 s[18:19], vcc
	s_cbranch_execz .LBB130_191
; %bb.190:                              ;   in Loop: Header=BB130_150 Depth=1
	v_lshl_add_u64 v[14:15], v[192:193], 0, v[4:5]
	global_load_dwordx2 a[138:139], v[14:15], off
	v_lshl_add_u64 v[14:15], v[194:195], 0, v[4:5]
	global_load_dwordx2 v[20:21], v[14:15], off
.LBB130_191:                            ;   in Loop: Header=BB130_150 Depth=1
	s_or_b64 exec, exec, s[18:19]
	v_lshl_add_u64 v[14:15], v[10:11], 0, 18
	v_cmp_gt_i64_e32 vcc, s[12:13], v[14:15]
	v_mov_b64_e32 v[34:35], 0
	s_and_saveexec_b64 s[18:19], vcc
	s_cbranch_execz .LBB130_193
; %bb.192:                              ;   in Loop: Header=BB130_150 Depth=1
	v_lshl_add_u64 v[14:15], v[188:189], 0, v[4:5]
	global_load_dwordx2 a[134:135], v[14:15], off
	v_lshl_add_u64 v[14:15], v[190:191], 0, v[4:5]
	global_load_dwordx2 v[34:35], v[14:15], off
.LBB130_193:                            ;   in Loop: Header=BB130_150 Depth=1
	s_or_b64 exec, exec, s[18:19]
	v_lshl_add_u64 v[14:15], v[10:11], 0, 19
	v_accvgpr_write_b32 a140, 0
	v_cmp_gt_i64_e32 vcc, s[12:13], v[14:15]
	v_accvgpr_write_b32 a141, 0
	v_mov_b64_e32 v[28:29], 0
	v_mov_b64_e32 v[32:33], 0
	s_and_saveexec_b64 s[18:19], vcc
	s_cbranch_execz .LBB130_195
; %bb.194:                              ;   in Loop: Header=BB130_150 Depth=1
	v_lshl_add_u64 v[14:15], v[184:185], 0, v[4:5]
	global_load_dwordx2 v[28:29], v[14:15], off
	v_lshl_add_u64 v[14:15], v[186:187], 0, v[4:5]
	global_load_dwordx2 v[32:33], v[14:15], off
.LBB130_195:                            ;   in Loop: Header=BB130_150 Depth=1
	s_or_b64 exec, exec, s[18:19]
	v_lshl_add_u64 v[14:15], v[10:11], 0, 20
	v_cmp_gt_i64_e32 vcc, s[12:13], v[14:15]
	v_mov_b64_e32 v[36:37], 0
	s_and_saveexec_b64 s[18:19], vcc
	s_cbranch_execz .LBB130_197
; %bb.196:                              ;   in Loop: Header=BB130_150 Depth=1
	v_lshl_add_u64 v[14:15], v[180:181], 0, v[4:5]
	global_load_dwordx2 a[140:141], v[14:15], off
	v_lshl_add_u64 v[14:15], v[182:183], 0, v[4:5]
	global_load_dwordx2 v[36:37], v[14:15], off
.LBB130_197:                            ;   in Loop: Header=BB130_150 Depth=1
	s_or_b64 exec, exec, s[18:19]
	v_lshl_add_u64 v[14:15], v[10:11], 0, 21
	v_cmp_gt_i64_e32 vcc, s[12:13], v[14:15]
	v_mov_b64_e32 v[30:31], 0
	v_mov_b64_e32 v[40:41], 0
	v_mov_b64_e32 v[44:45], 0
	s_and_saveexec_b64 s[18:19], vcc
	s_cbranch_execz .LBB130_199
; %bb.198:                              ;   in Loop: Header=BB130_150 Depth=1
	v_lshl_add_u64 v[14:15], v[176:177], 0, v[4:5]
	global_load_dwordx2 v[40:41], v[14:15], off
	v_lshl_add_u64 v[14:15], v[178:179], 0, v[4:5]
	global_load_dwordx2 v[44:45], v[14:15], off
.LBB130_199:                            ;   in Loop: Header=BB130_150 Depth=1
	s_or_b64 exec, exec, s[18:19]
	v_lshl_add_u64 v[14:15], v[10:11], 0, 22
	v_cmp_gt_i64_e32 vcc, s[12:13], v[14:15]
	v_mov_b64_e32 v[38:39], 0
	s_and_saveexec_b64 s[18:19], vcc
	s_cbranch_execz .LBB130_201
; %bb.200:                              ;   in Loop: Header=BB130_150 Depth=1
	v_lshl_add_u64 v[14:15], v[172:173], 0, v[4:5]
	global_load_dwordx2 v[30:31], v[14:15], off
	v_lshl_add_u64 v[14:15], v[174:175], 0, v[4:5]
	global_load_dwordx2 v[38:39], v[14:15], off
.LBB130_201:                            ;   in Loop: Header=BB130_150 Depth=1
	s_or_b64 exec, exec, s[18:19]
	v_lshl_add_u64 v[14:15], v[10:11], 0, 23
	v_cmp_gt_i64_e32 vcc, s[12:13], v[14:15]
	v_mov_b64_e32 v[42:43], 0
	;; [unrolled: 26-line block ×4, first 2 shown]
	v_mov_b64_e32 v[58:59], 0
	v_mov_b64_e32 v[60:61], 0
	s_and_saveexec_b64 s[18:19], vcc
	s_cbranch_execz .LBB130_211
; %bb.210:                              ;   in Loop: Header=BB130_150 Depth=1
	v_lshl_add_u64 v[24:25], v[152:153], 0, v[4:5]
	global_load_dwordx2 v[58:59], v[24:25], off
	v_lshl_add_u64 v[24:25], v[154:155], 0, v[4:5]
	global_load_dwordx2 v[60:61], v[24:25], off
.LBB130_211:                            ;   in Loop: Header=BB130_150 Depth=1
	s_or_b64 exec, exec, s[18:19]
	v_lshl_add_u64 v[24:25], v[10:11], 0, 28
	v_cmp_gt_i64_e32 vcc, s[12:13], v[24:25]
	v_mov_b64_e32 v[56:57], 0
	s_and_saveexec_b64 s[18:19], vcc
	s_cbranch_execz .LBB130_213
; %bb.212:                              ;   in Loop: Header=BB130_150 Depth=1
	v_lshl_add_u64 v[14:15], v[148:149], 0, v[4:5]
	v_lshl_add_u64 v[24:25], v[150:151], 0, v[4:5]
	global_load_dwordx2 v[14:15], v[14:15], off
	s_nop 0
	global_load_dwordx2 v[56:57], v[24:25], off
.LBB130_213:                            ;   in Loop: Header=BB130_150 Depth=1
	s_or_b64 exec, exec, s[18:19]
	v_lshl_add_u64 v[24:25], v[10:11], 0, 29
	v_cmp_gt_i64_e32 vcc, s[12:13], v[24:25]
	v_mov_b64_e32 v[54:55], 0
	v_mov_b64_e32 v[62:63], 0
	v_mov_b64_e32 v[66:67], 0
	s_and_saveexec_b64 s[18:19], vcc
	s_cbranch_execz .LBB130_215
; %bb.214:                              ;   in Loop: Header=BB130_150 Depth=1
	v_lshl_add_u64 v[24:25], v[144:145], 0, v[4:5]
	global_load_dwordx2 v[62:63], v[24:25], off
	v_lshl_add_u64 v[24:25], v[146:147], 0, v[4:5]
	global_load_dwordx2 v[66:67], v[24:25], off
.LBB130_215:                            ;   in Loop: Header=BB130_150 Depth=1
	s_or_b64 exec, exec, s[18:19]
	v_lshl_add_u64 v[24:25], v[10:11], 0, 30
	v_cmp_gt_i64_e32 vcc, s[12:13], v[24:25]
	v_mov_b64_e32 v[24:25], 0
	s_and_saveexec_b64 s[18:19], vcc
	s_cbranch_execz .LBB130_217
; %bb.216:                              ;   in Loop: Header=BB130_150 Depth=1
	v_lshl_add_u64 v[24:25], v[140:141], 0, v[4:5]
	global_load_dwordx2 v[54:55], v[24:25], off
	v_lshl_add_u64 v[24:25], v[142:143], 0, v[4:5]
	global_load_dwordx2 v[24:25], v[24:25], off
.LBB130_217:                            ;   in Loop: Header=BB130_150 Depth=1
	s_or_b64 exec, exec, s[18:19]
	s_waitcnt vmcnt(1)
	v_accvgpr_write_b32 a4, v64
	s_waitcnt vmcnt(0)
	v_accvgpr_write_b32 a12, v26
	v_accvgpr_write_b32 a6, v70
	;; [unrolled: 1-line block ×3, first 2 shown]
	v_lshl_add_u64 v[64:65], v[10:11], 0, 31
	v_accvgpr_write_b32 a13, v27
	v_accvgpr_write_b32 a7, v71
	v_cmp_gt_i64_e32 vcc, s[12:13], v[64:65]
	v_mov_b64_e32 v[64:65], 0
	s_and_saveexec_b64 s[18:19], vcc
	s_cbranch_execz .LBB130_219
; %bb.218:                              ;   in Loop: Header=BB130_150 Depth=1
	v_lshl_add_u64 v[64:65], v[136:137], 0, v[4:5]
	v_lshl_add_u64 v[70:71], v[138:139], 0, v[4:5]
	global_load_dwordx2 v[64:65], v[64:65], off
	s_nop 0
	global_load_dwordx2 v[70:71], v[70:71], off
	s_waitcnt vmcnt(0)
	v_mul_f64 v[64:65], v[64:65], v[70:71]
.LBB130_219:                            ;   in Loop: Header=BB130_150 Depth=1
	s_or_b64 exec, exec, s[18:19]
	ds_bpermute_b32 v70, v68, v12
	ds_bpermute_b32 v71, v68, v13
	v_mul_f64 v[6:7], v[72:73], v[6:7]
	v_accvgpr_read_b32 v73, a7
	v_accvgpr_read_b32 v27, a11
	;; [unrolled: 1-line block ×3, first 2 shown]
	s_waitcnt lgkmcnt(0)
	v_fma_f64 v[6:7], v[6:7], v[70:71], v[8:9]
	ds_bpermute_b32 v70, v68, v12 offset:4
	ds_bpermute_b32 v71, v68, v13 offset:4
	v_accvgpr_read_b32 v26, a10
	v_mul_f64 v[72:73], v[72:73], v[26:27]
	v_accvgpr_read_b32 v27, a13
	v_accvgpr_read_b32 v26, a12
	s_waitcnt lgkmcnt(0)
	v_fmac_f64_e32 v[6:7], v[72:73], v[70:71]
	ds_bpermute_b32 v70, v68, v12 offset:8
	ds_bpermute_b32 v71, v68, v13 offset:8
	v_accvgpr_read_b32 v73, a5
	v_accvgpr_read_b32 v72, a4
	v_mul_f64 v[72:73], v[72:73], v[26:27]
	v_accvgpr_read_b32 v27, a17
	s_waitcnt lgkmcnt(0)
	v_fmac_f64_e32 v[6:7], v[72:73], v[70:71]
	ds_bpermute_b32 v70, v68, v12 offset:12
	ds_bpermute_b32 v71, v68, v13 offset:12
	v_accvgpr_read_b32 v73, a21
	v_accvgpr_read_b32 v26, a16
	v_accvgpr_read_b32 v72, a20
	v_mul_f64 v[72:73], v[26:27], v[72:73]
	s_waitcnt lgkmcnt(0)
	v_fmac_f64_e32 v[6:7], v[72:73], v[70:71]
	ds_bpermute_b32 v70, v68, v12 offset:16
	ds_bpermute_b32 v71, v68, v13 offset:16
	v_accvgpr_read_b32 v73, a9
	v_accvgpr_read_b32 v27, a15
	v_accvgpr_read_b32 v72, a8
	v_accvgpr_read_b32 v26, a14
	v_mul_f64 v[72:73], v[72:73], v[26:27]
	s_waitcnt lgkmcnt(0)
	v_fmac_f64_e32 v[6:7], v[72:73], v[70:71]
	ds_bpermute_b32 v70, v68, v12 offset:20
	ds_bpermute_b32 v71, v68, v13 offset:20
	v_accvgpr_read_b32 v27, a23
	;; [unrolled: 9-line block ×14, first 2 shown]
	v_accvgpr_read_b32 v27, a139
	v_mul_f64 v[20:21], v[26:27], v[20:21]
	v_accvgpr_read_b32 v26, a134
	s_waitcnt lgkmcnt(0)
	v_fmac_f64_e32 v[6:7], v[20:21], v[70:71]
	ds_bpermute_b32 v20, v68, v12 offset:72
	ds_bpermute_b32 v21, v68, v13 offset:72
	v_accvgpr_read_b32 v27, a135
	v_mul_f64 v[34:35], v[26:27], v[34:35]
	v_mul_f64 v[28:29], v[28:29], v[32:33]
	v_accvgpr_read_b32 v26, a140
	s_waitcnt lgkmcnt(0)
	v_fmac_f64_e32 v[6:7], v[34:35], v[20:21]
	ds_bpermute_b32 v20, v68, v12 offset:76
	ds_bpermute_b32 v21, v68, v13 offset:76
	v_accvgpr_read_b32 v27, a141
	v_mul_f64 v[26:27], v[26:27], v[36:37]
	v_mul_f64 v[18:19], v[46:47], v[18:19]
	;; [unrolled: 1-line block ×3, first 2 shown]
	s_waitcnt lgkmcnt(0)
	v_fmac_f64_e32 v[6:7], v[28:29], v[20:21]
	ds_bpermute_b32 v20, v68, v12 offset:80
	ds_bpermute_b32 v21, v68, v13 offset:80
	v_mul_f64 v[14:15], v[14:15], v[56:57]
	s_mov_b64 s[18:19], 0
	s_waitcnt lgkmcnt(0)
	v_fmac_f64_e32 v[6:7], v[26:27], v[20:21]
	ds_bpermute_b32 v20, v68, v12 offset:84
	ds_bpermute_b32 v21, v68, v13 offset:84
	v_mul_f64 v[26:27], v[40:41], v[44:45]
	s_waitcnt lgkmcnt(0)
	v_fmac_f64_e32 v[6:7], v[26:27], v[20:21]
	ds_bpermute_b32 v20, v68, v12 offset:88
	ds_bpermute_b32 v21, v68, v13 offset:88
	v_mul_f64 v[26:27], v[30:31], v[38:39]
	s_waitcnt lgkmcnt(0)
	v_fmac_f64_e32 v[6:7], v[26:27], v[20:21]
	ds_bpermute_b32 v20, v68, v12 offset:92
	ds_bpermute_b32 v21, v68, v13 offset:92
	s_waitcnt lgkmcnt(0)
	v_fmac_f64_e32 v[6:7], v[18:19], v[20:21]
	ds_bpermute_b32 v18, v68, v12 offset:96
	ds_bpermute_b32 v19, v68, v13 offset:96
	v_mul_f64 v[20:21], v[42:43], v[52:53]
	s_waitcnt lgkmcnt(0)
	v_fmac_f64_e32 v[6:7], v[20:21], v[18:19]
	ds_bpermute_b32 v18, v68, v12 offset:100
	ds_bpermute_b32 v19, v68, v13 offset:100
	v_mul_f64 v[20:21], v[48:49], v[50:51]
	s_waitcnt lgkmcnt(0)
	v_fmac_f64_e32 v[6:7], v[20:21], v[18:19]
	ds_bpermute_b32 v18, v68, v12 offset:104
	ds_bpermute_b32 v19, v68, v13 offset:104
	s_waitcnt lgkmcnt(0)
	v_fmac_f64_e32 v[6:7], v[16:17], v[18:19]
	ds_bpermute_b32 v16, v68, v12 offset:108
	ds_bpermute_b32 v17, v68, v13 offset:108
	v_mul_f64 v[18:19], v[58:59], v[60:61]
	s_waitcnt lgkmcnt(0)
	v_fmac_f64_e32 v[6:7], v[18:19], v[16:17]
	ds_bpermute_b32 v16, v68, v12 offset:112
	ds_bpermute_b32 v17, v68, v13 offset:112
	;; [unrolled: 9-line block ×3, first 2 shown]
	ds_bpermute_b32 v12, v68, v12 offset:124
	ds_bpermute_b32 v13, v68, v13 offset:124
	v_mul_f64 v[16:17], v[54:55], v[24:25]
	s_waitcnt lgkmcnt(2)
	v_fmac_f64_e32 v[6:7], v[16:17], v[14:15]
	s_waitcnt lgkmcnt(0)
	v_fmac_f64_e32 v[6:7], v[64:65], v[12:13]
.LBB130_220:                            ;   in Loop: Header=BB130_150 Depth=1
	s_and_b64 vcc, exec, s[18:19]
	s_cbranch_vccz .LBB130_226
; %bb.221:                              ;   in Loop: Header=BB130_150 Depth=1
	s_load_dword s3, s[22:23], 0x0
	v_accvgpr_read_b32 v13, a3
	v_accvgpr_read_b32 v7, a0
	;; [unrolled: 1-line block ×3, first 2 shown]
	s_waitcnt lgkmcnt(0)
	s_cmp_lt_u32 s2, s3
	s_cselect_b32 s3, 12, 18
	s_add_u32 s18, s22, s3
	s_addc_u32 s19, s23, 0
	global_load_ushort v6, v13, s[18:19]
	s_waitcnt vmcnt(0)
	v_mad_u32_u24 v6, v12, v6, v7
	v_and_b32_e32 v12, 63, v6
	v_accvgpr_write_b32 a2, v12
	v_accvgpr_write_b32 a3, v13
	v_cmp_gt_u32_e32 vcc, 32, v12
	v_mov_b64_e32 v[6:7], 0
	s_and_saveexec_b64 s[18:19], vcc
	s_cbranch_execz .LBB130_225
; %bb.222:                              ;   in Loop: Header=BB130_150 Depth=1
	v_accvgpr_read_b32 v7, a3
	v_accvgpr_read_b32 v6, a2
	v_lshl_add_u64 v[10:11], v[10:11], 0, v[6:7]
	v_cmp_gt_i64_e32 vcc, s[12:13], v[10:11]
	v_mov_b64_e32 v[6:7], 0
	s_and_saveexec_b64 s[28:29], vcc
	s_cbranch_execz .LBB130_224
; %bb.223:                              ;   in Loop: Header=BB130_150 Depth=1
	v_lshl_add_u64 v[6:7], v[10:11], 3, s[10:11]
	global_load_dwordx2 v[6:7], v[6:7], off
.LBB130_224:                            ;   in Loop: Header=BB130_150 Depth=1
	s_or_b64 exec, exec, s[28:29]
.LBB130_225:                            ;   in Loop: Header=BB130_150 Depth=1
	s_or_b64 exec, exec, s[18:19]
	v_lshl_add_u64 v[10:11], v[132:133], 0, v[4:5]
	global_load_dwordx2 v[24:25], v[10:11], off
	v_lshl_add_u64 v[10:11], v[134:135], 0, v[4:5]
	global_load_dwordx2 v[26:27], v[10:11], off
	;; [unrolled: 2-line block ×24, first 2 shown]
	v_lshl_add_u64 v[10:11], v[118:119], 0, v[4:5]
	v_accvgpr_write_b32 a4, v74
	v_accvgpr_write_b32 a5, v75
	global_load_dwordx2 v[74:75], v[10:11], off
	v_lshl_add_u64 v[10:11], v[120:121], 0, v[4:5]
	v_accvgpr_write_b32 a6, v76
	v_accvgpr_write_b32 a7, v77
	global_load_dwordx2 v[76:77], v[10:11], off
	v_accvgpr_read_b32 v10, a52
	v_accvgpr_read_b32 v11, a53
	v_lshl_add_u64 v[10:11], v[10:11], 0, v[4:5]
	v_accvgpr_write_b32 a8, v78
	v_accvgpr_write_b32 a9, v79
	global_load_dwordx2 v[78:79], v[10:11], off
	v_accvgpr_read_b32 v10, a54
	v_accvgpr_read_b32 v11, a55
	;; [unrolled: 6-line block ×21, first 2 shown]
	v_accvgpr_write_b32 a50, v120
	v_lshl_add_u64 v[10:11], v[10:11], 0, v[4:5]
	v_accvgpr_write_b32 a51, v121
	s_waitcnt vmcnt(46)
	ds_bpermute_b32 v120, v68, v6
	ds_bpermute_b32 v121, v68, v7
	global_load_dwordx2 v[20:21], v[10:11], off
	v_accvgpr_read_b32 v10, a94
	v_accvgpr_read_b32 v11, a95
	v_lshl_add_u64 v[10:11], v[10:11], 0, v[4:5]
	global_load_dwordx2 v[22:23], v[10:11], off
	v_accvgpr_read_b32 v10, a96
	s_waitcnt vmcnt(46)
	v_mul_f64 v[24:25], v[24:25], v[26:27]
	v_accvgpr_read_b32 v11, a97
	s_waitcnt lgkmcnt(0)
	v_fmac_f64_e32 v[8:9], v[24:25], v[120:121]
	ds_bpermute_b32 v120, v68, v6 offset:4
	ds_bpermute_b32 v121, v68, v7 offset:4
	v_lshl_add_u64 v[10:11], v[10:11], 0, v[4:5]
	global_load_dwordx2 v[12:13], v[10:11], off
	v_accvgpr_read_b32 v10, a98
	v_accvgpr_read_b32 v11, a99
	v_lshl_add_u64 v[10:11], v[10:11], 0, v[4:5]
	s_waitcnt vmcnt(45)
	v_mul_f64 v[28:29], v[28:29], v[30:31]
	global_load_dwordx2 v[16:17], v[10:11], off
	v_accvgpr_read_b32 v10, a100
	s_waitcnt lgkmcnt(0)
	v_fmac_f64_e32 v[8:9], v[28:29], v[120:121]
	ds_bpermute_b32 v120, v68, v6 offset:8
	ds_bpermute_b32 v121, v68, v7 offset:8
	v_accvgpr_read_b32 v11, a101
	v_lshl_add_u64 v[10:11], v[10:11], 0, v[4:5]
	global_load_dwordx2 v[14:15], v[10:11], off
	v_accvgpr_read_b32 v10, a102
	v_accvgpr_read_b32 v11, a103
	s_waitcnt vmcnt(45)
	v_mul_f64 v[32:33], v[32:33], v[34:35]
	v_lshl_add_u64 v[10:11], v[10:11], 0, v[4:5]
	s_waitcnt lgkmcnt(0)
	v_fmac_f64_e32 v[8:9], v[32:33], v[120:121]
	ds_bpermute_b32 v120, v68, v6 offset:12
	ds_bpermute_b32 v121, v68, v7 offset:12
	global_load_dwordx2 v[18:19], v[10:11], off
	v_accvgpr_write_b32 a48, v118
	v_accvgpr_read_b32 v10, a104
	v_accvgpr_write_b32 a49, v119
	v_accvgpr_read_b32 v119, a107
	v_accvgpr_read_b32 v11, a105
	;; [unrolled: 1-line block ×5, first 2 shown]
	s_waitcnt vmcnt(44)
	v_mul_f64 v[36:37], v[36:37], v[38:39]
	v_lshl_add_u64 v[10:11], v[10:11], 0, v[4:5]
	v_lshl_add_u64 v[118:119], v[118:119], 0, v[4:5]
	v_accvgpr_read_b32 v27, a109
	v_accvgpr_read_b32 v25, a111
	;; [unrolled: 1-line block ×4, first 2 shown]
	s_waitcnt lgkmcnt(0)
	v_fmac_f64_e32 v[8:9], v[36:37], v[120:121]
	ds_bpermute_b32 v120, v68, v6 offset:16
	ds_bpermute_b32 v121, v68, v7 offset:16
	global_load_dwordx2 v[10:11], v[10:11], off
	v_lshl_add_u64 v[26:27], v[26:27], 0, v[4:5]
	global_load_dwordx2 v[118:119], v[118:119], off
	v_lshl_add_u64 v[24:25], v[24:25], 0, v[4:5]
	v_accvgpr_read_b32 v31, a113
	v_accvgpr_read_b32 v29, a115
	global_load_dwordx2 v[26:27], v[26:27], off
	v_lshl_add_u64 v[30:31], v[30:31], 0, v[4:5]
	global_load_dwordx2 v[24:25], v[24:25], off
	v_lshl_add_u64 v[28:29], v[28:29], 0, v[4:5]
	global_load_dwordx2 v[30:31], v[30:31], off
	s_waitcnt vmcnt(47)
	v_mul_f64 v[40:41], v[40:41], v[42:43]
	global_load_dwordx2 v[28:29], v[28:29], off
	v_accvgpr_read_b32 v34, a116
	v_accvgpr_read_b32 v32, a118
	s_waitcnt lgkmcnt(0)
	v_fmac_f64_e32 v[8:9], v[40:41], v[120:121]
	ds_bpermute_b32 v40, v68, v6 offset:20
	ds_bpermute_b32 v41, v68, v7 offset:20
	v_accvgpr_read_b32 v35, a117
	v_accvgpr_read_b32 v33, a119
	v_lshl_add_u64 v[34:35], v[34:35], 0, v[4:5]
	v_lshl_add_u64 v[32:33], v[32:33], 0, v[4:5]
	global_load_dwordx2 v[34:35], v[34:35], off
	v_lshl_add_u64 v[38:39], v[122:123], 0, v[4:5]
	global_load_dwordx2 v[32:33], v[32:33], off
	;; [unrolled: 2-line block ×4, first 2 shown]
	v_lshl_add_u64 v[120:121], v[128:129], 0, v[4:5]
	s_waitcnt vmcnt(50)
	v_mul_f64 v[44:45], v[44:45], v[46:47]
	global_load_dwordx2 v[42:43], v[42:43], off
	s_waitcnt lgkmcnt(0)
	v_fmac_f64_e32 v[8:9], v[44:45], v[40:41]
	global_load_dwordx2 v[44:45], v[120:121], off
	ds_bpermute_b32 v46, v68, v6 offset:24
	ds_bpermute_b32 v47, v68, v7 offset:24
	;; [unrolled: 1-line block ×4, first 2 shown]
	s_waitcnt vmcnt(50)
	v_mul_f64 v[48:49], v[48:49], v[50:51]
	ds_bpermute_b32 v50, v68, v6 offset:40
	s_waitcnt lgkmcnt(3)
	v_fmac_f64_e32 v[8:9], v[48:49], v[46:47]
	s_waitcnt vmcnt(48)
	v_mul_f64 v[46:47], v[52:53], v[54:55]
	s_waitcnt lgkmcnt(1)
	v_fmac_f64_e32 v[8:9], v[46:47], v[40:41]
	ds_bpermute_b32 v40, v68, v6 offset:32
	ds_bpermute_b32 v41, v68, v7 offset:32
	ds_bpermute_b32 v48, v68, v6 offset:36
	ds_bpermute_b32 v49, v68, v7 offset:36
	ds_bpermute_b32 v51, v68, v7 offset:40
	s_waitcnt vmcnt(46)
	v_mul_f64 v[46:47], v[56:57], v[58:59]
	s_waitcnt lgkmcnt(3)
	v_fmac_f64_e32 v[8:9], v[46:47], v[40:41]
	s_waitcnt vmcnt(44)
	v_mul_f64 v[40:41], v[60:61], v[62:63]
	s_waitcnt lgkmcnt(1)
	v_fmac_f64_e32 v[8:9], v[40:41], v[48:49]
	s_waitcnt vmcnt(42)
	v_mul_f64 v[40:41], v[64:65], v[66:67]
	s_waitcnt lgkmcnt(0)
	v_fmac_f64_e32 v[8:9], v[40:41], v[50:51]
	ds_bpermute_b32 v40, v68, v6 offset:44
	ds_bpermute_b32 v41, v68, v7 offset:44
	ds_bpermute_b32 v48, v68, v6 offset:48
	ds_bpermute_b32 v49, v68, v7 offset:48
	ds_bpermute_b32 v50, v68, v6 offset:52
	ds_bpermute_b32 v51, v68, v7 offset:52
	s_waitcnt vmcnt(40)
	v_mul_f64 v[46:47], v[70:71], v[72:73]
	s_waitcnt lgkmcnt(4)
	v_fmac_f64_e32 v[8:9], v[46:47], v[40:41]
	s_waitcnt vmcnt(38)
	v_mul_f64 v[40:41], v[74:75], v[76:77]
	s_waitcnt lgkmcnt(2)
	v_fmac_f64_e32 v[8:9], v[40:41], v[48:49]
	s_waitcnt vmcnt(36)
	v_mul_f64 v[40:41], v[78:79], v[80:81]
	s_waitcnt lgkmcnt(0)
	v_fmac_f64_e32 v[8:9], v[40:41], v[50:51]
	ds_bpermute_b32 v40, v68, v6 offset:56
	;; [unrolled: 18-line block ×5, first 2 shown]
	ds_bpermute_b32 v41, v68, v7 offset:92
	s_waitcnt vmcnt(16)
	v_mul_f64 v[20:21], v[20:21], v[22:23]
	ds_bpermute_b32 v22, v68, v6 offset:96
	ds_bpermute_b32 v23, v68, v7 offset:96
	;; [unrolled: 1-line block ×4, first 2 shown]
	s_waitcnt lgkmcnt(4)
	v_fmac_f64_e32 v[8:9], v[20:21], v[40:41]
	s_waitcnt vmcnt(14)
	v_mul_f64 v[12:13], v[12:13], v[16:17]
	s_waitcnt lgkmcnt(2)
	v_fmac_f64_e32 v[8:9], v[12:13], v[22:23]
	s_waitcnt vmcnt(12)
	v_mul_f64 v[12:13], v[14:15], v[18:19]
	s_waitcnt lgkmcnt(0)
	v_fmac_f64_e32 v[8:9], v[12:13], v[46:47]
	ds_bpermute_b32 v12, v68, v6 offset:104
	ds_bpermute_b32 v13, v68, v7 offset:104
	;; [unrolled: 1-line block ×6, first 2 shown]
	s_waitcnt vmcnt(10)
	v_mul_f64 v[10:11], v[10:11], v[118:119]
	s_waitcnt lgkmcnt(4)
	v_fmac_f64_e32 v[8:9], v[10:11], v[12:13]
	s_waitcnt vmcnt(8)
	v_mul_f64 v[10:11], v[26:27], v[24:25]
	s_waitcnt lgkmcnt(2)
	v_fmac_f64_e32 v[8:9], v[10:11], v[14:15]
	;; [unrolled: 4-line block ×3, first 2 shown]
	ds_bpermute_b32 v10, v68, v6 offset:116
	ds_bpermute_b32 v11, v68, v7 offset:116
	;; [unrolled: 1-line block ×6, first 2 shown]
	s_waitcnt vmcnt(4)
	v_mul_f64 v[12:13], v[34:35], v[32:33]
	s_waitcnt lgkmcnt(4)
	v_fmac_f64_e32 v[8:9], v[12:13], v[10:11]
	s_waitcnt vmcnt(2)
	v_mul_f64 v[10:11], v[38:39], v[36:37]
	s_waitcnt lgkmcnt(2)
	v_fmac_f64_e32 v[8:9], v[10:11], v[14:15]
	s_waitcnt vmcnt(0)
	v_mul_f64 v[10:11], v[42:43], v[44:45]
	v_accvgpr_read_b32 v121, a51
	v_accvgpr_read_b32 v77, a7
	v_accvgpr_read_b32 v75, a5
	v_accvgpr_read_b32 v81, a11
	v_accvgpr_read_b32 v79, a9
	v_accvgpr_read_b32 v85, a15
	v_accvgpr_read_b32 v83, a13
	v_accvgpr_read_b32 v89, a19
	v_accvgpr_read_b32 v87, a17
	v_accvgpr_read_b32 v93, a23
	v_accvgpr_read_b32 v91, a21
	v_accvgpr_read_b32 v97, a27
	v_accvgpr_read_b32 v95, a25
	v_accvgpr_read_b32 v101, a31
	v_accvgpr_read_b32 v99, a29
	v_accvgpr_read_b32 v105, a35
	v_accvgpr_read_b32 v103, a33
	v_accvgpr_read_b32 v109, a39
	v_accvgpr_read_b32 v107, a37
	v_accvgpr_read_b32 v113, a43
	v_accvgpr_read_b32 v111, a41
	v_accvgpr_read_b32 v117, a47
	v_accvgpr_read_b32 v115, a45
	v_accvgpr_read_b32 v119, a49
	s_waitcnt lgkmcnt(0)
	v_fmac_f64_e32 v[8:9], v[10:11], v[6:7]
	v_accvgpr_read_b32 v120, a50
	v_accvgpr_read_b32 v76, a6
	;; [unrolled: 1-line block ×24, first 2 shown]
	v_mov_b64_e32 v[6:7], v[8:9]
.LBB130_226:                            ;   in Loop: Header=BB130_150 Depth=1
	s_add_u32 s16, s16, s4
	s_addc_u32 s17, s17, 0
	v_mov_b64_e32 v[8:9], s[12:13]
	v_cmp_ge_i64_e32 vcc, s[16:17], v[8:9]
	v_accvgpr_read_b32 v8, a52
	v_accvgpr_read_b32 v9, a53
	v_lshl_add_u64 v[8:9], v[8:9], 0, s[24:25]
	v_accvgpr_write_b32 a53, v9
	v_accvgpr_write_b32 a52, v8
	v_accvgpr_read_b32 v8, a56
	v_accvgpr_read_b32 v9, a57
	v_lshl_add_u64 v[8:9], v[8:9], 0, s[24:25]
	v_accvgpr_write_b32 a57, v9
	v_accvgpr_write_b32 a56, v8
	;; [unrolled: 5-line block ×33, first 2 shown]
	v_accvgpr_read_b32 v8, a118
	v_accvgpr_read_b32 v9, a119
	s_add_u32 s26, s26, s4
	v_lshl_add_u64 v[132:133], v[132:133], 0, s[24:25]
	v_lshl_add_u64 v[134:135], v[134:135], 0, s[24:25]
	;; [unrolled: 1-line block ×94, first 2 shown]
	s_addc_u32 s27, 0, s27
	s_cbranch_vccnz .LBB130_228
; %bb.227:                              ;   in Loop: Header=BB130_150 Depth=1
	v_accvgpr_write_b32 a119, v9
	v_accvgpr_write_b32 a118, v8
	v_mov_b64_e32 v[8:9], v[6:7]
	s_branch .LBB130_150
.LBB130_228:
	s_mov_b32 s3, 0
	s_lshl_b64 s[2:3], s[2:3], 5
	v_and_b32_e32 v0, 0x3ff, v69
	v_or_b32_e32 v0, s2, v0
	v_mov_b32_e32 v1, s3
	s_waitcnt lgkmcnt(0)
	s_cmp_lg_u64 s[6:7], 0
	v_cmp_gt_i64_e32 vcc, s[14:15], v[0:1]
	s_cselect_b64 s[2:3], -1, 0
	s_and_b64 s[2:3], vcc, s[2:3]
	s_and_saveexec_b64 s[4:5], s[2:3]
	s_cbranch_execz .LBB130_230
; %bb.229:
	s_load_dword s0, s[0:1], 0x4c
	v_bfe_u32 v2, v69, 10, 10
	v_mov_b32_e32 v3, 0
	v_mov_b32_e32 v4, s8
	s_waitcnt lgkmcnt(0)
	s_lshr_b32 s0, s0, 16
	v_mad_u64_u32 v[2:3], s[0:1], s0, v4, v[2:3]
	v_mul_lo_u32 v4, v3, s14
	v_mul_lo_u32 v5, v2, s15
	v_mad_u64_u32 v[2:3], s[0:1], v2, s14, 0
	v_add3_u32 v3, v3, v5, v4
	v_lshl_add_u64 v[2:3], v[2:3], 3, s[6:7]
	v_lshl_add_u64 v[0:1], v[0:1], 3, v[2:3]
	global_store_dwordx2 v[0:1], v[6:7], off
.LBB130_230:
	s_endpgm
	.section	.rodata,"a",@progbits
	.p2align	6, 0x0
	.amdhsa_kernel _ZN2at6native12_GLOBAL__N_135GammaBetaBackwardCUDAKernelTemplateIddLj32ELj1ELj32ELb1ELb0ELb1EEEvllPKT_S5_PKT0_S8_PS3_S9_
		.amdhsa_group_segment_fixed_size 0
		.amdhsa_private_segment_fixed_size 0
		.amdhsa_kernarg_size 320
		.amdhsa_user_sgpr_count 2
		.amdhsa_user_sgpr_dispatch_ptr 0
		.amdhsa_user_sgpr_queue_ptr 0
		.amdhsa_user_sgpr_kernarg_segment_ptr 1
		.amdhsa_user_sgpr_dispatch_id 0
		.amdhsa_user_sgpr_kernarg_preload_length 0
		.amdhsa_user_sgpr_kernarg_preload_offset 0
		.amdhsa_user_sgpr_private_segment_size 0
		.amdhsa_uses_dynamic_stack 0
		.amdhsa_enable_private_segment 0
		.amdhsa_system_sgpr_workgroup_id_x 1
		.amdhsa_system_sgpr_workgroup_id_y 1
		.amdhsa_system_sgpr_workgroup_id_z 0
		.amdhsa_system_sgpr_workgroup_info 0
		.amdhsa_system_vgpr_workitem_id 1
		.amdhsa_next_free_vgpr 398
		.amdhsa_next_free_sgpr 38
		.amdhsa_accum_offset 256
		.amdhsa_reserve_vcc 1
		.amdhsa_float_round_mode_32 0
		.amdhsa_float_round_mode_16_64 0
		.amdhsa_float_denorm_mode_32 3
		.amdhsa_float_denorm_mode_16_64 3
		.amdhsa_dx10_clamp 1
		.amdhsa_ieee_mode 1
		.amdhsa_fp16_overflow 0
		.amdhsa_tg_split 0
		.amdhsa_exception_fp_ieee_invalid_op 0
		.amdhsa_exception_fp_denorm_src 0
		.amdhsa_exception_fp_ieee_div_zero 0
		.amdhsa_exception_fp_ieee_overflow 0
		.amdhsa_exception_fp_ieee_underflow 0
		.amdhsa_exception_fp_ieee_inexact 0
		.amdhsa_exception_int_div_zero 0
	.end_amdhsa_kernel
	.section	.text._ZN2at6native12_GLOBAL__N_135GammaBetaBackwardCUDAKernelTemplateIddLj32ELj1ELj32ELb1ELb0ELb1EEEvllPKT_S5_PKT0_S8_PS3_S9_,"axG",@progbits,_ZN2at6native12_GLOBAL__N_135GammaBetaBackwardCUDAKernelTemplateIddLj32ELj1ELj32ELb1ELb0ELb1EEEvllPKT_S5_PKT0_S8_PS3_S9_,comdat
.Lfunc_end130:
	.size	_ZN2at6native12_GLOBAL__N_135GammaBetaBackwardCUDAKernelTemplateIddLj32ELj1ELj32ELb1ELb0ELb1EEEvllPKT_S5_PKT0_S8_PS3_S9_, .Lfunc_end130-_ZN2at6native12_GLOBAL__N_135GammaBetaBackwardCUDAKernelTemplateIddLj32ELj1ELj32ELb1ELb0ELb1EEEvllPKT_S5_PKT0_S8_PS3_S9_
                                        ; -- End function
	.set _ZN2at6native12_GLOBAL__N_135GammaBetaBackwardCUDAKernelTemplateIddLj32ELj1ELj32ELb1ELb0ELb1EEEvllPKT_S5_PKT0_S8_PS3_S9_.num_vgpr, 256
	.set _ZN2at6native12_GLOBAL__N_135GammaBetaBackwardCUDAKernelTemplateIddLj32ELj1ELj32ELb1ELb0ELb1EEEvllPKT_S5_PKT0_S8_PS3_S9_.num_agpr, 142
	.set _ZN2at6native12_GLOBAL__N_135GammaBetaBackwardCUDAKernelTemplateIddLj32ELj1ELj32ELb1ELb0ELb1EEEvllPKT_S5_PKT0_S8_PS3_S9_.numbered_sgpr, 38
	.set _ZN2at6native12_GLOBAL__N_135GammaBetaBackwardCUDAKernelTemplateIddLj32ELj1ELj32ELb1ELb0ELb1EEEvllPKT_S5_PKT0_S8_PS3_S9_.num_named_barrier, 0
	.set _ZN2at6native12_GLOBAL__N_135GammaBetaBackwardCUDAKernelTemplateIddLj32ELj1ELj32ELb1ELb0ELb1EEEvllPKT_S5_PKT0_S8_PS3_S9_.private_seg_size, 0
	.set _ZN2at6native12_GLOBAL__N_135GammaBetaBackwardCUDAKernelTemplateIddLj32ELj1ELj32ELb1ELb0ELb1EEEvllPKT_S5_PKT0_S8_PS3_S9_.uses_vcc, 1
	.set _ZN2at6native12_GLOBAL__N_135GammaBetaBackwardCUDAKernelTemplateIddLj32ELj1ELj32ELb1ELb0ELb1EEEvllPKT_S5_PKT0_S8_PS3_S9_.uses_flat_scratch, 0
	.set _ZN2at6native12_GLOBAL__N_135GammaBetaBackwardCUDAKernelTemplateIddLj32ELj1ELj32ELb1ELb0ELb1EEEvllPKT_S5_PKT0_S8_PS3_S9_.has_dyn_sized_stack, 0
	.set _ZN2at6native12_GLOBAL__N_135GammaBetaBackwardCUDAKernelTemplateIddLj32ELj1ELj32ELb1ELb0ELb1EEEvllPKT_S5_PKT0_S8_PS3_S9_.has_recursion, 0
	.set _ZN2at6native12_GLOBAL__N_135GammaBetaBackwardCUDAKernelTemplateIddLj32ELj1ELj32ELb1ELb0ELb1EEEvllPKT_S5_PKT0_S8_PS3_S9_.has_indirect_call, 0
	.section	.AMDGPU.csdata,"",@progbits
; Kernel info:
; codeLenInByte = 24448
; TotalNumSgprs: 44
; NumVgprs: 256
; NumAgprs: 142
; TotalNumVgprs: 398
; ScratchSize: 0
; MemoryBound: 1
; FloatMode: 240
; IeeeMode: 1
; LDSByteSize: 0 bytes/workgroup (compile time only)
; SGPRBlocks: 5
; VGPRBlocks: 49
; NumSGPRsForWavesPerEU: 44
; NumVGPRsForWavesPerEU: 398
; AccumOffset: 256
; Occupancy: 1
; WaveLimiterHint : 0
; COMPUTE_PGM_RSRC2:SCRATCH_EN: 0
; COMPUTE_PGM_RSRC2:USER_SGPR: 2
; COMPUTE_PGM_RSRC2:TRAP_HANDLER: 0
; COMPUTE_PGM_RSRC2:TGID_X_EN: 1
; COMPUTE_PGM_RSRC2:TGID_Y_EN: 1
; COMPUTE_PGM_RSRC2:TGID_Z_EN: 0
; COMPUTE_PGM_RSRC2:TIDIG_COMP_CNT: 1
; COMPUTE_PGM_RSRC3_GFX90A:ACCUM_OFFSET: 63
; COMPUTE_PGM_RSRC3_GFX90A:TG_SPLIT: 0
	.section	.text._ZN2at6native12_GLOBAL__N_135GammaBetaBackwardCUDAKernelTemplateIddLj32ELj1ELj8ELb1ELb1ELb1EEEvllPKT_S5_PKT0_S8_PS3_S9_,"axG",@progbits,_ZN2at6native12_GLOBAL__N_135GammaBetaBackwardCUDAKernelTemplateIddLj32ELj1ELj8ELb1ELb1ELb1EEEvllPKT_S5_PKT0_S8_PS3_S9_,comdat
	.globl	_ZN2at6native12_GLOBAL__N_135GammaBetaBackwardCUDAKernelTemplateIddLj32ELj1ELj8ELb1ELb1ELb1EEEvllPKT_S5_PKT0_S8_PS3_S9_ ; -- Begin function _ZN2at6native12_GLOBAL__N_135GammaBetaBackwardCUDAKernelTemplateIddLj32ELj1ELj8ELb1ELb1ELb1EEEvllPKT_S5_PKT0_S8_PS3_S9_
	.p2align	8
	.type	_ZN2at6native12_GLOBAL__N_135GammaBetaBackwardCUDAKernelTemplateIddLj32ELj1ELj8ELb1ELb1ELb1EEEvllPKT_S5_PKT0_S8_PS3_S9_,@function
_ZN2at6native12_GLOBAL__N_135GammaBetaBackwardCUDAKernelTemplateIddLj32ELj1ELj8ELb1ELb1ELb1EEEvllPKT_S5_PKT0_S8_PS3_S9_: ; @_ZN2at6native12_GLOBAL__N_135GammaBetaBackwardCUDAKernelTemplateIddLj32ELj1ELj8ELb1ELb1ELb1EEEvllPKT_S5_PKT0_S8_PS3_S9_
; %bb.0:
	s_load_dwordx4 s[8:11], s[0:1], 0x0
	s_load_dwordx2 s[16:17], s[0:1], 0x30
	s_lshl_b32 s18, s3, 3
	s_mov_b32 s19, 0
	v_mov_b64_e32 v[2:3], s[18:19]
	s_waitcnt lgkmcnt(0)
	v_cmp_le_i64_e32 vcc, s[8:9], v[2:3]
	s_mov_b32 s6, s3
	v_mov_b64_e32 v[4:5], 0
	v_bfe_u32 v2, v0, 10, 10
	s_cbranch_vccnz .LBB131_7
; %bb.1:
	s_load_dword s3, s[0:1], 0x4c
	s_load_dword s7, s[0:1], 0x44
	s_load_dwordx4 s[12:15], s[0:1], 0x10
	s_load_dwordx2 s[22:23], s[0:1], 0x28
	v_and_b32_e32 v1, 0x3ff, v0
	s_waitcnt lgkmcnt(0)
	s_and_b32 s3, s3, 0xffff
	v_mad_u32_u24 v3, v2, s3, v1
	v_lshlrev_b32_e32 v6, 3, v2
	v_mov_b32_e32 v7, 0
	v_lshl_or_b32 v10, s2, 5, v1
	v_mbcnt_lo_u32_b32 v1, -1, 0
	v_and_b32_e32 v4, 63, v3
	v_mov_b32_e32 v5, v7
	v_mbcnt_hi_u32_b32 v1, -1, v1
	s_lshl_b32 s20, s7, 3
	v_lshl_add_u64 v[12:13], v[6:7], 0, s[18:19]
	v_cmp_gt_u32_e64 s[4:5], 8, v4
	v_mov_b32_e32 v11, v7
	v_lshlrev_b32_e32 v1, 2, v1
	v_lshl_add_u64 v[6:7], v[12:13], 0, v[4:5]
	v_mul_lo_u32 v14, s11, v12
	v_mul_lo_u32 v13, s10, v13
	v_mad_u64_u32 v[4:5], s[24:25], s10, v12, 0
	s_mul_i32 s3, s11, s20
	s_mul_hi_u32 s7, s10, s20
	v_and_b32_e32 v1, 0x100, v1
	s_mov_b32 s21, s19
	v_add3_u32 v5, v5, v13, v14
	v_lshlrev_b64 v[10:11], 3, v[10:11]
	s_add_i32 s25, s7, s3
	s_mul_i32 s24, s10, s20
	v_or_b32_e32 v3, 4, v1
	v_or_b32_e32 v16, 8, v1
	;; [unrolled: 1-line block ×7, first 2 shown]
	v_lshl_add_u64 v[8:9], v[6:7], 3, s[22:23]
	s_lshl_b64 s[22:23], s[20:21], 3
	v_lshl_add_u64 v[10:11], v[4:5], 3, v[10:11]
	s_lshl_b64 s[24:25], s[24:25], 3
	s_lshl_b64 s[26:27], s[10:11], 3
	v_mov_b64_e32 v[4:5], 0
	v_mov_b64_e32 v[12:13], s[8:9]
	s_branch .LBB131_4
.LBB131_2:                              ;   in Loop: Header=BB131_4 Depth=1
	s_or_b64 exec, exec, s[30:31]
.LBB131_3:                              ;   in Loop: Header=BB131_4 Depth=1
	s_or_b64 exec, exec, s[28:29]
	v_lshl_add_u64 v[22:23], s[12:13], 0, v[10:11]
	v_lshl_add_u64 v[26:27], s[14:15], 0, v[10:11]
	global_load_dwordx2 v[24:25], v[22:23], off
	global_load_dwordx2 v[28:29], v[26:27], off
	v_lshl_add_u64 v[22:23], v[22:23], 0, s[26:27]
	v_lshl_add_u64 v[26:27], v[26:27], 0, s[26:27]
	s_waitcnt vmcnt(2)
	ds_bpermute_b32 v30, v1, v14
	ds_bpermute_b32 v31, v1, v15
	global_load_dwordx2 v[44:45], v[22:23], off
	global_load_dwordx2 v[46:47], v[26:27], off
	v_lshl_add_u64 v[22:23], v[22:23], 0, s[26:27]
	v_lshl_add_u64 v[26:27], v[26:27], 0, s[26:27]
	global_load_dwordx2 v[48:49], v[22:23], off
	global_load_dwordx2 v[50:51], v[26:27], off
	v_lshl_add_u64 v[22:23], v[22:23], 0, s[26:27]
	v_lshl_add_u64 v[26:27], v[26:27], 0, s[26:27]
	global_load_dwordx2 v[52:53], v[22:23], off
	global_load_dwordx2 v[54:55], v[26:27], off
	v_lshl_add_u64 v[22:23], v[22:23], 0, s[26:27]
	v_lshl_add_u64 v[26:27], v[26:27], 0, s[26:27]
	global_load_dwordx2 v[56:57], v[22:23], off
	global_load_dwordx2 v[58:59], v[26:27], off
	v_lshl_add_u64 v[22:23], v[22:23], 0, s[26:27]
	v_lshl_add_u64 v[26:27], v[26:27], 0, s[26:27]
	global_load_dwordx2 v[60:61], v[22:23], off
	v_lshl_add_u64 v[22:23], v[22:23], 0, s[26:27]
	ds_bpermute_b32 v32, v3, v14
	ds_bpermute_b32 v33, v3, v15
	;; [unrolled: 1-line block ×14, first 2 shown]
	s_add_u32 s18, s18, s20
	s_addc_u32 s19, s19, 0
	v_cmp_lt_i64_e32 vcc, s[18:19], v[12:13]
	v_lshl_add_u64 v[8:9], v[8:9], 0, s[22:23]
	v_lshl_add_u64 v[6:7], v[6:7], 0, s[20:21]
	;; [unrolled: 1-line block ×3, first 2 shown]
	s_and_b64 vcc, exec, vcc
	s_waitcnt vmcnt(9)
	v_mul_f64 v[24:25], v[24:25], v[28:29]
	global_load_dwordx2 v[28:29], v[26:27], off
	v_lshl_add_u64 v[26:27], v[26:27], 0, s[26:27]
	s_waitcnt lgkmcnt(14)
	v_fmac_f64_e32 v[4:5], v[24:25], v[30:31]
	global_load_dwordx2 v[24:25], v[22:23], off
	global_load_dwordx2 v[30:31], v[26:27], off
	v_lshl_add_u64 v[22:23], v[22:23], 0, s[26:27]
	v_lshl_add_u64 v[26:27], v[26:27], 0, s[26:27]
	global_load_dwordx2 v[22:23], v[22:23], off
	s_nop 0
	global_load_dwordx2 v[26:27], v[26:27], off
	s_waitcnt vmcnt(12)
	v_mul_f64 v[44:45], v[44:45], v[46:47]
	s_waitcnt lgkmcnt(12)
	v_fmac_f64_e32 v[4:5], v[44:45], v[32:33]
	s_waitcnt vmcnt(10)
	v_mul_f64 v[32:33], v[48:49], v[50:51]
	s_waitcnt lgkmcnt(10)
	v_fmac_f64_e32 v[4:5], v[32:33], v[34:35]
	;; [unrolled: 4-line block ×7, first 2 shown]
	s_cbranch_vccz .LBB131_7
.LBB131_4:                              ; =>This Inner Loop Header: Depth=1
	v_mov_b64_e32 v[14:15], 0
	s_and_saveexec_b64 s[28:29], s[4:5]
	s_cbranch_execz .LBB131_3
; %bb.5:                                ;   in Loop: Header=BB131_4 Depth=1
	v_cmp_gt_i64_e32 vcc, s[8:9], v[6:7]
	v_mov_b64_e32 v[14:15], 0
	s_and_saveexec_b64 s[30:31], vcc
	s_cbranch_execz .LBB131_2
; %bb.6:                                ;   in Loop: Header=BB131_4 Depth=1
	global_load_dwordx2 v[14:15], v[8:9], off
	s_branch .LBB131_2
.LBB131_7:
	s_cmp_eq_u64 s[16:17], 0
	s_cbranch_scc1 .LBB131_9
; %bb.8:
	s_load_dword s0, s[0:1], 0x4c
	v_mov_b32_e32 v3, 0
	v_mov_b32_e32 v1, s6
	s_mov_b32 s3, 0
	v_and_b32_e32 v0, 0x3ff, v0
	s_waitcnt lgkmcnt(0)
	s_lshr_b32 s0, s0, 16
	v_mad_u64_u32 v[6:7], s[0:1], s0, v1, v[2:3]
	v_mul_lo_u32 v1, v7, s10
	v_mul_lo_u32 v2, v6, s11
	v_mad_u64_u32 v[6:7], s[0:1], v6, s10, 0
	v_add3_u32 v7, v7, v2, v1
	v_lshl_add_u64 v[6:7], v[6:7], 3, s[16:17]
	s_lshl_b64 s[0:1], s[2:3], 8
	v_lshl_add_u64 v[6:7], v[6:7], 0, s[0:1]
	v_lshlrev_b32_e32 v2, 3, v0
	v_lshl_add_u64 v[0:1], v[6:7], 0, v[2:3]
	global_store_dwordx2 v[0:1], v[4:5], off
.LBB131_9:
	s_endpgm
	.section	.rodata,"a",@progbits
	.p2align	6, 0x0
	.amdhsa_kernel _ZN2at6native12_GLOBAL__N_135GammaBetaBackwardCUDAKernelTemplateIddLj32ELj1ELj8ELb1ELb1ELb1EEEvllPKT_S5_PKT0_S8_PS3_S9_
		.amdhsa_group_segment_fixed_size 0
		.amdhsa_private_segment_fixed_size 0
		.amdhsa_kernarg_size 320
		.amdhsa_user_sgpr_count 2
		.amdhsa_user_sgpr_dispatch_ptr 0
		.amdhsa_user_sgpr_queue_ptr 0
		.amdhsa_user_sgpr_kernarg_segment_ptr 1
		.amdhsa_user_sgpr_dispatch_id 0
		.amdhsa_user_sgpr_kernarg_preload_length 0
		.amdhsa_user_sgpr_kernarg_preload_offset 0
		.amdhsa_user_sgpr_private_segment_size 0
		.amdhsa_uses_dynamic_stack 0
		.amdhsa_enable_private_segment 0
		.amdhsa_system_sgpr_workgroup_id_x 1
		.amdhsa_system_sgpr_workgroup_id_y 1
		.amdhsa_system_sgpr_workgroup_id_z 0
		.amdhsa_system_sgpr_workgroup_info 0
		.amdhsa_system_vgpr_workitem_id 1
		.amdhsa_next_free_vgpr 62
		.amdhsa_next_free_sgpr 32
		.amdhsa_accum_offset 64
		.amdhsa_reserve_vcc 1
		.amdhsa_float_round_mode_32 0
		.amdhsa_float_round_mode_16_64 0
		.amdhsa_float_denorm_mode_32 3
		.amdhsa_float_denorm_mode_16_64 3
		.amdhsa_dx10_clamp 1
		.amdhsa_ieee_mode 1
		.amdhsa_fp16_overflow 0
		.amdhsa_tg_split 0
		.amdhsa_exception_fp_ieee_invalid_op 0
		.amdhsa_exception_fp_denorm_src 0
		.amdhsa_exception_fp_ieee_div_zero 0
		.amdhsa_exception_fp_ieee_overflow 0
		.amdhsa_exception_fp_ieee_underflow 0
		.amdhsa_exception_fp_ieee_inexact 0
		.amdhsa_exception_int_div_zero 0
	.end_amdhsa_kernel
	.section	.text._ZN2at6native12_GLOBAL__N_135GammaBetaBackwardCUDAKernelTemplateIddLj32ELj1ELj8ELb1ELb1ELb1EEEvllPKT_S5_PKT0_S8_PS3_S9_,"axG",@progbits,_ZN2at6native12_GLOBAL__N_135GammaBetaBackwardCUDAKernelTemplateIddLj32ELj1ELj8ELb1ELb1ELb1EEEvllPKT_S5_PKT0_S8_PS3_S9_,comdat
.Lfunc_end131:
	.size	_ZN2at6native12_GLOBAL__N_135GammaBetaBackwardCUDAKernelTemplateIddLj32ELj1ELj8ELb1ELb1ELb1EEEvllPKT_S5_PKT0_S8_PS3_S9_, .Lfunc_end131-_ZN2at6native12_GLOBAL__N_135GammaBetaBackwardCUDAKernelTemplateIddLj32ELj1ELj8ELb1ELb1ELb1EEEvllPKT_S5_PKT0_S8_PS3_S9_
                                        ; -- End function
	.set _ZN2at6native12_GLOBAL__N_135GammaBetaBackwardCUDAKernelTemplateIddLj32ELj1ELj8ELb1ELb1ELb1EEEvllPKT_S5_PKT0_S8_PS3_S9_.num_vgpr, 62
	.set _ZN2at6native12_GLOBAL__N_135GammaBetaBackwardCUDAKernelTemplateIddLj32ELj1ELj8ELb1ELb1ELb1EEEvllPKT_S5_PKT0_S8_PS3_S9_.num_agpr, 0
	.set _ZN2at6native12_GLOBAL__N_135GammaBetaBackwardCUDAKernelTemplateIddLj32ELj1ELj8ELb1ELb1ELb1EEEvllPKT_S5_PKT0_S8_PS3_S9_.numbered_sgpr, 32
	.set _ZN2at6native12_GLOBAL__N_135GammaBetaBackwardCUDAKernelTemplateIddLj32ELj1ELj8ELb1ELb1ELb1EEEvllPKT_S5_PKT0_S8_PS3_S9_.num_named_barrier, 0
	.set _ZN2at6native12_GLOBAL__N_135GammaBetaBackwardCUDAKernelTemplateIddLj32ELj1ELj8ELb1ELb1ELb1EEEvllPKT_S5_PKT0_S8_PS3_S9_.private_seg_size, 0
	.set _ZN2at6native12_GLOBAL__N_135GammaBetaBackwardCUDAKernelTemplateIddLj32ELj1ELj8ELb1ELb1ELb1EEEvllPKT_S5_PKT0_S8_PS3_S9_.uses_vcc, 1
	.set _ZN2at6native12_GLOBAL__N_135GammaBetaBackwardCUDAKernelTemplateIddLj32ELj1ELj8ELb1ELb1ELb1EEEvllPKT_S5_PKT0_S8_PS3_S9_.uses_flat_scratch, 0
	.set _ZN2at6native12_GLOBAL__N_135GammaBetaBackwardCUDAKernelTemplateIddLj32ELj1ELj8ELb1ELb1ELb1EEEvllPKT_S5_PKT0_S8_PS3_S9_.has_dyn_sized_stack, 0
	.set _ZN2at6native12_GLOBAL__N_135GammaBetaBackwardCUDAKernelTemplateIddLj32ELj1ELj8ELb1ELb1ELb1EEEvllPKT_S5_PKT0_S8_PS3_S9_.has_recursion, 0
	.set _ZN2at6native12_GLOBAL__N_135GammaBetaBackwardCUDAKernelTemplateIddLj32ELj1ELj8ELb1ELb1ELb1EEEvllPKT_S5_PKT0_S8_PS3_S9_.has_indirect_call, 0
	.section	.AMDGPU.csdata,"",@progbits
; Kernel info:
; codeLenInByte = 1100
; TotalNumSgprs: 38
; NumVgprs: 62
; NumAgprs: 0
; TotalNumVgprs: 62
; ScratchSize: 0
; MemoryBound: 0
; FloatMode: 240
; IeeeMode: 1
; LDSByteSize: 0 bytes/workgroup (compile time only)
; SGPRBlocks: 4
; VGPRBlocks: 7
; NumSGPRsForWavesPerEU: 38
; NumVGPRsForWavesPerEU: 62
; AccumOffset: 64
; Occupancy: 8
; WaveLimiterHint : 0
; COMPUTE_PGM_RSRC2:SCRATCH_EN: 0
; COMPUTE_PGM_RSRC2:USER_SGPR: 2
; COMPUTE_PGM_RSRC2:TRAP_HANDLER: 0
; COMPUTE_PGM_RSRC2:TGID_X_EN: 1
; COMPUTE_PGM_RSRC2:TGID_Y_EN: 1
; COMPUTE_PGM_RSRC2:TGID_Z_EN: 0
; COMPUTE_PGM_RSRC2:TIDIG_COMP_CNT: 1
; COMPUTE_PGM_RSRC3_GFX90A:ACCUM_OFFSET: 15
; COMPUTE_PGM_RSRC3_GFX90A:TG_SPLIT: 0
	.section	.text._ZN2at6native12_GLOBAL__N_135GammaBetaBackwardCUDAKernelTemplateIddLj32ELj1ELj8ELb1ELb0ELb1EEEvllPKT_S5_PKT0_S8_PS3_S9_,"axG",@progbits,_ZN2at6native12_GLOBAL__N_135GammaBetaBackwardCUDAKernelTemplateIddLj32ELj1ELj8ELb1ELb0ELb1EEEvllPKT_S5_PKT0_S8_PS3_S9_,comdat
	.globl	_ZN2at6native12_GLOBAL__N_135GammaBetaBackwardCUDAKernelTemplateIddLj32ELj1ELj8ELb1ELb0ELb1EEEvllPKT_S5_PKT0_S8_PS3_S9_ ; -- Begin function _ZN2at6native12_GLOBAL__N_135GammaBetaBackwardCUDAKernelTemplateIddLj32ELj1ELj8ELb1ELb0ELb1EEEvllPKT_S5_PKT0_S8_PS3_S9_
	.p2align	8
	.type	_ZN2at6native12_GLOBAL__N_135GammaBetaBackwardCUDAKernelTemplateIddLj32ELj1ELj8ELb1ELb0ELb1EEEvllPKT_S5_PKT0_S8_PS3_S9_,@function
_ZN2at6native12_GLOBAL__N_135GammaBetaBackwardCUDAKernelTemplateIddLj32ELj1ELj8ELb1ELb0ELb1EEEvllPKT_S5_PKT0_S8_PS3_S9_: ; @_ZN2at6native12_GLOBAL__N_135GammaBetaBackwardCUDAKernelTemplateIddLj32ELj1ELj8ELb1ELb0ELb1EEEvllPKT_S5_PKT0_S8_PS3_S9_
; %bb.0:
	s_load_dwordx8 s[12:19], s[0:1], 0x0
	s_load_dwordx2 s[10:11], s[0:1], 0x28
	s_mov_b32 s8, s3
	s_lshl_b32 s3, s2, 5
	s_or_b32 s4, s3, 31
	s_mov_b32 s21, 0
	v_mov_b32_e32 v2, s4
	v_mov_b32_e32 v3, 0
	s_lshl_b32 s20, s8, 3
	s_waitcnt lgkmcnt(0)
	v_cmp_le_i64_e32 vcc, s[14:15], v[2:3]
	v_mov_b64_e32 v[2:3], s[20:21]
	v_cmp_gt_i64_e64 s[4:5], s[12:13], v[2:3]
	s_nop 1
	v_cndmask_b32_e64 v1, 0, 1, s[4:5]
	v_cmp_ne_u32_e64 s[4:5], 1, v1
	s_cbranch_vccz .LBB132_49
; %bb.1:
	s_and_b64 vcc, exec, s[4:5]
	v_mov_b64_e32 v[104:105], 0
	s_cbranch_vccnz .LBB132_50
; %bb.2:
	v_and_b32_e32 v1, 0x3ff, v0
	v_mov_b32_e32 v2, 0
	v_bfe_u32 v78, v0, 10, 10
	v_add_u32_e32 v4, s3, v1
	v_mov_b32_e32 v5, v2
	v_lshlrev_b32_e32 v36, 3, v78
	v_mov_b32_e32 v37, v2
	v_cmp_gt_i64_e64 s[6:7], s[14:15], v[4:5]
	v_lshlrev_b64 v[38:39], 3, v[4:5]
	v_lshl_add_u64 v[4:5], v[36:37], 0, s[20:21]
	v_mul_lo_u32 v3, s15, v4
	v_mul_lo_u32 v8, s14, v5
	v_mad_u64_u32 v[6:7], s[26:27], s14, v4, 0
	v_add3_u32 v7, v7, v8, v3
	v_lshlrev_b64 v[6:7], 3, v[6:7]
	v_lshl_add_u64 v[40:41], s[16:17], 0, v[6:7]
	v_lshl_add_u64 v[42:43], s[18:19], 0, v[6:7]
	v_lshl_add_u64 v[6:7], v[4:5], 0, 7
	v_mul_lo_u32 v9, s15, v6
	v_mul_lo_u32 v10, s14, v7
	v_mad_u64_u32 v[6:7], s[30:31], s14, v6, 0
	v_add3_u32 v7, v7, v10, v9
	v_lshlrev_b64 v[6:7], 3, v[6:7]
	v_lshl_add_u64 v[44:45], s[16:17], 0, v[6:7]
	v_lshl_add_u64 v[46:47], s[18:19], 0, v[6:7]
	;; [unrolled: 8-line block ×6, first 2 shown]
	v_lshl_add_u64 v[6:7], v[4:5], 0, 2
	s_load_dword s9, s[0:1], 0x44
	v_mul_lo_u32 v5, s15, v6
	v_mul_lo_u32 v9, s14, v7
	v_mad_u64_u32 v[6:7], s[30:31], s14, v6, 0
	v_add3_u32 v7, v7, v9, v5
	v_lshlrev_b64 v[6:7], 3, v[6:7]
	v_lshl_add_u64 v[64:65], s[16:17], 0, v[6:7]
	v_lshl_add_u64 v[66:67], s[18:19], 0, v[6:7]
	v_mov_b64_e32 v[6:7], s[14:15]
	s_add_u32 s24, s0, 64
	v_mad_u64_u32 v[4:5], s[30:31], s14, v4, v[6:7]
	s_addc_u32 s25, s1, 0
	s_waitcnt lgkmcnt(0)
	s_lshl_b32 s22, s9, 3
	v_add3_u32 v5, v3, v5, v8
	v_mbcnt_lo_u32_b32 v3, -1, 0
	s_mul_i32 s9, s15, s22
	s_mul_hi_u32 s26, s14, s22
	v_mbcnt_hi_u32_b32 v3, -1, v3
	s_add_i32 s27, s26, s9
	s_mul_i32 s26, s14, s22
	v_lshlrev_b64 v[4:5], 3, v[4:5]
	v_lshlrev_b32_e32 v3, 2, v3
	s_mov_b32 s23, 0
	s_lshl_b64 s[26:27], s[26:27], 3
	s_mov_b64 s[28:29], 7
	v_lshl_add_u64 v[68:69], s[16:17], 0, v[4:5]
	v_lshl_add_u64 v[70:71], s[18:19], 0, v[4:5]
	v_mov_b64_e32 v[72:73], 0
	v_and_b32_e32 v79, 0x100, v3
	s_mov_b64 s[30:31], s[20:21]
.LBB132_3:                              ; =>This Inner Loop Header: Depth=1
	s_add_u32 s34, s20, s28
	s_addc_u32 s35, 0, s29
	v_mov_b64_e32 v[4:5], s[12:13]
	v_cmp_ge_i64_e32 vcc, s[34:35], v[4:5]
	v_lshl_add_u64 v[74:75], s[20:21], 0, v[36:37]
	s_mov_b64 s[34:35], -1
	s_and_b64 vcc, exec, vcc
                                        ; implicit-def: $vgpr4_vgpr5_vgpr6_vgpr7_vgpr8_vgpr9_vgpr10_vgpr11_vgpr12_vgpr13_vgpr14_vgpr15_vgpr16_vgpr17_vgpr18_vgpr19
                                        ; implicit-def: $vgpr104_vgpr105
                                        ; implicit-def: $vgpr20_vgpr21_vgpr22_vgpr23_vgpr24_vgpr25_vgpr26_vgpr27_vgpr28_vgpr29_vgpr30_vgpr31_vgpr32_vgpr33_vgpr34_vgpr35
                                        ; implicit-def: $vgpr4
	s_cbranch_vccz .LBB132_25
; %bb.4:                                ;   in Loop: Header=BB132_3 Depth=1
	s_load_dword s9, s[24:25], 0xc
	v_mov_b64_e32 v[76:77], 0
	s_waitcnt lgkmcnt(0)
	s_and_b32 s9, s9, 0xffff
	v_mad_u32_u24 v3, v78, s9, v1
	v_and_b32_e32 v4, 63, v3
	v_cmp_gt_u32_e32 vcc, 8, v4
	s_and_saveexec_b64 s[34:35], vcc
	s_cbranch_execz .LBB132_8
; %bb.5:                                ;   in Loop: Header=BB132_3 Depth=1
	v_mov_b32_e32 v5, v2
	v_lshl_add_u64 v[4:5], v[74:75], 0, v[4:5]
	v_cmp_gt_i64_e32 vcc, s[12:13], v[4:5]
	v_mov_b64_e32 v[76:77], 0
	s_and_saveexec_b64 s[36:37], vcc
	s_cbranch_execz .LBB132_7
; %bb.6:                                ;   in Loop: Header=BB132_3 Depth=1
	v_lshl_add_u64 v[4:5], v[4:5], 3, s[10:11]
	global_load_dwordx2 v[76:77], v[4:5], off
.LBB132_7:                              ;   in Loop: Header=BB132_3 Depth=1
	s_or_b64 exec, exec, s[36:37]
.LBB132_8:                              ;   in Loop: Header=BB132_3 Depth=1
	s_or_b64 exec, exec, s[34:35]
	v_mov_b32_e32 v16, v2
	v_mov_b32_e32 v17, v2
	;; [unrolled: 1-line block ×15, first 2 shown]
	v_mov_b64_e32 v[34:35], v[16:17]
	v_cmp_gt_i64_e32 vcc, s[12:13], v[74:75]
	v_mov_b64_e32 v[32:33], v[14:15]
	v_mov_b64_e32 v[30:31], v[12:13]
	;; [unrolled: 1-line block ×8, first 2 shown]
	s_and_b64 s[36:37], s[6:7], vcc
	v_mov_b64_e32 v[16:17], v[14:15]
	v_mov_b64_e32 v[14:15], v[12:13]
	;; [unrolled: 1-line block ×7, first 2 shown]
	s_and_saveexec_b64 s[34:35], s[36:37]
	s_cbranch_execz .LBB132_10
; %bb.9:                                ;   in Loop: Header=BB132_3 Depth=1
	v_lshl_add_u64 v[4:5], v[40:41], 0, v[38:39]
	v_lshl_add_u64 v[6:7], v[42:43], 0, v[38:39]
	global_load_dwordx2 v[4:5], v[4:5], off
	v_mov_b32_e32 v8, v2
	global_load_dwordx2 v[20:21], v[6:7], off
	v_mov_b32_e32 v6, v2
	v_mov_b32_e32 v7, v2
	v_mov_b32_e32 v9, v2
	v_mov_b32_e32 v10, v2
	v_mov_b32_e32 v11, v2
	v_mov_b32_e32 v12, v2
	v_mov_b32_e32 v13, v2
	v_mov_b32_e32 v14, v2
	v_mov_b32_e32 v15, v2
	v_mov_b32_e32 v16, v2
	v_mov_b32_e32 v17, v2
	v_mov_b32_e32 v18, v2
	v_mov_b32_e32 v19, v2
	v_mov_b32_e32 v22, v2
	v_mov_b32_e32 v23, v2
	v_mov_b32_e32 v24, v2
	v_mov_b32_e32 v25, v2
	v_mov_b32_e32 v26, v2
	v_mov_b32_e32 v27, v2
	v_mov_b32_e32 v28, v2
	v_mov_b32_e32 v29, v2
	v_mov_b32_e32 v30, v2
	v_mov_b32_e32 v31, v2
	v_mov_b32_e32 v32, v2
	v_mov_b32_e32 v33, v2
	v_mov_b32_e32 v34, v2
	v_mov_b32_e32 v35, v2
.LBB132_10:                             ;   in Loop: Header=BB132_3 Depth=1
	s_or_b64 exec, exec, s[34:35]
	v_lshl_add_u64 v[80:81], v[74:75], 0, 1
	v_cmp_gt_i64_e32 vcc, s[12:13], v[80:81]
	s_and_b64 s[36:37], s[6:7], vcc
	s_and_saveexec_b64 s[34:35], s[36:37]
	s_cbranch_execz .LBB132_12
; %bb.11:                               ;   in Loop: Header=BB132_3 Depth=1
	v_lshl_add_u64 v[6:7], v[68:69], 0, v[38:39]
	v_lshl_add_u64 v[22:23], v[70:71], 0, v[38:39]
	global_load_dwordx2 v[6:7], v[6:7], off
	s_nop 0
	global_load_dwordx2 v[22:23], v[22:23], off
.LBB132_12:                             ;   in Loop: Header=BB132_3 Depth=1
	s_or_b64 exec, exec, s[34:35]
	v_lshl_add_u64 v[80:81], v[74:75], 0, 2
	v_cmp_gt_i64_e32 vcc, s[12:13], v[80:81]
	s_and_b64 s[36:37], s[6:7], vcc
	s_and_saveexec_b64 s[34:35], s[36:37]
	s_cbranch_execz .LBB132_14
; %bb.13:                               ;   in Loop: Header=BB132_3 Depth=1
	v_lshl_add_u64 v[8:9], v[64:65], 0, v[38:39]
	v_lshl_add_u64 v[24:25], v[66:67], 0, v[38:39]
	global_load_dwordx2 v[8:9], v[8:9], off
	s_nop 0
	global_load_dwordx2 v[24:25], v[24:25], off
.LBB132_14:                             ;   in Loop: Header=BB132_3 Depth=1
	s_or_b64 exec, exec, s[34:35]
	v_lshl_add_u64 v[80:81], v[74:75], 0, 3
	v_cmp_gt_i64_e32 vcc, s[12:13], v[80:81]
	s_and_b64 s[36:37], s[6:7], vcc
	s_and_saveexec_b64 s[34:35], s[36:37]
	s_cbranch_execz .LBB132_16
; %bb.15:                               ;   in Loop: Header=BB132_3 Depth=1
	v_lshl_add_u64 v[10:11], v[60:61], 0, v[38:39]
	v_lshl_add_u64 v[26:27], v[62:63], 0, v[38:39]
	global_load_dwordx2 v[10:11], v[10:11], off
	s_nop 0
	global_load_dwordx2 v[26:27], v[26:27], off
.LBB132_16:                             ;   in Loop: Header=BB132_3 Depth=1
	s_or_b64 exec, exec, s[34:35]
	v_lshl_add_u64 v[80:81], v[74:75], 0, 4
	v_cmp_gt_i64_e32 vcc, s[12:13], v[80:81]
	s_and_b64 s[36:37], s[6:7], vcc
	s_and_saveexec_b64 s[34:35], s[36:37]
	s_cbranch_execz .LBB132_18
; %bb.17:                               ;   in Loop: Header=BB132_3 Depth=1
	v_lshl_add_u64 v[12:13], v[56:57], 0, v[38:39]
	v_lshl_add_u64 v[28:29], v[58:59], 0, v[38:39]
	global_load_dwordx2 v[12:13], v[12:13], off
	s_nop 0
	global_load_dwordx2 v[28:29], v[28:29], off
.LBB132_18:                             ;   in Loop: Header=BB132_3 Depth=1
	s_or_b64 exec, exec, s[34:35]
	v_lshl_add_u64 v[80:81], v[74:75], 0, 5
	v_cmp_gt_i64_e32 vcc, s[12:13], v[80:81]
	s_and_b64 s[36:37], s[6:7], vcc
	s_and_saveexec_b64 s[34:35], s[36:37]
	s_cbranch_execz .LBB132_20
; %bb.19:                               ;   in Loop: Header=BB132_3 Depth=1
	v_lshl_add_u64 v[14:15], v[52:53], 0, v[38:39]
	v_lshl_add_u64 v[30:31], v[54:55], 0, v[38:39]
	global_load_dwordx2 v[14:15], v[14:15], off
	s_nop 0
	global_load_dwordx2 v[30:31], v[30:31], off
.LBB132_20:                             ;   in Loop: Header=BB132_3 Depth=1
	s_or_b64 exec, exec, s[34:35]
	v_lshl_add_u64 v[80:81], v[74:75], 0, 6
	v_cmp_gt_i64_e32 vcc, s[12:13], v[80:81]
	s_and_b64 s[36:37], s[6:7], vcc
	s_and_saveexec_b64 s[34:35], s[36:37]
	s_cbranch_execz .LBB132_22
; %bb.21:                               ;   in Loop: Header=BB132_3 Depth=1
	v_lshl_add_u64 v[16:17], v[48:49], 0, v[38:39]
	v_lshl_add_u64 v[32:33], v[50:51], 0, v[38:39]
	global_load_dwordx2 v[16:17], v[16:17], off
	s_nop 0
	global_load_dwordx2 v[32:33], v[32:33], off
.LBB132_22:                             ;   in Loop: Header=BB132_3 Depth=1
	s_or_b64 exec, exec, s[34:35]
	v_lshl_add_u64 v[80:81], v[74:75], 0, 7
	v_cmp_gt_i64_e32 vcc, s[12:13], v[80:81]
	s_and_b64 s[36:37], s[6:7], vcc
	s_and_saveexec_b64 s[34:35], s[36:37]
	s_cbranch_execz .LBB132_24
; %bb.23:                               ;   in Loop: Header=BB132_3 Depth=1
	v_lshl_add_u64 v[18:19], v[44:45], 0, v[38:39]
	v_lshl_add_u64 v[34:35], v[46:47], 0, v[38:39]
	global_load_dwordx2 v[18:19], v[18:19], off
	s_nop 0
	global_load_dwordx2 v[34:35], v[34:35], off
.LBB132_24:                             ;   in Loop: Header=BB132_3 Depth=1
	s_or_b64 exec, exec, s[34:35]
	s_waitcnt vmcnt(0)
	ds_bpermute_b32 v80, v79, v76
	ds_bpermute_b32 v81, v79, v77
	ds_bpermute_b32 v82, v79, v76 offset:4
	ds_bpermute_b32 v83, v79, v77 offset:4
	v_mul_f64 v[4:5], v[20:21], v[4:5]
	ds_bpermute_b32 v20, v79, v76 offset:16
	s_waitcnt lgkmcnt(3)
	v_fma_f64 v[104:105], v[4:5], v[80:81], v[72:73]
	v_mul_f64 v[4:5], v[22:23], v[6:7]
	s_waitcnt lgkmcnt(1)
	v_fmac_f64_e32 v[104:105], v[4:5], v[82:83]
	ds_bpermute_b32 v4, v79, v76 offset:8
	ds_bpermute_b32 v5, v79, v77 offset:8
	v_mul_f64 v[6:7], v[24:25], v[8:9]
	ds_bpermute_b32 v8, v79, v76 offset:12
	ds_bpermute_b32 v9, v79, v77 offset:12
	;; [unrolled: 1-line block ×3, first 2 shown]
	s_waitcnt lgkmcnt(3)
	v_fmac_f64_e32 v[104:105], v[6:7], v[4:5]
	v_mul_f64 v[4:5], v[26:27], v[10:11]
	ds_bpermute_b32 v6, v79, v76 offset:20
	ds_bpermute_b32 v7, v79, v77 offset:20
	s_waitcnt lgkmcnt(3)
	v_fmac_f64_e32 v[104:105], v[4:5], v[8:9]
	v_mul_f64 v[4:5], v[28:29], v[12:13]
	ds_bpermute_b32 v10, v79, v76 offset:24
	ds_bpermute_b32 v11, v79, v77 offset:24
	s_waitcnt lgkmcnt(4)
	v_fmac_f64_e32 v[104:105], v[4:5], v[20:21]
	ds_bpermute_b32 v4, v79, v76 offset:28
	ds_bpermute_b32 v5, v79, v77 offset:28
	v_mul_f64 v[8:9], v[30:31], v[14:15]
	s_waitcnt lgkmcnt(4)
	v_fmac_f64_e32 v[104:105], v[8:9], v[6:7]
	v_mul_f64 v[6:7], v[32:33], v[16:17]
	s_waitcnt lgkmcnt(2)
	v_fmac_f64_e32 v[104:105], v[6:7], v[10:11]
	s_mov_b64 s[34:35], 0
.LBB132_25:                             ;   in Loop: Header=BB132_3 Depth=1
	s_and_b64 vcc, exec, s[34:35]
	s_cbranch_vccz .LBB132_40
; %bb.26:                               ;   in Loop: Header=BB132_3 Depth=1
	s_load_dword s9, s[24:25], 0x0
	v_mov_b64_e32 v[76:77], 0
	s_waitcnt lgkmcnt(0)
	s_cmp_lt_u32 s2, s9
	s_cselect_b32 s9, 12, 18
	s_add_u32 s34, s24, s9
	s_addc_u32 s35, s25, 0
	global_load_ushort v3, v2, s[34:35]
	s_waitcnt vmcnt(0)
	v_mad_u32_u24 v3, v78, v3, v1
	v_and_b32_e32 v4, 63, v3
	v_cmp_gt_u32_e32 vcc, 8, v4
	s_and_saveexec_b64 s[34:35], vcc
	s_cbranch_execz .LBB132_30
; %bb.27:                               ;   in Loop: Header=BB132_3 Depth=1
	v_mov_b32_e32 v5, v2
	v_lshl_add_u64 v[4:5], v[74:75], 0, v[4:5]
	v_cmp_gt_i64_e32 vcc, s[12:13], v[4:5]
	v_mov_b64_e32 v[76:77], 0
	s_and_saveexec_b64 s[36:37], vcc
	s_cbranch_execz .LBB132_29
; %bb.28:                               ;   in Loop: Header=BB132_3 Depth=1
	v_lshl_add_u64 v[4:5], v[4:5], 3, s[10:11]
	global_load_dwordx2 v[76:77], v[4:5], off
.LBB132_29:                             ;   in Loop: Header=BB132_3 Depth=1
	s_or_b64 exec, exec, s[36:37]
.LBB132_30:                             ;   in Loop: Header=BB132_3 Depth=1
	s_or_b64 exec, exec, s[34:35]
	v_mov_b32_e32 v16, v2
	v_mov_b32_e32 v17, v2
	;; [unrolled: 1-line block ×15, first 2 shown]
	v_mov_b64_e32 v[34:35], v[16:17]
	v_mov_b64_e32 v[32:33], v[14:15]
	;; [unrolled: 1-line block ×16, first 2 shown]
	s_and_saveexec_b64 s[34:35], s[6:7]
	s_cbranch_execnz .LBB132_42
; %bb.31:                               ;   in Loop: Header=BB132_3 Depth=1
	s_or_b64 exec, exec, s[34:35]
	s_and_saveexec_b64 s[34:35], s[6:7]
	s_cbranch_execnz .LBB132_43
.LBB132_32:                             ;   in Loop: Header=BB132_3 Depth=1
	s_or_b64 exec, exec, s[34:35]
	s_and_saveexec_b64 s[34:35], s[6:7]
	s_cbranch_execnz .LBB132_44
.LBB132_33:                             ;   in Loop: Header=BB132_3 Depth=1
	s_or_b64 exec, exec, s[34:35]
	s_and_saveexec_b64 s[34:35], s[6:7]
	s_cbranch_execnz .LBB132_45
.LBB132_34:                             ;   in Loop: Header=BB132_3 Depth=1
	s_or_b64 exec, exec, s[34:35]
	s_and_saveexec_b64 s[34:35], s[6:7]
	s_cbranch_execnz .LBB132_46
.LBB132_35:                             ;   in Loop: Header=BB132_3 Depth=1
	s_or_b64 exec, exec, s[34:35]
	s_and_saveexec_b64 s[34:35], s[6:7]
	s_cbranch_execnz .LBB132_47
.LBB132_36:                             ;   in Loop: Header=BB132_3 Depth=1
	s_or_b64 exec, exec, s[34:35]
	s_and_saveexec_b64 s[34:35], s[6:7]
	s_cbranch_execnz .LBB132_48
.LBB132_37:                             ;   in Loop: Header=BB132_3 Depth=1
	s_or_b64 exec, exec, s[34:35]
	s_and_saveexec_b64 s[34:35], s[6:7]
	s_cbranch_execz .LBB132_39
.LBB132_38:                             ;   in Loop: Header=BB132_3 Depth=1
	v_lshl_add_u64 v[18:19], v[44:45], 0, v[38:39]
	v_lshl_add_u64 v[34:35], v[46:47], 0, v[38:39]
	global_load_dwordx2 v[18:19], v[18:19], off
	s_nop 0
	global_load_dwordx2 v[34:35], v[34:35], off
.LBB132_39:                             ;   in Loop: Header=BB132_3 Depth=1
	s_or_b64 exec, exec, s[34:35]
	s_waitcnt vmcnt(0)
	ds_bpermute_b32 v74, v79, v76
	ds_bpermute_b32 v75, v79, v77
	ds_bpermute_b32 v80, v79, v76 offset:4
	ds_bpermute_b32 v81, v79, v77 offset:4
	v_mul_f64 v[4:5], v[20:21], v[4:5]
	ds_bpermute_b32 v20, v79, v76 offset:16
	s_waitcnt lgkmcnt(3)
	v_fmac_f64_e32 v[72:73], v[4:5], v[74:75]
	v_mul_f64 v[4:5], v[22:23], v[6:7]
	s_waitcnt lgkmcnt(1)
	v_fmac_f64_e32 v[72:73], v[4:5], v[80:81]
	ds_bpermute_b32 v4, v79, v76 offset:8
	ds_bpermute_b32 v5, v79, v77 offset:8
	v_mul_f64 v[6:7], v[24:25], v[8:9]
	ds_bpermute_b32 v8, v79, v76 offset:12
	ds_bpermute_b32 v9, v79, v77 offset:12
	;; [unrolled: 1-line block ×3, first 2 shown]
	s_waitcnt lgkmcnt(3)
	v_fmac_f64_e32 v[72:73], v[6:7], v[4:5]
	ds_bpermute_b32 v6, v79, v76 offset:20
	ds_bpermute_b32 v7, v79, v77 offset:20
	v_mul_f64 v[4:5], v[26:27], v[10:11]
	ds_bpermute_b32 v10, v79, v76 offset:24
	ds_bpermute_b32 v11, v79, v77 offset:24
	s_waitcnt lgkmcnt(5)
	v_fmac_f64_e32 v[72:73], v[4:5], v[8:9]
	v_mul_f64 v[4:5], v[28:29], v[12:13]
	s_waitcnt lgkmcnt(4)
	v_fmac_f64_e32 v[72:73], v[4:5], v[20:21]
	ds_bpermute_b32 v4, v79, v76 offset:28
	ds_bpermute_b32 v5, v79, v77 offset:28
	v_mul_f64 v[8:9], v[30:31], v[14:15]
	s_waitcnt lgkmcnt(4)
	v_fmac_f64_e32 v[72:73], v[8:9], v[6:7]
	v_mul_f64 v[6:7], v[32:33], v[16:17]
	s_waitcnt lgkmcnt(2)
	v_fmac_f64_e32 v[72:73], v[6:7], v[10:11]
	v_mov_b64_e32 v[104:105], v[72:73]
.LBB132_40:                             ;   in Loop: Header=BB132_3 Depth=1
	v_mul_f64 v[6:7], v[18:19], v[34:35]
	s_add_u32 s30, s30, s22
	s_waitcnt lgkmcnt(0)
	v_fmac_f64_e32 v[104:105], v[6:7], v[4:5]
	s_addc_u32 s31, s31, 0
	v_mov_b64_e32 v[4:5], s[12:13]
	s_add_u32 s28, s28, s22
	v_cmp_lt_i64_e32 vcc, s[30:31], v[4:5]
	v_lshl_add_u64 v[40:41], v[40:41], 0, s[26:27]
	v_lshl_add_u64 v[42:43], v[42:43], 0, s[26:27]
	;; [unrolled: 1-line block ×17, first 2 shown]
	s_addc_u32 s29, 0, s29
	s_cbranch_vccz .LBB132_50
; %bb.41:                               ;   in Loop: Header=BB132_3 Depth=1
	v_mov_b64_e32 v[72:73], v[104:105]
	s_branch .LBB132_3
.LBB132_42:                             ;   in Loop: Header=BB132_3 Depth=1
	v_lshl_add_u64 v[4:5], v[40:41], 0, v[38:39]
	v_lshl_add_u64 v[6:7], v[42:43], 0, v[38:39]
	global_load_dwordx2 v[4:5], v[4:5], off
	v_mov_b32_e32 v8, v2
	global_load_dwordx2 v[20:21], v[6:7], off
	v_mov_b32_e32 v6, v2
	v_mov_b32_e32 v7, v2
	;; [unrolled: 1-line block ×27, first 2 shown]
	s_or_b64 exec, exec, s[34:35]
	s_and_saveexec_b64 s[34:35], s[6:7]
	s_cbranch_execz .LBB132_32
.LBB132_43:                             ;   in Loop: Header=BB132_3 Depth=1
	v_lshl_add_u64 v[6:7], v[68:69], 0, v[38:39]
	v_lshl_add_u64 v[22:23], v[70:71], 0, v[38:39]
	global_load_dwordx2 v[6:7], v[6:7], off
	s_nop 0
	global_load_dwordx2 v[22:23], v[22:23], off
	s_or_b64 exec, exec, s[34:35]
	s_and_saveexec_b64 s[34:35], s[6:7]
	s_cbranch_execz .LBB132_33
.LBB132_44:                             ;   in Loop: Header=BB132_3 Depth=1
	v_lshl_add_u64 v[8:9], v[64:65], 0, v[38:39]
	v_lshl_add_u64 v[24:25], v[66:67], 0, v[38:39]
	global_load_dwordx2 v[8:9], v[8:9], off
	s_nop 0
	global_load_dwordx2 v[24:25], v[24:25], off
	s_or_b64 exec, exec, s[34:35]
	s_and_saveexec_b64 s[34:35], s[6:7]
	s_cbranch_execz .LBB132_34
.LBB132_45:                             ;   in Loop: Header=BB132_3 Depth=1
	v_lshl_add_u64 v[10:11], v[60:61], 0, v[38:39]
	v_lshl_add_u64 v[26:27], v[62:63], 0, v[38:39]
	global_load_dwordx2 v[10:11], v[10:11], off
	s_nop 0
	global_load_dwordx2 v[26:27], v[26:27], off
	s_or_b64 exec, exec, s[34:35]
	s_and_saveexec_b64 s[34:35], s[6:7]
	s_cbranch_execz .LBB132_35
.LBB132_46:                             ;   in Loop: Header=BB132_3 Depth=1
	v_lshl_add_u64 v[12:13], v[56:57], 0, v[38:39]
	v_lshl_add_u64 v[28:29], v[58:59], 0, v[38:39]
	global_load_dwordx2 v[12:13], v[12:13], off
	s_nop 0
	global_load_dwordx2 v[28:29], v[28:29], off
	s_or_b64 exec, exec, s[34:35]
	s_and_saveexec_b64 s[34:35], s[6:7]
	s_cbranch_execz .LBB132_36
.LBB132_47:                             ;   in Loop: Header=BB132_3 Depth=1
	v_lshl_add_u64 v[14:15], v[52:53], 0, v[38:39]
	v_lshl_add_u64 v[30:31], v[54:55], 0, v[38:39]
	global_load_dwordx2 v[14:15], v[14:15], off
	s_nop 0
	global_load_dwordx2 v[30:31], v[30:31], off
	s_or_b64 exec, exec, s[34:35]
	s_and_saveexec_b64 s[34:35], s[6:7]
	s_cbranch_execz .LBB132_37
.LBB132_48:                             ;   in Loop: Header=BB132_3 Depth=1
	v_lshl_add_u64 v[16:17], v[48:49], 0, v[38:39]
	v_lshl_add_u64 v[32:33], v[50:51], 0, v[38:39]
	global_load_dwordx2 v[16:17], v[16:17], off
	s_nop 0
	global_load_dwordx2 v[32:33], v[32:33], off
	s_or_b64 exec, exec, s[34:35]
	s_and_saveexec_b64 s[34:35], s[6:7]
	s_cbranch_execnz .LBB132_38
	s_branch .LBB132_39
.LBB132_49:
                                        ; implicit-def: $vgpr104_vgpr105
	s_load_dwordx2 s[6:7], s[0:1], 0x30
	s_branch .LBB132_51
.LBB132_50:
	s_load_dwordx2 s[6:7], s[0:1], 0x30
	s_cbranch_execnz .LBB132_83
.LBB132_51:
	s_and_b64 vcc, exec, s[4:5]
	v_mov_b64_e32 v[104:105], 0
	s_cbranch_vccnz .LBB132_83
; %bb.52:
	v_mov_b32_e32 v2, 0
	v_bfe_u32 v1, v0, 10, 10
	v_lshlrev_b32_e32 v6, 6, v1
	v_mov_b32_e32 v7, v2
	v_lshl_add_u64 v[6:7], s[20:21], 3, v[6:7]
	v_lshl_add_u64 v[8:9], v[6:7], 0, 8
	v_mov_b64_e32 v[10:11], s[16:17]
	v_mov_b64_e32 v[22:23], s[18:19]
	v_lshlrev_b32_e32 v36, 3, v1
	v_mov_b32_e32 v37, v2
	v_mad_u64_u32 v[38:39], s[4:5], s14, v8, v[10:11]
	v_mul_lo_u32 v3, s14, v9
	v_mul_lo_u32 v9, s15, v8
	v_lshl_add_u64 v[12:13], v[6:7], 0, 16
	v_lshl_add_u64 v[14:15], v[6:7], 0, 24
	;; [unrolled: 1-line block ×5, first 2 shown]
	v_mad_u64_u32 v[48:49], s[4:5], s14, v8, v[22:23]
	v_lshl_add_u64 v[6:7], v[6:7], 0, 56
	v_lshl_add_u64 v[4:5], v[36:37], 0, s[20:21]
	v_add3_u32 v39, v9, v39, v3
	v_add3_u32 v49, v9, v49, v3
	v_mad_u64_u32 v[54:55], s[4:5], s14, v6, v[10:11]
	v_mul_lo_u32 v7, s14, v7
	v_mul_lo_u32 v9, s15, v6
	v_mad_u64_u32 v[64:65], s[4:5], s14, v6, v[22:23]
	v_mad_u64_u32 v[50:51], s[4:5], s14, v20, v[10:11]
	v_mul_lo_u32 v3, s14, v21
	v_mul_lo_u32 v8, s15, v20
	v_add3_u32 v55, v9, v55, v7
	v_mad_u64_u32 v[62:63], s[4:5], s14, v20, v[22:23]
	v_add3_u32 v65, v9, v65, v7
	v_lshl_add_u64 v[6:7], v[4:5], 0, 7
	v_add3_u32 v51, v8, v51, v3
	v_add3_u32 v63, v8, v63, v3
	v_mul_lo_u32 v3, s15, v6
	v_mul_lo_u32 v8, s14, v7
	v_mad_u64_u32 v[6:7], s[4:5], s14, v6, 0
	v_add3_u32 v7, v7, v8, v3
	v_lshl_add_u64 v[8:9], v[4:5], 0, 6
	v_mad_u64_u32 v[40:41], s[4:5], s14, v12, v[10:11]
	v_mad_u64_u32 v[42:43], s[4:5], s14, v14, v[10:11]
	;; [unrolled: 1-line block ×4, first 2 shown]
	v_mul_lo_u32 v3, s15, v8
	v_mul_lo_u32 v10, s14, v9
	v_mad_u64_u32 v[8:9], s[4:5], s14, v8, 0
	v_add3_u32 v9, v9, v10, v3
	v_lshl_add_u64 v[10:11], v[4:5], 0, 5
	v_mul_lo_u32 v13, s14, v13
	v_mul_lo_u32 v24, s15, v12
	v_mad_u64_u32 v[52:53], s[4:5], s14, v12, v[22:23]
	v_mul_lo_u32 v3, s15, v10
	v_mul_lo_u32 v12, s14, v11
	v_mad_u64_u32 v[10:11], s[4:5], s14, v10, 0
	v_add3_u32 v41, v24, v41, v13
	v_add3_u32 v53, v24, v53, v13
	v_add3_u32 v11, v11, v12, v3
	v_lshl_add_u64 v[12:13], v[4:5], 0, 4
	v_mul_lo_u32 v15, s14, v15
	v_mul_lo_u32 v25, s15, v14
	v_mad_u64_u32 v[56:57], s[4:5], s14, v14, v[22:23]
	v_mul_lo_u32 v3, s15, v12
	v_mul_lo_u32 v14, s14, v13
	v_mad_u64_u32 v[12:13], s[4:5], s14, v12, 0
	v_add3_u32 v43, v25, v43, v15
	v_add3_u32 v57, v25, v57, v15
	;; [unrolled: 10-line block ×4, first 2 shown]
	v_add3_u32 v17, v17, v18, v3
	v_mov_b64_e32 v[18:19], s[14:15]
	v_mad_u64_u32 v[18:19], s[4:5], s14, v4, v[18:19]
	v_mul_lo_u32 v3, s15, v4
	v_mul_lo_u32 v20, s14, v5
	v_mad_u64_u32 v[4:5], s[4:5], s14, v4, 0
	v_add3_u32 v5, v5, v20, v3
	s_load_dword s4, s[0:1], 0x44
	v_lshlrev_b64 v[4:5], 3, v[4:5]
	v_lshl_add_u64 v[68:69], s[16:17], 0, v[4:5]
	v_lshl_add_u64 v[70:71], s[18:19], 0, v[4:5]
	v_lshlrev_b64 v[4:5], 3, v[6:7]
	v_lshl_add_u64 v[72:73], s[16:17], 0, v[4:5]
	v_lshl_add_u64 v[74:75], s[18:19], 0, v[4:5]
	;; [unrolled: 3-line block ×3, first 2 shown]
	v_lshlrev_b64 v[4:5], 3, v[10:11]
	s_add_u32 s22, s0, 64
	v_lshl_add_u64 v[80:81], s[16:17], 0, v[4:5]
	v_lshl_add_u64 v[82:83], s[18:19], 0, v[4:5]
	v_lshlrev_b64 v[4:5], 3, v[12:13]
	v_add3_u32 v19, v3, v19, v20
	v_and_b32_e32 v108, 0x3ff, v0
	s_addc_u32 s23, s1, 0
	s_waitcnt lgkmcnt(0)
	s_lshl_b32 s4, s4, 3
	v_lshl_add_u64 v[84:85], s[16:17], 0, v[4:5]
	v_lshl_add_u64 v[86:87], s[18:19], 0, v[4:5]
	v_lshlrev_b64 v[4:5], 3, v[14:15]
	v_mbcnt_lo_u32_b32 v3, -1, 0
	v_add_u32_e32 v20, s3, v108
	s_mul_i32 s3, s15, s4
	s_mul_hi_u32 s9, s14, s4
	v_lshl_add_u64 v[88:89], s[16:17], 0, v[4:5]
	v_lshl_add_u64 v[90:91], s[18:19], 0, v[4:5]
	v_lshlrev_b64 v[4:5], 3, v[16:17]
	v_mbcnt_hi_u32_b32 v3, -1, v3
	v_mov_b32_e32 v21, v2
	s_add_i32 s25, s9, s3
	s_mul_i32 s24, s14, s4
	v_lshl_add_u64 v[92:93], s[16:17], 0, v[4:5]
	v_lshl_add_u64 v[94:95], s[18:19], 0, v[4:5]
	v_lshlrev_b64 v[4:5], 3, v[18:19]
	v_lshlrev_b32_e32 v3, 2, v3
	s_mov_b32 s5, 0
	v_lshlrev_b64 v[66:67], 3, v[20:21]
	s_lshl_b64 s[24:25], s[24:25], 3
	s_mov_b64 s[26:27], 7
	v_lshl_add_u64 v[96:97], s[16:17], 0, v[4:5]
	v_lshl_add_u64 v[98:99], s[18:19], 0, v[4:5]
	v_and_b32_e32 v109, 0x100, v3
	s_mov_b64 s[16:17], s[20:21]
	v_mov_b64_e32 v[100:101], 0
.LBB132_53:                             ; =>This Inner Loop Header: Depth=1
	s_add_u32 s18, s20, s26
	s_addc_u32 s19, 0, s27
	v_mov_b64_e32 v[4:5], s[12:13]
	v_cmp_ge_i64_e32 vcc, s[18:19], v[4:5]
	v_lshl_add_u64 v[102:103], s[20:21], 0, v[36:37]
	s_mov_b64 s[18:19], -1
                                        ; implicit-def: $vgpr104_vgpr105
	s_cbranch_vccz .LBB132_75
; %bb.54:                               ;   in Loop: Header=BB132_53 Depth=1
	s_load_dword s3, s[22:23], 0xc
	v_mov_b64_e32 v[106:107], 0
	s_waitcnt lgkmcnt(0)
	s_and_b32 s3, s3, 0xffff
	v_mad_u32_u24 v3, v1, s3, v108
	v_and_b32_e32 v4, 63, v3
	v_cmp_gt_u32_e32 vcc, 8, v4
	s_and_saveexec_b64 s[18:19], vcc
	s_cbranch_execz .LBB132_58
; %bb.55:                               ;   in Loop: Header=BB132_53 Depth=1
	v_mov_b32_e32 v5, v2
	v_lshl_add_u64 v[4:5], v[102:103], 0, v[4:5]
	v_cmp_gt_i64_e32 vcc, s[12:13], v[4:5]
	v_mov_b64_e32 v[106:107], 0
	s_and_saveexec_b64 s[28:29], vcc
	s_cbranch_execz .LBB132_57
; %bb.56:                               ;   in Loop: Header=BB132_53 Depth=1
	v_lshl_add_u64 v[4:5], v[4:5], 3, s[10:11]
	global_load_dwordx2 v[106:107], v[4:5], off
.LBB132_57:                             ;   in Loop: Header=BB132_53 Depth=1
	s_or_b64 exec, exec, s[28:29]
.LBB132_58:                             ;   in Loop: Header=BB132_53 Depth=1
	s_or_b64 exec, exec, s[18:19]
	v_mov_b32_e32 v16, v2
	v_mov_b32_e32 v17, v2
	;; [unrolled: 1-line block ×15, first 2 shown]
	v_mov_b64_e32 v[34:35], v[16:17]
	v_mov_b64_e32 v[32:33], v[14:15]
	;; [unrolled: 1-line block ×9, first 2 shown]
	v_cmp_gt_i64_e32 vcc, s[12:13], v[102:103]
	v_mov_b64_e32 v[16:17], v[14:15]
	v_mov_b64_e32 v[14:15], v[12:13]
	;; [unrolled: 1-line block ×7, first 2 shown]
	s_and_saveexec_b64 s[18:19], vcc
	s_cbranch_execz .LBB132_60
; %bb.59:                               ;   in Loop: Header=BB132_53 Depth=1
	v_lshl_add_u64 v[4:5], v[68:69], 0, v[66:67]
	v_lshl_add_u64 v[6:7], v[70:71], 0, v[66:67]
	global_load_dwordx2 v[4:5], v[4:5], off
	v_mov_b32_e32 v8, v2
	global_load_dwordx2 v[20:21], v[6:7], off
	v_mov_b32_e32 v6, v2
	v_mov_b32_e32 v7, v2
	v_mov_b32_e32 v9, v2
	v_mov_b32_e32 v10, v2
	v_mov_b32_e32 v11, v2
	v_mov_b32_e32 v12, v2
	v_mov_b32_e32 v13, v2
	v_mov_b32_e32 v14, v2
	v_mov_b32_e32 v15, v2
	v_mov_b32_e32 v16, v2
	v_mov_b32_e32 v17, v2
	v_mov_b32_e32 v18, v2
	v_mov_b32_e32 v19, v2
	v_mov_b32_e32 v22, v2
	v_mov_b32_e32 v23, v2
	v_mov_b32_e32 v24, v2
	v_mov_b32_e32 v25, v2
	v_mov_b32_e32 v26, v2
	v_mov_b32_e32 v27, v2
	v_mov_b32_e32 v28, v2
	v_mov_b32_e32 v29, v2
	v_mov_b32_e32 v30, v2
	v_mov_b32_e32 v31, v2
	v_mov_b32_e32 v32, v2
	v_mov_b32_e32 v33, v2
	v_mov_b32_e32 v34, v2
	v_mov_b32_e32 v35, v2
.LBB132_60:                             ;   in Loop: Header=BB132_53 Depth=1
	s_or_b64 exec, exec, s[18:19]
	v_lshl_add_u64 v[104:105], v[102:103], 0, 1
	v_cmp_gt_i64_e32 vcc, s[12:13], v[104:105]
	s_and_saveexec_b64 s[18:19], vcc
	s_cbranch_execz .LBB132_62
; %bb.61:                               ;   in Loop: Header=BB132_53 Depth=1
	v_lshl_add_u64 v[6:7], v[96:97], 0, v[66:67]
	v_lshl_add_u64 v[22:23], v[98:99], 0, v[66:67]
	global_load_dwordx2 v[6:7], v[6:7], off
	s_nop 0
	global_load_dwordx2 v[22:23], v[22:23], off
.LBB132_62:                             ;   in Loop: Header=BB132_53 Depth=1
	s_or_b64 exec, exec, s[18:19]
	v_lshl_add_u64 v[104:105], v[102:103], 0, 2
	v_cmp_gt_i64_e32 vcc, s[12:13], v[104:105]
	s_and_saveexec_b64 s[18:19], vcc
	s_cbranch_execz .LBB132_64
; %bb.63:                               ;   in Loop: Header=BB132_53 Depth=1
	v_lshl_add_u64 v[8:9], v[92:93], 0, v[66:67]
	v_lshl_add_u64 v[24:25], v[94:95], 0, v[66:67]
	global_load_dwordx2 v[8:9], v[8:9], off
	s_nop 0
	global_load_dwordx2 v[24:25], v[24:25], off
.LBB132_64:                             ;   in Loop: Header=BB132_53 Depth=1
	;; [unrolled: 12-line block ×7, first 2 shown]
	s_or_b64 exec, exec, s[18:19]
	s_waitcnt vmcnt(0)
	ds_bpermute_b32 v104, v109, v106
	ds_bpermute_b32 v105, v109, v107
	ds_bpermute_b32 v110, v109, v106 offset:4
	ds_bpermute_b32 v111, v109, v107 offset:4
	v_mul_f64 v[4:5], v[20:21], v[4:5]
	ds_bpermute_b32 v20, v109, v106 offset:16
	s_waitcnt lgkmcnt(3)
	v_fma_f64 v[104:105], v[4:5], v[104:105], v[100:101]
	v_mul_f64 v[4:5], v[22:23], v[6:7]
	s_waitcnt lgkmcnt(1)
	v_fmac_f64_e32 v[104:105], v[4:5], v[110:111]
	ds_bpermute_b32 v4, v109, v106 offset:8
	ds_bpermute_b32 v5, v109, v107 offset:8
	v_mul_f64 v[6:7], v[24:25], v[8:9]
	ds_bpermute_b32 v8, v109, v106 offset:12
	ds_bpermute_b32 v9, v109, v107 offset:12
	;; [unrolled: 1-line block ×3, first 2 shown]
	s_waitcnt lgkmcnt(3)
	v_fmac_f64_e32 v[104:105], v[6:7], v[4:5]
	v_mul_f64 v[4:5], v[26:27], v[10:11]
	ds_bpermute_b32 v10, v109, v106 offset:28
	s_waitcnt lgkmcnt(2)
	v_fmac_f64_e32 v[104:105], v[4:5], v[8:9]
	v_mul_f64 v[4:5], v[28:29], v[12:13]
	s_waitcnt lgkmcnt(1)
	v_fmac_f64_e32 v[104:105], v[4:5], v[20:21]
	ds_bpermute_b32 v4, v109, v106 offset:20
	ds_bpermute_b32 v5, v109, v107 offset:20
	;; [unrolled: 1-line block ×5, first 2 shown]
	v_mul_f64 v[6:7], v[30:31], v[14:15]
	s_waitcnt lgkmcnt(3)
	v_fmac_f64_e32 v[104:105], v[6:7], v[4:5]
	v_mul_f64 v[4:5], v[32:33], v[16:17]
	s_waitcnt lgkmcnt(1)
	v_fmac_f64_e32 v[104:105], v[4:5], v[8:9]
	;; [unrolled: 3-line block ×3, first 2 shown]
	s_mov_b64 s[18:19], 0
.LBB132_75:                             ;   in Loop: Header=BB132_53 Depth=1
	s_and_b64 vcc, exec, s[18:19]
	s_cbranch_vccz .LBB132_81
; %bb.76:                               ;   in Loop: Header=BB132_53 Depth=1
	s_load_dword s3, s[22:23], 0x0
	v_mov_b64_e32 v[4:5], 0
	s_waitcnt lgkmcnt(0)
	s_cmp_lt_u32 s2, s3
	s_cselect_b32 s3, 12, 18
	s_add_u32 s18, s22, s3
	s_addc_u32 s19, s23, 0
	global_load_ushort v3, v2, s[18:19]
	s_waitcnt vmcnt(0)
	v_mad_u32_u24 v3, v1, v3, v108
	v_and_b32_e32 v6, 63, v3
	v_cmp_gt_u32_e32 vcc, 8, v6
	s_and_saveexec_b64 s[18:19], vcc
	s_cbranch_execz .LBB132_80
; %bb.77:                               ;   in Loop: Header=BB132_53 Depth=1
	v_mov_b32_e32 v7, v2
	v_lshl_add_u64 v[6:7], v[102:103], 0, v[6:7]
	v_cmp_gt_i64_e32 vcc, s[12:13], v[6:7]
	v_mov_b64_e32 v[4:5], 0
	s_and_saveexec_b64 s[28:29], vcc
	s_cbranch_execz .LBB132_79
; %bb.78:                               ;   in Loop: Header=BB132_53 Depth=1
	v_lshl_add_u64 v[4:5], v[6:7], 3, s[10:11]
	global_load_dwordx2 v[4:5], v[4:5], off
.LBB132_79:                             ;   in Loop: Header=BB132_53 Depth=1
	s_or_b64 exec, exec, s[28:29]
.LBB132_80:                             ;   in Loop: Header=BB132_53 Depth=1
	s_or_b64 exec, exec, s[18:19]
	v_lshl_add_u64 v[6:7], v[68:69], 0, v[66:67]
	v_lshl_add_u64 v[8:9], v[70:71], 0, v[66:67]
	global_load_dwordx2 v[6:7], v[6:7], off
	v_lshl_add_u64 v[10:11], v[38:39], 0, v[66:67]
	global_load_dwordx2 v[8:9], v[8:9], off
	;; [unrolled: 2-line block ×10, first 2 shown]
	v_lshl_add_u64 v[28:29], v[60:61], 0, v[66:67]
	v_lshl_add_u64 v[30:31], v[50:51], 0, v[66:67]
	;; [unrolled: 1-line block ×3, first 2 shown]
	global_load_dwordx2 v[34:35], v[26:27], off
	global_load_dwordx2 v[102:103], v[28:29], off
	;; [unrolled: 1-line block ×4, first 2 shown]
	v_lshl_add_u64 v[26:27], v[54:55], 0, v[66:67]
	v_lshl_add_u64 v[28:29], v[64:65], 0, v[66:67]
	global_load_dwordx2 v[30:31], v[26:27], off
	global_load_dwordx2 v[32:33], v[28:29], off
	s_waitcnt vmcnt(16)
	ds_bpermute_b32 v26, v109, v4
	ds_bpermute_b32 v27, v109, v5
	ds_bpermute_b32 v28, v109, v4 offset:4
	ds_bpermute_b32 v29, v109, v5 offset:4
	ds_bpermute_b32 v110, v109, v4 offset:8
	ds_bpermute_b32 v111, v109, v5 offset:8
	ds_bpermute_b32 v112, v109, v4 offset:12
	ds_bpermute_b32 v113, v109, v5 offset:12
	ds_bpermute_b32 v114, v109, v4 offset:16
	ds_bpermute_b32 v115, v109, v5 offset:16
	ds_bpermute_b32 v116, v109, v4 offset:20
	ds_bpermute_b32 v117, v109, v5 offset:20
	ds_bpermute_b32 v118, v109, v4 offset:24
	ds_bpermute_b32 v119, v109, v5 offset:24
	ds_bpermute_b32 v4, v109, v4 offset:28
	ds_bpermute_b32 v5, v109, v5 offset:28
	s_waitcnt vmcnt(14)
	v_mul_f64 v[6:7], v[6:7], v[8:9]
	s_waitcnt lgkmcnt(14)
	v_fmac_f64_e32 v[100:101], v[6:7], v[26:27]
	s_waitcnt vmcnt(12)
	v_mul_f64 v[8:9], v[10:11], v[12:13]
	s_waitcnt lgkmcnt(12)
	v_fmac_f64_e32 v[100:101], v[8:9], v[28:29]
	;; [unrolled: 4-line block ×8, first 2 shown]
	v_mov_b64_e32 v[104:105], v[100:101]
.LBB132_81:                             ;   in Loop: Header=BB132_53 Depth=1
	s_add_u32 s16, s16, s4
	s_addc_u32 s17, s17, 0
	v_mov_b64_e32 v[4:5], s[12:13]
	s_add_u32 s26, s26, s4
	v_cmp_ge_i64_e32 vcc, s[16:17], v[4:5]
	v_lshl_add_u64 v[68:69], v[68:69], 0, s[24:25]
	v_lshl_add_u64 v[70:71], v[70:71], 0, s[24:25]
	;; [unrolled: 1-line block ×31, first 2 shown]
	s_addc_u32 s27, 0, s27
	s_cbranch_vccnz .LBB132_83
; %bb.82:                               ;   in Loop: Header=BB132_53 Depth=1
	v_mov_b64_e32 v[100:101], v[104:105]
	s_branch .LBB132_53
.LBB132_83:
	s_mov_b32 s3, 0
	s_lshl_b64 s[2:3], s[2:3], 5
	v_and_b32_e32 v1, 0x3ff, v0
	v_or_b32_e32 v2, s2, v1
	v_mov_b32_e32 v3, s3
	s_waitcnt lgkmcnt(0)
	s_cmp_lg_u64 s[6:7], 0
	v_cmp_gt_i64_e32 vcc, s[14:15], v[2:3]
	s_cselect_b64 s[2:3], -1, 0
	s_and_b64 s[2:3], vcc, s[2:3]
	s_and_saveexec_b64 s[4:5], s[2:3]
	s_cbranch_execz .LBB132_85
; %bb.84:
	s_load_dword s0, s[0:1], 0x4c
	v_bfe_u32 v0, v0, 10, 10
	v_mov_b32_e32 v1, 0
	v_mov_b32_e32 v4, s8
	s_waitcnt lgkmcnt(0)
	s_lshr_b32 s0, s0, 16
	v_mad_u64_u32 v[0:1], s[0:1], s0, v4, v[0:1]
	v_mul_lo_u32 v4, v1, s14
	v_mul_lo_u32 v5, v0, s15
	v_mad_u64_u32 v[0:1], s[0:1], v0, s14, 0
	v_add3_u32 v1, v1, v5, v4
	v_lshl_add_u64 v[0:1], v[0:1], 3, s[6:7]
	v_lshl_add_u64 v[0:1], v[2:3], 3, v[0:1]
	global_store_dwordx2 v[0:1], v[104:105], off
.LBB132_85:
	s_endpgm
	.section	.rodata,"a",@progbits
	.p2align	6, 0x0
	.amdhsa_kernel _ZN2at6native12_GLOBAL__N_135GammaBetaBackwardCUDAKernelTemplateIddLj32ELj1ELj8ELb1ELb0ELb1EEEvllPKT_S5_PKT0_S8_PS3_S9_
		.amdhsa_group_segment_fixed_size 0
		.amdhsa_private_segment_fixed_size 0
		.amdhsa_kernarg_size 320
		.amdhsa_user_sgpr_count 2
		.amdhsa_user_sgpr_dispatch_ptr 0
		.amdhsa_user_sgpr_queue_ptr 0
		.amdhsa_user_sgpr_kernarg_segment_ptr 1
		.amdhsa_user_sgpr_dispatch_id 0
		.amdhsa_user_sgpr_kernarg_preload_length 0
		.amdhsa_user_sgpr_kernarg_preload_offset 0
		.amdhsa_user_sgpr_private_segment_size 0
		.amdhsa_uses_dynamic_stack 0
		.amdhsa_enable_private_segment 0
		.amdhsa_system_sgpr_workgroup_id_x 1
		.amdhsa_system_sgpr_workgroup_id_y 1
		.amdhsa_system_sgpr_workgroup_id_z 0
		.amdhsa_system_sgpr_workgroup_info 0
		.amdhsa_system_vgpr_workitem_id 1
		.amdhsa_next_free_vgpr 120
		.amdhsa_next_free_sgpr 38
		.amdhsa_accum_offset 120
		.amdhsa_reserve_vcc 1
		.amdhsa_float_round_mode_32 0
		.amdhsa_float_round_mode_16_64 0
		.amdhsa_float_denorm_mode_32 3
		.amdhsa_float_denorm_mode_16_64 3
		.amdhsa_dx10_clamp 1
		.amdhsa_ieee_mode 1
		.amdhsa_fp16_overflow 0
		.amdhsa_tg_split 0
		.amdhsa_exception_fp_ieee_invalid_op 0
		.amdhsa_exception_fp_denorm_src 0
		.amdhsa_exception_fp_ieee_div_zero 0
		.amdhsa_exception_fp_ieee_overflow 0
		.amdhsa_exception_fp_ieee_underflow 0
		.amdhsa_exception_fp_ieee_inexact 0
		.amdhsa_exception_int_div_zero 0
	.end_amdhsa_kernel
	.section	.text._ZN2at6native12_GLOBAL__N_135GammaBetaBackwardCUDAKernelTemplateIddLj32ELj1ELj8ELb1ELb0ELb1EEEvllPKT_S5_PKT0_S8_PS3_S9_,"axG",@progbits,_ZN2at6native12_GLOBAL__N_135GammaBetaBackwardCUDAKernelTemplateIddLj32ELj1ELj8ELb1ELb0ELb1EEEvllPKT_S5_PKT0_S8_PS3_S9_,comdat
.Lfunc_end132:
	.size	_ZN2at6native12_GLOBAL__N_135GammaBetaBackwardCUDAKernelTemplateIddLj32ELj1ELj8ELb1ELb0ELb1EEEvllPKT_S5_PKT0_S8_PS3_S9_, .Lfunc_end132-_ZN2at6native12_GLOBAL__N_135GammaBetaBackwardCUDAKernelTemplateIddLj32ELj1ELj8ELb1ELb0ELb1EEEvllPKT_S5_PKT0_S8_PS3_S9_
                                        ; -- End function
	.set _ZN2at6native12_GLOBAL__N_135GammaBetaBackwardCUDAKernelTemplateIddLj32ELj1ELj8ELb1ELb0ELb1EEEvllPKT_S5_PKT0_S8_PS3_S9_.num_vgpr, 120
	.set _ZN2at6native12_GLOBAL__N_135GammaBetaBackwardCUDAKernelTemplateIddLj32ELj1ELj8ELb1ELb0ELb1EEEvllPKT_S5_PKT0_S8_PS3_S9_.num_agpr, 0
	.set _ZN2at6native12_GLOBAL__N_135GammaBetaBackwardCUDAKernelTemplateIddLj32ELj1ELj8ELb1ELb0ELb1EEEvllPKT_S5_PKT0_S8_PS3_S9_.numbered_sgpr, 38
	.set _ZN2at6native12_GLOBAL__N_135GammaBetaBackwardCUDAKernelTemplateIddLj32ELj1ELj8ELb1ELb0ELb1EEEvllPKT_S5_PKT0_S8_PS3_S9_.num_named_barrier, 0
	.set _ZN2at6native12_GLOBAL__N_135GammaBetaBackwardCUDAKernelTemplateIddLj32ELj1ELj8ELb1ELb0ELb1EEEvllPKT_S5_PKT0_S8_PS3_S9_.private_seg_size, 0
	.set _ZN2at6native12_GLOBAL__N_135GammaBetaBackwardCUDAKernelTemplateIddLj32ELj1ELj8ELb1ELb0ELb1EEEvllPKT_S5_PKT0_S8_PS3_S9_.uses_vcc, 1
	.set _ZN2at6native12_GLOBAL__N_135GammaBetaBackwardCUDAKernelTemplateIddLj32ELj1ELj8ELb1ELb0ELb1EEEvllPKT_S5_PKT0_S8_PS3_S9_.uses_flat_scratch, 0
	.set _ZN2at6native12_GLOBAL__N_135GammaBetaBackwardCUDAKernelTemplateIddLj32ELj1ELj8ELb1ELb0ELb1EEEvllPKT_S5_PKT0_S8_PS3_S9_.has_dyn_sized_stack, 0
	.set _ZN2at6native12_GLOBAL__N_135GammaBetaBackwardCUDAKernelTemplateIddLj32ELj1ELj8ELb1ELb0ELb1EEEvllPKT_S5_PKT0_S8_PS3_S9_.has_recursion, 0
	.set _ZN2at6native12_GLOBAL__N_135GammaBetaBackwardCUDAKernelTemplateIddLj32ELj1ELj8ELb1ELb0ELb1EEEvllPKT_S5_PKT0_S8_PS3_S9_.has_indirect_call, 0
	.section	.AMDGPU.csdata,"",@progbits
; Kernel info:
; codeLenInByte = 6420
; TotalNumSgprs: 44
; NumVgprs: 120
; NumAgprs: 0
; TotalNumVgprs: 120
; ScratchSize: 0
; MemoryBound: 1
; FloatMode: 240
; IeeeMode: 1
; LDSByteSize: 0 bytes/workgroup (compile time only)
; SGPRBlocks: 5
; VGPRBlocks: 14
; NumSGPRsForWavesPerEU: 44
; NumVGPRsForWavesPerEU: 120
; AccumOffset: 120
; Occupancy: 4
; WaveLimiterHint : 0
; COMPUTE_PGM_RSRC2:SCRATCH_EN: 0
; COMPUTE_PGM_RSRC2:USER_SGPR: 2
; COMPUTE_PGM_RSRC2:TRAP_HANDLER: 0
; COMPUTE_PGM_RSRC2:TGID_X_EN: 1
; COMPUTE_PGM_RSRC2:TGID_Y_EN: 1
; COMPUTE_PGM_RSRC2:TGID_Z_EN: 0
; COMPUTE_PGM_RSRC2:TIDIG_COMP_CNT: 1
; COMPUTE_PGM_RSRC3_GFX90A:ACCUM_OFFSET: 29
; COMPUTE_PGM_RSRC3_GFX90A:TG_SPLIT: 0
	.section	.text._ZN2at6native12_GLOBAL__N_135GammaBetaBackwardCUDAKernelTemplateIddLj32ELj8ELj64ELb0ELb1ELb1EEEvllPKT_S5_PKT0_S8_PS3_S9_,"axG",@progbits,_ZN2at6native12_GLOBAL__N_135GammaBetaBackwardCUDAKernelTemplateIddLj32ELj8ELj64ELb0ELb1ELb1EEEvllPKT_S5_PKT0_S8_PS3_S9_,comdat
	.globl	_ZN2at6native12_GLOBAL__N_135GammaBetaBackwardCUDAKernelTemplateIddLj32ELj8ELj64ELb0ELb1ELb1EEEvllPKT_S5_PKT0_S8_PS3_S9_ ; -- Begin function _ZN2at6native12_GLOBAL__N_135GammaBetaBackwardCUDAKernelTemplateIddLj32ELj8ELj64ELb0ELb1ELb1EEEvllPKT_S5_PKT0_S8_PS3_S9_
	.p2align	8
	.type	_ZN2at6native12_GLOBAL__N_135GammaBetaBackwardCUDAKernelTemplateIddLj32ELj8ELj64ELb0ELb1ELb1EEEvllPKT_S5_PKT0_S8_PS3_S9_,@function
_ZN2at6native12_GLOBAL__N_135GammaBetaBackwardCUDAKernelTemplateIddLj32ELj8ELj64ELb0ELb1ELb1EEEvllPKT_S5_PKT0_S8_PS3_S9_: ; @_ZN2at6native12_GLOBAL__N_135GammaBetaBackwardCUDAKernelTemplateIddLj32ELj8ELj64ELb0ELb1ELb1EEEvllPKT_S5_PKT0_S8_PS3_S9_
; %bb.0:
	s_load_dwordx4 s[4:7], s[0:1], 0x0
	s_lshl_b32 s14, s3, 6
	s_mov_b32 s15, 0
	v_mov_b64_e32 v[2:3], s[14:15]
	v_bfe_u32 v14, v0, 10, 10
	s_waitcnt lgkmcnt(0)
	v_cmp_gt_i64_e32 vcc, s[4:5], v[2:3]
	s_cbranch_vccnz .LBB133_2
; %bb.1:
	s_mov_b64 s[8:9], 0
	v_bfe_u32 v2, v0, 10, 10
	s_branch .LBB133_3
.LBB133_2:
	s_mov_b64 s[8:9], -1
                                        ; implicit-def: $vgpr2
.LBB133_3:
	s_load_dwordx2 s[12:13], s[0:1], 0x30
	v_and_b32_e32 v12, 0x3ff, v0
	v_mov_b64_e32 v[0:1], 0
	s_andn2_b64 vcc, exec, s[8:9]
	v_mbcnt_lo_u32_b32 v13, -1, 0
	s_cbranch_vccnz .LBB133_11
; %bb.4:
	s_load_dword s3, s[0:1], 0x4c
	s_load_dword s16, s[0:1], 0x44
	s_load_dwordx2 s[18:19], s[0:1], 0x28
	s_load_dwordx4 s[8:11], s[0:1], 0x10
	v_lshlrev_b32_e32 v0, 3, v14
	s_waitcnt lgkmcnt(0)
	s_and_b32 s0, s3, 0xffff
	v_mad_u32_u24 v1, v14, s0, v12
	v_and_b32_e32 v2, 63, v1
	v_mov_b32_e32 v1, 0
	v_mov_b32_e32 v3, v1
	;; [unrolled: 1-line block ×3, first 2 shown]
	v_lshl_add_u64 v[0:1], v[0:1], 0, s[14:15]
	v_cmp_gt_u32_e64 s[0:1], 8, v2
	v_mbcnt_hi_u32_b32 v4, -1, v13
	s_lshl_b32 s16, s16, 6
	v_lshl_add_u64 v[2:3], v[0:1], 0, v[2:3]
	v_mul_lo_u32 v8, s7, v0
	v_mul_lo_u32 v9, s6, v1
	v_mad_u64_u32 v[0:1], s[20:21], s6, v0, 0
	v_lshl_add_u32 v6, s2, 5, v12
	v_lshlrev_b32_e32 v4, 2, v4
	s_mul_i32 s3, s7, s16
	s_mul_hi_u32 s20, s6, s16
	s_mov_b32 s17, 0
	v_and_b32_e32 v15, 0x100, v4
	v_add3_u32 v1, v1, v9, v8
	v_lshlrev_b64 v[6:7], 3, v[6:7]
	s_add_i32 s21, s20, s3
	s_mul_i32 s20, s6, s16
	v_or_b32_e32 v16, 4, v15
	v_or_b32_e32 v17, 8, v15
	;; [unrolled: 1-line block ×7, first 2 shown]
	v_lshl_add_u64 v[4:5], v[2:3], 3, s[18:19]
	s_lshl_b64 s[18:19], s[16:17], 3
	v_lshl_add_u64 v[6:7], v[0:1], 3, v[6:7]
	s_lshl_b64 s[20:21], s[20:21], 3
	s_lshl_b64 s[6:7], s[6:7], 3
	v_mov_b64_e32 v[0:1], 0
	v_mov_b64_e32 v[8:9], s[4:5]
	s_branch .LBB133_7
.LBB133_5:                              ;   in Loop: Header=BB133_7 Depth=1
	s_or_b64 exec, exec, s[24:25]
.LBB133_6:                              ;   in Loop: Header=BB133_7 Depth=1
	s_or_b64 exec, exec, s[22:23]
	v_lshl_add_u64 v[24:25], s[8:9], 0, v[6:7]
	v_lshl_add_u64 v[28:29], s[10:11], 0, v[6:7]
	global_load_dwordx2 v[26:27], v[24:25], off
	global_load_dwordx2 v[30:31], v[28:29], off
	v_lshl_add_u64 v[24:25], v[24:25], 0, s[6:7]
	v_lshl_add_u64 v[28:29], v[28:29], 0, s[6:7]
	global_load_dwordx2 v[32:33], v[24:25], off
	global_load_dwordx2 v[34:35], v[28:29], off
	;; [unrolled: 4-line block ×7, first 2 shown]
	v_lshl_add_u64 v[24:25], v[24:25], 0, s[6:7]
	v_lshl_add_u64 v[28:29], v[28:29], 0, s[6:7]
	global_load_dwordx2 v[24:25], v[24:25], off
	s_waitcnt vmcnt(15)
	ds_bpermute_b32 v56, v15, v10
	global_load_dwordx2 v[28:29], v[28:29], off
	ds_bpermute_b32 v57, v15, v11
	s_add_u32 s14, s14, s16
	s_addc_u32 s15, s15, 0
	v_cmp_lt_i64_e32 vcc, s[14:15], v[8:9]
	v_lshl_add_u64 v[4:5], v[4:5], 0, s[18:19]
	v_lshl_add_u64 v[2:3], v[2:3], 0, s[16:17]
	v_lshl_add_u64 v[6:7], v[6:7], 0, s[20:21]
	s_and_b64 vcc, exec, vcc
	s_waitcnt vmcnt(14)
	v_mul_f64 v[26:27], v[26:27], v[30:31]
	s_waitcnt lgkmcnt(0)
	v_fmac_f64_e32 v[0:1], v[26:27], v[56:57]
	ds_bpermute_b32 v26, v16, v10
	ds_bpermute_b32 v27, v16, v11
	s_waitcnt vmcnt(12)
	v_mul_f64 v[30:31], v[32:33], v[34:35]
	s_waitcnt lgkmcnt(0)
	v_fmac_f64_e32 v[0:1], v[30:31], v[26:27]
	ds_bpermute_b32 v26, v17, v10
	ds_bpermute_b32 v27, v17, v11
	;; [unrolled: 6-line block ×5, first 2 shown]
	s_waitcnt vmcnt(4)
	v_mul_f64 v[30:31], v[48:49], v[50:51]
	s_waitcnt vmcnt(0)
	v_mul_f64 v[24:25], v[24:25], v[28:29]
	s_waitcnt lgkmcnt(0)
	v_fmac_f64_e32 v[0:1], v[30:31], v[26:27]
	ds_bpermute_b32 v26, v21, v10
	ds_bpermute_b32 v27, v21, v11
	;; [unrolled: 1-line block ×4, first 2 shown]
	v_mul_f64 v[30:31], v[52:53], v[54:55]
	s_waitcnt lgkmcnt(2)
	v_fmac_f64_e32 v[0:1], v[30:31], v[26:27]
	s_waitcnt lgkmcnt(0)
	v_fmac_f64_e32 v[0:1], v[24:25], v[10:11]
	s_cbranch_vccz .LBB133_10
.LBB133_7:                              ; =>This Inner Loop Header: Depth=1
	v_mov_b64_e32 v[10:11], 0
	s_and_saveexec_b64 s[22:23], s[0:1]
	s_cbranch_execz .LBB133_6
; %bb.8:                                ;   in Loop: Header=BB133_7 Depth=1
	v_cmp_gt_i64_e32 vcc, s[4:5], v[2:3]
	v_mov_b64_e32 v[10:11], 0
	s_and_saveexec_b64 s[24:25], vcc
	s_cbranch_execz .LBB133_5
; %bb.9:                                ;   in Loop: Header=BB133_7 Depth=1
	global_load_dwordx2 v[10:11], v[4:5], off
	s_branch .LBB133_5
.LBB133_10:
	v_mov_b32_e32 v2, v14
.LBB133_11:
	v_mad_u32_u24 v3, v2, 33, v12
	v_lshl_add_u32 v4, v3, 3, 0
	ds_write_b64 v4, v[0:1]
	v_mov_b32_e32 v0, 0
	v_sub_u32_e32 v3, v3, v2
	s_movk_i32 s0, 0x800
	v_mov_b32_e32 v1, v0
	v_cmp_gt_u32_e32 vcc, s0, v3
	ds_write_b64 v4, v[0:1] offset:2112
	s_waitcnt lgkmcnt(0)
	s_barrier
	s_and_saveexec_b64 s[0:1], vcc
	s_cbranch_execz .LBB133_51
; %bb.12:
	v_lshrrev_b32_e32 v0, 6, v3
	v_and_b32_e32 v1, 63, v3
	v_cmp_gt_u32_e32 vcc, 8, v1
	v_mul_u32_u24_e32 v2, 33, v1
	v_lshlrev_b32_e32 v4, 3, v0
                                        ; implicit-def: $vgpr0_vgpr1
	s_and_saveexec_b64 s[0:1], vcc
; %bb.13:
	v_lshlrev_b32_e32 v0, 3, v2
	v_add3_u32 v0, 0, v4, v0
	ds_read_b64 v[0:1], v0
; %bb.14:
	s_or_b64 exec, exec, s[0:1]
	v_mbcnt_hi_u32_b32 v10, -1, v13
	v_and_b32_e32 v5, 64, v10
	v_add_u32_e32 v11, 64, v5
	v_xor_b32_e32 v5, 4, v10
	v_cmp_lt_i32_e64 s[0:1], v5, v11
	v_xor_b32_e32 v8, 2, v10
	s_cmp_lg_u64 s[12:13], 0
	v_cndmask_b32_e64 v5, v10, v5, s[0:1]
	v_lshlrev_b32_e32 v5, 2, v5
	s_waitcnt lgkmcnt(0)
	ds_bpermute_b32 v6, v5, v0
	ds_bpermute_b32 v7, v5, v1
	v_cmp_lt_i32_e64 s[0:1], v8, v11
	s_mov_b32 s3, 0
	s_cselect_b64 s[6:7], -1, 0
	s_waitcnt lgkmcnt(0)
	v_add_f64 v[0:1], v[0:1], v[6:7]
	v_cndmask_b32_e64 v6, v10, v8, s[0:1]
	v_lshlrev_b32_e32 v6, 2, v6
	ds_bpermute_b32 v8, v6, v0
	ds_bpermute_b32 v9, v6, v1
	v_xor_b32_e32 v7, 1, v10
	v_cmp_lt_i32_e64 s[4:5], v7, v11
	v_cmp_eq_u32_e64 s[0:1], 0, v12
	s_waitcnt lgkmcnt(0)
	v_add_f64 v[0:1], v[0:1], v[8:9]
	v_cndmask_b32_e64 v7, v10, v7, s[4:5]
	v_lshlrev_b32_e32 v7, 2, v7
	ds_bpermute_b32 v8, v7, v0
	ds_bpermute_b32 v9, v7, v1
	s_and_b64 s[4:5], s[0:1], s[6:7]
	s_lshl_b64 s[0:1], s[2:3], 8
	s_add_u32 s2, s12, s0
	s_addc_u32 s3, s13, s1
	s_waitcnt lgkmcnt(0)
	v_add_f64 v[0:1], v[0:1], v[8:9]
	s_and_saveexec_b64 s[0:1], s[4:5]
	s_cbranch_execz .LBB133_16
; %bb.15:
	global_store_dwordx2 v4, v[0:1], s[2:3]
.LBB133_16:
	s_or_b64 exec, exec, s[0:1]
	s_movk_i32 s0, 0x700
	v_cmp_gt_u32_e64 s[0:1], s0, v3
	s_and_b64 exec, exec, s[0:1]
	s_cbranch_execz .LBB133_51
; %bb.17:
	s_and_saveexec_b64 s[0:1], vcc
; %bb.18:
	v_lshlrev_b32_e32 v0, 3, v2
	v_add3_u32 v0, 0, v4, v0
	ds_read_b64 v[0:1], v0 offset:32
; %bb.19:
	s_or_b64 exec, exec, s[0:1]
	s_waitcnt lgkmcnt(0)
	ds_bpermute_b32 v8, v5, v0
	ds_bpermute_b32 v9, v5, v1
	s_waitcnt lgkmcnt(0)
	v_add_f64 v[0:1], v[0:1], v[8:9]
	ds_bpermute_b32 v8, v6, v0
	ds_bpermute_b32 v9, v6, v1
	s_waitcnt lgkmcnt(0)
	v_add_f64 v[0:1], v[0:1], v[8:9]
	ds_bpermute_b32 v8, v7, v0
	ds_bpermute_b32 v9, v7, v1
	s_waitcnt lgkmcnt(0)
	v_add_f64 v[0:1], v[0:1], v[8:9]
	s_and_saveexec_b64 s[0:1], s[4:5]
	s_cbranch_execz .LBB133_21
; %bb.20:
	global_store_dwordx2 v4, v[0:1], s[2:3] offset:32
.LBB133_21:
	s_or_b64 exec, exec, s[0:1]
	s_movk_i32 s0, 0x600
	v_cmp_gt_u32_e64 s[0:1], s0, v3
	s_and_b64 exec, exec, s[0:1]
	s_cbranch_execz .LBB133_51
; %bb.22:
	s_and_saveexec_b64 s[0:1], vcc
; %bb.23:
	v_lshlrev_b32_e32 v0, 3, v2
	v_add3_u32 v0, 0, v4, v0
	ds_read_b64 v[0:1], v0 offset:64
; %bb.24:
	s_or_b64 exec, exec, s[0:1]
	s_waitcnt lgkmcnt(0)
	ds_bpermute_b32 v8, v5, v0
	ds_bpermute_b32 v9, v5, v1
	s_waitcnt lgkmcnt(0)
	v_add_f64 v[0:1], v[0:1], v[8:9]
	ds_bpermute_b32 v8, v6, v0
	ds_bpermute_b32 v9, v6, v1
	s_waitcnt lgkmcnt(0)
	v_add_f64 v[0:1], v[0:1], v[8:9]
	ds_bpermute_b32 v8, v7, v0
	ds_bpermute_b32 v9, v7, v1
	s_waitcnt lgkmcnt(0)
	v_add_f64 v[0:1], v[0:1], v[8:9]
	s_and_saveexec_b64 s[0:1], s[4:5]
	s_cbranch_execz .LBB133_26
; %bb.25:
	global_store_dwordx2 v4, v[0:1], s[2:3] offset:64
.LBB133_26:
	;; [unrolled: 31-line block ×6, first 2 shown]
	s_or_b64 exec, exec, s[0:1]
	s_movk_i32 s0, 0x100
	v_cmp_gt_u32_e64 s[0:1], s0, v3
	s_and_b64 exec, exec, s[0:1]
	s_cbranch_execz .LBB133_51
; %bb.47:
	s_and_saveexec_b64 s[0:1], vcc
; %bb.48:
	v_lshlrev_b32_e32 v0, 3, v2
	v_add3_u32 v0, 0, v4, v0
	ds_read_b64 v[0:1], v0 offset:224
; %bb.49:
	s_or_b64 exec, exec, s[0:1]
	s_waitcnt lgkmcnt(0)
	ds_bpermute_b32 v2, v5, v0
	ds_bpermute_b32 v3, v5, v1
	s_waitcnt lgkmcnt(0)
	v_add_f64 v[0:1], v[0:1], v[2:3]
	ds_bpermute_b32 v2, v6, v0
	ds_bpermute_b32 v3, v6, v1
	s_waitcnt lgkmcnt(0)
	v_add_f64 v[0:1], v[0:1], v[2:3]
	ds_bpermute_b32 v2, v7, v0
	ds_bpermute_b32 v3, v7, v1
	s_and_saveexec_b64 s[0:1], s[4:5]
	s_xor_b64 s[0:1], exec, s[0:1]
	s_cbranch_execz .LBB133_51
; %bb.50:
	s_waitcnt lgkmcnt(0)
	v_add_f64 v[0:1], v[0:1], v[2:3]
	global_store_dwordx2 v4, v[0:1], s[2:3] offset:224
.LBB133_51:
	s_endpgm
	.section	.rodata,"a",@progbits
	.p2align	6, 0x0
	.amdhsa_kernel _ZN2at6native12_GLOBAL__N_135GammaBetaBackwardCUDAKernelTemplateIddLj32ELj8ELj64ELb0ELb1ELb1EEEvllPKT_S5_PKT0_S8_PS3_S9_
		.amdhsa_group_segment_fixed_size 0
		.amdhsa_private_segment_fixed_size 0
		.amdhsa_kernarg_size 320
		.amdhsa_user_sgpr_count 2
		.amdhsa_user_sgpr_dispatch_ptr 0
		.amdhsa_user_sgpr_queue_ptr 0
		.amdhsa_user_sgpr_kernarg_segment_ptr 1
		.amdhsa_user_sgpr_dispatch_id 0
		.amdhsa_user_sgpr_kernarg_preload_length 0
		.amdhsa_user_sgpr_kernarg_preload_offset 0
		.amdhsa_user_sgpr_private_segment_size 0
		.amdhsa_uses_dynamic_stack 0
		.amdhsa_enable_private_segment 0
		.amdhsa_system_sgpr_workgroup_id_x 1
		.amdhsa_system_sgpr_workgroup_id_y 1
		.amdhsa_system_sgpr_workgroup_id_z 0
		.amdhsa_system_sgpr_workgroup_info 0
		.amdhsa_system_vgpr_workitem_id 1
		.amdhsa_next_free_vgpr 58
		.amdhsa_next_free_sgpr 26
		.amdhsa_accum_offset 60
		.amdhsa_reserve_vcc 1
		.amdhsa_float_round_mode_32 0
		.amdhsa_float_round_mode_16_64 0
		.amdhsa_float_denorm_mode_32 3
		.amdhsa_float_denorm_mode_16_64 3
		.amdhsa_dx10_clamp 1
		.amdhsa_ieee_mode 1
		.amdhsa_fp16_overflow 0
		.amdhsa_tg_split 0
		.amdhsa_exception_fp_ieee_invalid_op 0
		.amdhsa_exception_fp_denorm_src 0
		.amdhsa_exception_fp_ieee_div_zero 0
		.amdhsa_exception_fp_ieee_overflow 0
		.amdhsa_exception_fp_ieee_underflow 0
		.amdhsa_exception_fp_ieee_inexact 0
		.amdhsa_exception_int_div_zero 0
	.end_amdhsa_kernel
	.section	.text._ZN2at6native12_GLOBAL__N_135GammaBetaBackwardCUDAKernelTemplateIddLj32ELj8ELj64ELb0ELb1ELb1EEEvllPKT_S5_PKT0_S8_PS3_S9_,"axG",@progbits,_ZN2at6native12_GLOBAL__N_135GammaBetaBackwardCUDAKernelTemplateIddLj32ELj8ELj64ELb0ELb1ELb1EEEvllPKT_S5_PKT0_S8_PS3_S9_,comdat
.Lfunc_end133:
	.size	_ZN2at6native12_GLOBAL__N_135GammaBetaBackwardCUDAKernelTemplateIddLj32ELj8ELj64ELb0ELb1ELb1EEEvllPKT_S5_PKT0_S8_PS3_S9_, .Lfunc_end133-_ZN2at6native12_GLOBAL__N_135GammaBetaBackwardCUDAKernelTemplateIddLj32ELj8ELj64ELb0ELb1ELb1EEEvllPKT_S5_PKT0_S8_PS3_S9_
                                        ; -- End function
	.set _ZN2at6native12_GLOBAL__N_135GammaBetaBackwardCUDAKernelTemplateIddLj32ELj8ELj64ELb0ELb1ELb1EEEvllPKT_S5_PKT0_S8_PS3_S9_.num_vgpr, 58
	.set _ZN2at6native12_GLOBAL__N_135GammaBetaBackwardCUDAKernelTemplateIddLj32ELj8ELj64ELb0ELb1ELb1EEEvllPKT_S5_PKT0_S8_PS3_S9_.num_agpr, 0
	.set _ZN2at6native12_GLOBAL__N_135GammaBetaBackwardCUDAKernelTemplateIddLj32ELj8ELj64ELb0ELb1ELb1EEEvllPKT_S5_PKT0_S8_PS3_S9_.numbered_sgpr, 26
	.set _ZN2at6native12_GLOBAL__N_135GammaBetaBackwardCUDAKernelTemplateIddLj32ELj8ELj64ELb0ELb1ELb1EEEvllPKT_S5_PKT0_S8_PS3_S9_.num_named_barrier, 0
	.set _ZN2at6native12_GLOBAL__N_135GammaBetaBackwardCUDAKernelTemplateIddLj32ELj8ELj64ELb0ELb1ELb1EEEvllPKT_S5_PKT0_S8_PS3_S9_.private_seg_size, 0
	.set _ZN2at6native12_GLOBAL__N_135GammaBetaBackwardCUDAKernelTemplateIddLj32ELj8ELj64ELb0ELb1ELb1EEEvllPKT_S5_PKT0_S8_PS3_S9_.uses_vcc, 1
	.set _ZN2at6native12_GLOBAL__N_135GammaBetaBackwardCUDAKernelTemplateIddLj32ELj8ELj64ELb0ELb1ELb1EEEvllPKT_S5_PKT0_S8_PS3_S9_.uses_flat_scratch, 0
	.set _ZN2at6native12_GLOBAL__N_135GammaBetaBackwardCUDAKernelTemplateIddLj32ELj8ELj64ELb0ELb1ELb1EEEvllPKT_S5_PKT0_S8_PS3_S9_.has_dyn_sized_stack, 0
	.set _ZN2at6native12_GLOBAL__N_135GammaBetaBackwardCUDAKernelTemplateIddLj32ELj8ELj64ELb0ELb1ELb1EEEvllPKT_S5_PKT0_S8_PS3_S9_.has_recursion, 0
	.set _ZN2at6native12_GLOBAL__N_135GammaBetaBackwardCUDAKernelTemplateIddLj32ELj8ELj64ELb0ELb1ELb1EEEvllPKT_S5_PKT0_S8_PS3_S9_.has_indirect_call, 0
	.section	.AMDGPU.csdata,"",@progbits
; Kernel info:
; codeLenInByte = 2436
; TotalNumSgprs: 32
; NumVgprs: 58
; NumAgprs: 0
; TotalNumVgprs: 58
; ScratchSize: 0
; MemoryBound: 0
; FloatMode: 240
; IeeeMode: 1
; LDSByteSize: 0 bytes/workgroup (compile time only)
; SGPRBlocks: 3
; VGPRBlocks: 7
; NumSGPRsForWavesPerEU: 32
; NumVGPRsForWavesPerEU: 58
; AccumOffset: 60
; Occupancy: 8
; WaveLimiterHint : 0
; COMPUTE_PGM_RSRC2:SCRATCH_EN: 0
; COMPUTE_PGM_RSRC2:USER_SGPR: 2
; COMPUTE_PGM_RSRC2:TRAP_HANDLER: 0
; COMPUTE_PGM_RSRC2:TGID_X_EN: 1
; COMPUTE_PGM_RSRC2:TGID_Y_EN: 1
; COMPUTE_PGM_RSRC2:TGID_Z_EN: 0
; COMPUTE_PGM_RSRC2:TIDIG_COMP_CNT: 1
; COMPUTE_PGM_RSRC3_GFX90A:ACCUM_OFFSET: 14
; COMPUTE_PGM_RSRC3_GFX90A:TG_SPLIT: 0
	.section	.text._ZN2at6native12_GLOBAL__N_135GammaBetaBackwardCUDAKernelTemplateIddLj32ELj8ELj64ELb0ELb0ELb1EEEvllPKT_S5_PKT0_S8_PS3_S9_,"axG",@progbits,_ZN2at6native12_GLOBAL__N_135GammaBetaBackwardCUDAKernelTemplateIddLj32ELj8ELj64ELb0ELb0ELb1EEEvllPKT_S5_PKT0_S8_PS3_S9_,comdat
	.globl	_ZN2at6native12_GLOBAL__N_135GammaBetaBackwardCUDAKernelTemplateIddLj32ELj8ELj64ELb0ELb0ELb1EEEvllPKT_S5_PKT0_S8_PS3_S9_ ; -- Begin function _ZN2at6native12_GLOBAL__N_135GammaBetaBackwardCUDAKernelTemplateIddLj32ELj8ELj64ELb0ELb0ELb1EEEvllPKT_S5_PKT0_S8_PS3_S9_
	.p2align	8
	.type	_ZN2at6native12_GLOBAL__N_135GammaBetaBackwardCUDAKernelTemplateIddLj32ELj8ELj64ELb0ELb0ELb1EEEvllPKT_S5_PKT0_S8_PS3_S9_,@function
_ZN2at6native12_GLOBAL__N_135GammaBetaBackwardCUDAKernelTemplateIddLj32ELj8ELj64ELb0ELb0ELb1EEEvllPKT_S5_PKT0_S8_PS3_S9_: ; @_ZN2at6native12_GLOBAL__N_135GammaBetaBackwardCUDAKernelTemplateIddLj32ELj8ELj64ELb0ELb0ELb1EEEvllPKT_S5_PKT0_S8_PS3_S9_
; %bb.0:
	s_load_dwordx8 s[8:15], s[0:1], 0x0
	s_load_dwordx2 s[16:17], s[0:1], 0x28
	s_lshl_b32 s33, s2, 5
	s_or_b32 s4, s33, 31
	s_mov_b32 s19, 0
	v_mov_b32_e32 v2, s4
	v_mov_b32_e32 v3, 0
	s_lshl_b32 s18, s3, 6
	s_waitcnt lgkmcnt(0)
	v_cmp_le_i64_e32 vcc, s[10:11], v[2:3]
	v_mov_b64_e32 v[2:3], s[18:19]
	v_cmp_gt_i64_e64 s[4:5], s[8:9], v[2:3]
	s_nop 1
	v_cndmask_b32_e64 v1, 0, 1, s[4:5]
	v_cmp_ne_u32_e64 s[4:5], 1, v1
	s_cbranch_vccz .LBB134_49
; %bb.1:
	s_and_b64 vcc, exec, s[4:5]
	v_mov_b64_e32 v[104:105], 0
	s_cbranch_vccnz .LBB134_50
; %bb.2:
	v_and_b32_e32 v1, 0x3ff, v0
	v_mov_b32_e32 v2, 0
	v_bfe_u32 v78, v0, 10, 10
	v_add_u32_e32 v4, s33, v1
	v_mov_b32_e32 v5, v2
	v_lshlrev_b32_e32 v36, 3, v78
	v_mov_b32_e32 v37, v2
	v_cmp_gt_i64_e64 s[6:7], s[10:11], v[4:5]
	v_lshlrev_b64 v[38:39], 3, v[4:5]
	v_lshl_add_u64 v[4:5], v[36:37], 0, s[18:19]
	v_mul_lo_u32 v3, s11, v4
	v_mul_lo_u32 v8, s10, v5
	v_mad_u64_u32 v[6:7], s[22:23], s10, v4, 0
	v_add3_u32 v7, v7, v8, v3
	v_lshlrev_b64 v[6:7], 3, v[6:7]
	v_lshl_add_u64 v[40:41], s[12:13], 0, v[6:7]
	v_lshl_add_u64 v[42:43], s[14:15], 0, v[6:7]
	v_lshl_add_u64 v[6:7], v[4:5], 0, 7
	v_mul_lo_u32 v9, s11, v6
	v_mul_lo_u32 v10, s10, v7
	v_mad_u64_u32 v[6:7], s[24:25], s10, v6, 0
	v_add3_u32 v7, v7, v10, v9
	v_lshlrev_b64 v[6:7], 3, v[6:7]
	v_lshl_add_u64 v[44:45], s[12:13], 0, v[6:7]
	v_lshl_add_u64 v[46:47], s[14:15], 0, v[6:7]
	;; [unrolled: 8-line block ×5, first 2 shown]
	v_lshl_add_u64 v[6:7], v[4:5], 0, 3
	v_mul_lo_u32 v9, s11, v6
	v_mul_lo_u32 v10, s10, v7
	v_mad_u64_u32 v[6:7], s[24:25], s10, v6, 0
	v_add3_u32 v7, v7, v10, v9
	s_load_dword s3, s[0:1], 0x44
	v_lshlrev_b64 v[6:7], 3, v[6:7]
	v_lshl_add_u64 v[60:61], s[12:13], 0, v[6:7]
	v_lshl_add_u64 v[62:63], s[14:15], 0, v[6:7]
	;; [unrolled: 1-line block ×3, first 2 shown]
	v_mul_lo_u32 v5, s11, v6
	v_mul_lo_u32 v9, s10, v7
	v_mad_u64_u32 v[6:7], s[24:25], s10, v6, 0
	v_add3_u32 v7, v7, v9, v5
	s_add_u32 s20, s0, 64
	v_lshlrev_b64 v[6:7], 3, v[6:7]
	s_addc_u32 s21, s1, 0
	s_waitcnt lgkmcnt(0)
	s_lshl_b32 s3, s3, 6
	v_lshl_add_u64 v[64:65], s[12:13], 0, v[6:7]
	v_lshl_add_u64 v[66:67], s[14:15], 0, v[6:7]
	v_mov_b64_e32 v[6:7], s[10:11]
	s_mul_i32 s22, s11, s3
	s_mul_hi_u32 s23, s10, s3
	v_mad_u64_u32 v[4:5], s[24:25], s10, v4, v[6:7]
	s_add_i32 s23, s23, s22
	s_mul_i32 s22, s10, s3
	v_add3_u32 v5, v3, v5, v8
	v_mbcnt_lo_u32_b32 v3, -1, 0
	s_lshl_b64 s[22:23], s[22:23], 3
	v_mbcnt_hi_u32_b32 v3, -1, v3
	v_lshlrev_b64 v[4:5], 3, v[4:5]
	s_add_u32 s24, s18, 63
	s_movk_i32 s26, 0xffc1
	s_movk_i32 s28, 0xffc2
	;; [unrolled: 1-line block ×8, first 2 shown]
	v_lshlrev_b32_e32 v3, 2, v3
	v_lshl_add_u64 v[68:69], s[12:13], 0, v[4:5]
	v_lshl_add_u64 v[70:71], s[14:15], 0, v[4:5]
	s_addc_u32 s25, 0, 0
	v_mov_b64_e32 v[72:73], 0
	s_mov_b32 s27, -1
	s_mov_b32 s29, -1
	;; [unrolled: 1-line block ×8, first 2 shown]
	v_and_b32_e32 v79, 0x100, v3
	s_mov_b64 s[44:45], s[18:19]
.LBB134_3:                              ; =>This Inner Loop Header: Depth=1
	v_mov_b64_e32 v[4:5], s[8:9]
	v_cmp_ge_i64_e32 vcc, s[24:25], v[4:5]
	v_lshl_add_u64 v[74:75], v[36:37], 0, s[24:25]
	s_mov_b64 s[46:47], -1
	s_and_b64 vcc, exec, vcc
                                        ; implicit-def: $vgpr4_vgpr5_vgpr6_vgpr7_vgpr8_vgpr9_vgpr10_vgpr11_vgpr12_vgpr13_vgpr14_vgpr15_vgpr16_vgpr17_vgpr18_vgpr19
                                        ; implicit-def: $vgpr104_vgpr105
                                        ; implicit-def: $vgpr20_vgpr21_vgpr22_vgpr23_vgpr24_vgpr25_vgpr26_vgpr27_vgpr28_vgpr29_vgpr30_vgpr31_vgpr32_vgpr33_vgpr34_vgpr35
                                        ; implicit-def: $vgpr4
	s_cbranch_vccz .LBB134_25
; %bb.4:                                ;   in Loop: Header=BB134_3 Depth=1
	s_load_dword s46, s[20:21], 0xc
	v_mov_b64_e32 v[76:77], 0
	s_waitcnt lgkmcnt(0)
	s_and_b32 s46, s46, 0xffff
	v_mad_u32_u24 v3, v78, s46, v1
	v_and_b32_e32 v4, 63, v3
	v_cmp_gt_u32_e32 vcc, 8, v4
	s_and_saveexec_b64 s[46:47], vcc
	s_cbranch_execz .LBB134_8
; %bb.5:                                ;   in Loop: Header=BB134_3 Depth=1
	v_mov_b32_e32 v5, v2
	v_lshl_add_u64 v[4:5], v[74:75], 0, v[4:5]
	v_lshl_add_u64 v[4:5], v[4:5], 0, s[26:27]
	v_cmp_gt_i64_e32 vcc, s[8:9], v[4:5]
	v_mov_b64_e32 v[76:77], 0
	s_and_saveexec_b64 s[48:49], vcc
	s_cbranch_execz .LBB134_7
; %bb.6:                                ;   in Loop: Header=BB134_3 Depth=1
	v_lshl_add_u64 v[4:5], v[4:5], 3, s[16:17]
	global_load_dwordx2 v[76:77], v[4:5], off
.LBB134_7:                              ;   in Loop: Header=BB134_3 Depth=1
	s_or_b64 exec, exec, s[48:49]
.LBB134_8:                              ;   in Loop: Header=BB134_3 Depth=1
	s_or_b64 exec, exec, s[46:47]
	v_lshl_add_u64 v[4:5], v[74:75], 0, s[26:27]
	v_mov_b32_e32 v16, v2
	v_mov_b32_e32 v17, v2
	v_cmp_gt_i64_e32 vcc, s[8:9], v[4:5]
	v_mov_b32_e32 v3, v2
	v_mov_b32_e32 v4, v2
	v_mov_b32_e32 v5, v2
	v_mov_b32_e32 v6, v2
	v_mov_b32_e32 v7, v2
	v_mov_b32_e32 v8, v2
	v_mov_b32_e32 v9, v2
	v_mov_b32_e32 v10, v2
	v_mov_b32_e32 v11, v2
	v_mov_b32_e32 v12, v2
	v_mov_b32_e32 v13, v2
	v_mov_b32_e32 v14, v2
	v_mov_b32_e32 v15, v2
	v_mov_b64_e32 v[34:35], v[16:17]
	v_mov_b64_e32 v[32:33], v[14:15]
	;; [unrolled: 1-line block ×9, first 2 shown]
	s_and_b64 s[48:49], s[6:7], vcc
	v_mov_b64_e32 v[16:17], v[14:15]
	v_mov_b64_e32 v[14:15], v[12:13]
	v_mov_b64_e32 v[12:13], v[10:11]
	v_mov_b64_e32 v[10:11], v[8:9]
	v_mov_b64_e32 v[8:9], v[6:7]
	v_mov_b64_e32 v[6:7], v[4:5]
	v_mov_b64_e32 v[4:5], v[2:3]
	s_and_saveexec_b64 s[46:47], s[48:49]
	s_cbranch_execz .LBB134_10
; %bb.9:                                ;   in Loop: Header=BB134_3 Depth=1
	v_lshl_add_u64 v[4:5], v[40:41], 0, v[38:39]
	v_lshl_add_u64 v[6:7], v[42:43], 0, v[38:39]
	global_load_dwordx2 v[4:5], v[4:5], off
	v_mov_b32_e32 v8, v2
	global_load_dwordx2 v[20:21], v[6:7], off
	v_mov_b32_e32 v6, v2
	v_mov_b32_e32 v7, v2
	;; [unrolled: 1-line block ×27, first 2 shown]
.LBB134_10:                             ;   in Loop: Header=BB134_3 Depth=1
	s_or_b64 exec, exec, s[46:47]
	v_lshl_add_u64 v[80:81], v[74:75], 0, s[28:29]
	v_cmp_gt_i64_e32 vcc, s[8:9], v[80:81]
	s_and_b64 s[48:49], s[6:7], vcc
	s_and_saveexec_b64 s[46:47], s[48:49]
	s_cbranch_execz .LBB134_12
; %bb.11:                               ;   in Loop: Header=BB134_3 Depth=1
	v_lshl_add_u64 v[6:7], v[68:69], 0, v[38:39]
	v_lshl_add_u64 v[22:23], v[70:71], 0, v[38:39]
	global_load_dwordx2 v[6:7], v[6:7], off
	s_nop 0
	global_load_dwordx2 v[22:23], v[22:23], off
.LBB134_12:                             ;   in Loop: Header=BB134_3 Depth=1
	s_or_b64 exec, exec, s[46:47]
	v_lshl_add_u64 v[80:81], v[74:75], 0, s[30:31]
	v_cmp_gt_i64_e32 vcc, s[8:9], v[80:81]
	s_and_b64 s[48:49], s[6:7], vcc
	s_and_saveexec_b64 s[46:47], s[48:49]
	s_cbranch_execz .LBB134_14
; %bb.13:                               ;   in Loop: Header=BB134_3 Depth=1
	v_lshl_add_u64 v[8:9], v[64:65], 0, v[38:39]
	v_lshl_add_u64 v[24:25], v[66:67], 0, v[38:39]
	global_load_dwordx2 v[8:9], v[8:9], off
	s_nop 0
	global_load_dwordx2 v[24:25], v[24:25], off
.LBB134_14:                             ;   in Loop: Header=BB134_3 Depth=1
	;; [unrolled: 13-line block ×7, first 2 shown]
	s_or_b64 exec, exec, s[46:47]
	s_waitcnt vmcnt(0)
	ds_bpermute_b32 v80, v79, v76
	ds_bpermute_b32 v81, v79, v77
	ds_bpermute_b32 v82, v79, v76 offset:4
	ds_bpermute_b32 v83, v79, v77 offset:4
	v_mul_f64 v[4:5], v[20:21], v[4:5]
	ds_bpermute_b32 v20, v79, v76 offset:16
	s_waitcnt lgkmcnt(3)
	v_fma_f64 v[104:105], v[4:5], v[80:81], v[72:73]
	v_mul_f64 v[4:5], v[22:23], v[6:7]
	s_waitcnt lgkmcnt(1)
	v_fmac_f64_e32 v[104:105], v[4:5], v[82:83]
	ds_bpermute_b32 v4, v79, v76 offset:8
	ds_bpermute_b32 v5, v79, v77 offset:8
	v_mul_f64 v[6:7], v[24:25], v[8:9]
	ds_bpermute_b32 v8, v79, v76 offset:12
	ds_bpermute_b32 v9, v79, v77 offset:12
	;; [unrolled: 1-line block ×3, first 2 shown]
	s_waitcnt lgkmcnt(3)
	v_fmac_f64_e32 v[104:105], v[6:7], v[4:5]
	v_mul_f64 v[4:5], v[26:27], v[10:11]
	ds_bpermute_b32 v6, v79, v76 offset:20
	ds_bpermute_b32 v7, v79, v77 offset:20
	s_waitcnt lgkmcnt(3)
	v_fmac_f64_e32 v[104:105], v[4:5], v[8:9]
	v_mul_f64 v[4:5], v[28:29], v[12:13]
	ds_bpermute_b32 v10, v79, v76 offset:24
	ds_bpermute_b32 v11, v79, v77 offset:24
	s_waitcnt lgkmcnt(4)
	v_fmac_f64_e32 v[104:105], v[4:5], v[20:21]
	ds_bpermute_b32 v4, v79, v76 offset:28
	ds_bpermute_b32 v5, v79, v77 offset:28
	v_mul_f64 v[8:9], v[30:31], v[14:15]
	s_waitcnt lgkmcnt(4)
	v_fmac_f64_e32 v[104:105], v[8:9], v[6:7]
	v_mul_f64 v[6:7], v[32:33], v[16:17]
	s_waitcnt lgkmcnt(2)
	v_fmac_f64_e32 v[104:105], v[6:7], v[10:11]
	s_mov_b64 s[46:47], 0
.LBB134_25:                             ;   in Loop: Header=BB134_3 Depth=1
	s_and_b64 vcc, exec, s[46:47]
	s_cbranch_vccz .LBB134_40
; %bb.26:                               ;   in Loop: Header=BB134_3 Depth=1
	s_load_dword s46, s[20:21], 0x0
	v_mov_b64_e32 v[76:77], 0
	s_waitcnt lgkmcnt(0)
	s_cmp_lt_u32 s2, s46
	s_cselect_b32 s46, 12, 18
	s_add_u32 s46, s20, s46
	s_addc_u32 s47, s21, 0
	global_load_ushort v3, v2, s[46:47]
	s_waitcnt vmcnt(0)
	v_mad_u32_u24 v3, v78, v3, v1
	v_and_b32_e32 v4, 63, v3
	v_cmp_gt_u32_e32 vcc, 8, v4
	s_and_saveexec_b64 s[46:47], vcc
	s_cbranch_execz .LBB134_30
; %bb.27:                               ;   in Loop: Header=BB134_3 Depth=1
	v_mov_b32_e32 v5, v2
	v_lshl_add_u64 v[4:5], v[74:75], 0, v[4:5]
	v_lshl_add_u64 v[4:5], v[4:5], 0, s[26:27]
	v_cmp_gt_i64_e32 vcc, s[8:9], v[4:5]
	v_mov_b64_e32 v[76:77], 0
	s_and_saveexec_b64 s[48:49], vcc
	s_cbranch_execz .LBB134_29
; %bb.28:                               ;   in Loop: Header=BB134_3 Depth=1
	v_lshl_add_u64 v[4:5], v[4:5], 3, s[16:17]
	global_load_dwordx2 v[76:77], v[4:5], off
.LBB134_29:                             ;   in Loop: Header=BB134_3 Depth=1
	s_or_b64 exec, exec, s[48:49]
.LBB134_30:                             ;   in Loop: Header=BB134_3 Depth=1
	s_or_b64 exec, exec, s[46:47]
	v_mov_b32_e32 v16, v2
	v_mov_b32_e32 v17, v2
	;; [unrolled: 1-line block ×15, first 2 shown]
	v_mov_b64_e32 v[34:35], v[16:17]
	v_mov_b64_e32 v[32:33], v[14:15]
	;; [unrolled: 1-line block ×16, first 2 shown]
	s_and_saveexec_b64 s[46:47], s[6:7]
	s_cbranch_execnz .LBB134_42
; %bb.31:                               ;   in Loop: Header=BB134_3 Depth=1
	s_or_b64 exec, exec, s[46:47]
	s_and_saveexec_b64 s[46:47], s[6:7]
	s_cbranch_execnz .LBB134_43
.LBB134_32:                             ;   in Loop: Header=BB134_3 Depth=1
	s_or_b64 exec, exec, s[46:47]
	s_and_saveexec_b64 s[46:47], s[6:7]
	s_cbranch_execnz .LBB134_44
.LBB134_33:                             ;   in Loop: Header=BB134_3 Depth=1
	s_or_b64 exec, exec, s[46:47]
	s_and_saveexec_b64 s[46:47], s[6:7]
	s_cbranch_execnz .LBB134_45
.LBB134_34:                             ;   in Loop: Header=BB134_3 Depth=1
	s_or_b64 exec, exec, s[46:47]
	s_and_saveexec_b64 s[46:47], s[6:7]
	s_cbranch_execnz .LBB134_46
.LBB134_35:                             ;   in Loop: Header=BB134_3 Depth=1
	s_or_b64 exec, exec, s[46:47]
	s_and_saveexec_b64 s[46:47], s[6:7]
	s_cbranch_execnz .LBB134_47
.LBB134_36:                             ;   in Loop: Header=BB134_3 Depth=1
	s_or_b64 exec, exec, s[46:47]
	s_and_saveexec_b64 s[46:47], s[6:7]
	s_cbranch_execnz .LBB134_48
.LBB134_37:                             ;   in Loop: Header=BB134_3 Depth=1
	s_or_b64 exec, exec, s[46:47]
	s_and_saveexec_b64 s[46:47], s[6:7]
	s_cbranch_execz .LBB134_39
.LBB134_38:                             ;   in Loop: Header=BB134_3 Depth=1
	v_lshl_add_u64 v[18:19], v[44:45], 0, v[38:39]
	v_lshl_add_u64 v[34:35], v[46:47], 0, v[38:39]
	global_load_dwordx2 v[18:19], v[18:19], off
	s_nop 0
	global_load_dwordx2 v[34:35], v[34:35], off
.LBB134_39:                             ;   in Loop: Header=BB134_3 Depth=1
	s_or_b64 exec, exec, s[46:47]
	s_waitcnt vmcnt(0)
	ds_bpermute_b32 v74, v79, v76
	ds_bpermute_b32 v75, v79, v77
	ds_bpermute_b32 v80, v79, v76 offset:4
	ds_bpermute_b32 v81, v79, v77 offset:4
	v_mul_f64 v[4:5], v[20:21], v[4:5]
	ds_bpermute_b32 v20, v79, v76 offset:16
	s_waitcnt lgkmcnt(3)
	v_fmac_f64_e32 v[72:73], v[4:5], v[74:75]
	v_mul_f64 v[4:5], v[22:23], v[6:7]
	s_waitcnt lgkmcnt(1)
	v_fmac_f64_e32 v[72:73], v[4:5], v[80:81]
	ds_bpermute_b32 v4, v79, v76 offset:8
	ds_bpermute_b32 v5, v79, v77 offset:8
	v_mul_f64 v[6:7], v[24:25], v[8:9]
	ds_bpermute_b32 v8, v79, v76 offset:12
	ds_bpermute_b32 v9, v79, v77 offset:12
	;; [unrolled: 1-line block ×3, first 2 shown]
	s_waitcnt lgkmcnt(3)
	v_fmac_f64_e32 v[72:73], v[6:7], v[4:5]
	ds_bpermute_b32 v6, v79, v76 offset:20
	ds_bpermute_b32 v7, v79, v77 offset:20
	v_mul_f64 v[4:5], v[26:27], v[10:11]
	ds_bpermute_b32 v10, v79, v76 offset:24
	ds_bpermute_b32 v11, v79, v77 offset:24
	s_waitcnt lgkmcnt(5)
	v_fmac_f64_e32 v[72:73], v[4:5], v[8:9]
	v_mul_f64 v[4:5], v[28:29], v[12:13]
	s_waitcnt lgkmcnt(4)
	v_fmac_f64_e32 v[72:73], v[4:5], v[20:21]
	ds_bpermute_b32 v4, v79, v76 offset:28
	ds_bpermute_b32 v5, v79, v77 offset:28
	v_mul_f64 v[8:9], v[30:31], v[14:15]
	s_waitcnt lgkmcnt(4)
	v_fmac_f64_e32 v[72:73], v[8:9], v[6:7]
	v_mul_f64 v[6:7], v[32:33], v[16:17]
	s_waitcnt lgkmcnt(2)
	v_fmac_f64_e32 v[72:73], v[6:7], v[10:11]
	v_mov_b64_e32 v[104:105], v[72:73]
.LBB134_40:                             ;   in Loop: Header=BB134_3 Depth=1
	v_mul_f64 v[6:7], v[18:19], v[34:35]
	s_add_u32 s44, s44, s3
	s_waitcnt lgkmcnt(0)
	v_fmac_f64_e32 v[104:105], v[6:7], v[4:5]
	s_addc_u32 s45, s45, 0
	v_mov_b64_e32 v[4:5], s[8:9]
	s_add_u32 s24, s24, s3
	v_cmp_lt_i64_e32 vcc, s[44:45], v[4:5]
	v_lshl_add_u64 v[40:41], v[40:41], 0, s[22:23]
	v_lshl_add_u64 v[42:43], v[42:43], 0, s[22:23]
	;; [unrolled: 1-line block ×16, first 2 shown]
	s_addc_u32 s25, s25, 0
	s_cbranch_vccz .LBB134_50
; %bb.41:                               ;   in Loop: Header=BB134_3 Depth=1
	v_mov_b64_e32 v[72:73], v[104:105]
	s_branch .LBB134_3
.LBB134_42:                             ;   in Loop: Header=BB134_3 Depth=1
	v_lshl_add_u64 v[4:5], v[40:41], 0, v[38:39]
	v_lshl_add_u64 v[6:7], v[42:43], 0, v[38:39]
	global_load_dwordx2 v[4:5], v[4:5], off
	v_mov_b32_e32 v8, v2
	global_load_dwordx2 v[20:21], v[6:7], off
	v_mov_b32_e32 v6, v2
	v_mov_b32_e32 v7, v2
	;; [unrolled: 1-line block ×27, first 2 shown]
	s_or_b64 exec, exec, s[46:47]
	s_and_saveexec_b64 s[46:47], s[6:7]
	s_cbranch_execz .LBB134_32
.LBB134_43:                             ;   in Loop: Header=BB134_3 Depth=1
	v_lshl_add_u64 v[6:7], v[68:69], 0, v[38:39]
	v_lshl_add_u64 v[22:23], v[70:71], 0, v[38:39]
	global_load_dwordx2 v[6:7], v[6:7], off
	s_nop 0
	global_load_dwordx2 v[22:23], v[22:23], off
	s_or_b64 exec, exec, s[46:47]
	s_and_saveexec_b64 s[46:47], s[6:7]
	s_cbranch_execz .LBB134_33
.LBB134_44:                             ;   in Loop: Header=BB134_3 Depth=1
	v_lshl_add_u64 v[8:9], v[64:65], 0, v[38:39]
	v_lshl_add_u64 v[24:25], v[66:67], 0, v[38:39]
	global_load_dwordx2 v[8:9], v[8:9], off
	s_nop 0
	global_load_dwordx2 v[24:25], v[24:25], off
	s_or_b64 exec, exec, s[46:47]
	s_and_saveexec_b64 s[46:47], s[6:7]
	s_cbranch_execz .LBB134_34
.LBB134_45:                             ;   in Loop: Header=BB134_3 Depth=1
	v_lshl_add_u64 v[10:11], v[60:61], 0, v[38:39]
	v_lshl_add_u64 v[26:27], v[62:63], 0, v[38:39]
	global_load_dwordx2 v[10:11], v[10:11], off
	s_nop 0
	global_load_dwordx2 v[26:27], v[26:27], off
	s_or_b64 exec, exec, s[46:47]
	s_and_saveexec_b64 s[46:47], s[6:7]
	s_cbranch_execz .LBB134_35
.LBB134_46:                             ;   in Loop: Header=BB134_3 Depth=1
	v_lshl_add_u64 v[12:13], v[56:57], 0, v[38:39]
	v_lshl_add_u64 v[28:29], v[58:59], 0, v[38:39]
	global_load_dwordx2 v[12:13], v[12:13], off
	s_nop 0
	global_load_dwordx2 v[28:29], v[28:29], off
	s_or_b64 exec, exec, s[46:47]
	s_and_saveexec_b64 s[46:47], s[6:7]
	s_cbranch_execz .LBB134_36
.LBB134_47:                             ;   in Loop: Header=BB134_3 Depth=1
	v_lshl_add_u64 v[14:15], v[52:53], 0, v[38:39]
	v_lshl_add_u64 v[30:31], v[54:55], 0, v[38:39]
	global_load_dwordx2 v[14:15], v[14:15], off
	s_nop 0
	global_load_dwordx2 v[30:31], v[30:31], off
	s_or_b64 exec, exec, s[46:47]
	s_and_saveexec_b64 s[46:47], s[6:7]
	s_cbranch_execz .LBB134_37
.LBB134_48:                             ;   in Loop: Header=BB134_3 Depth=1
	v_lshl_add_u64 v[16:17], v[48:49], 0, v[38:39]
	v_lshl_add_u64 v[32:33], v[50:51], 0, v[38:39]
	global_load_dwordx2 v[16:17], v[16:17], off
	s_nop 0
	global_load_dwordx2 v[32:33], v[32:33], off
	s_or_b64 exec, exec, s[46:47]
	s_and_saveexec_b64 s[46:47], s[6:7]
	s_cbranch_execnz .LBB134_38
	s_branch .LBB134_39
.LBB134_49:
                                        ; implicit-def: $vgpr104_vgpr105
	s_branch .LBB134_51
.LBB134_50:
	s_cbranch_execnz .LBB134_83
.LBB134_51:
	s_and_b64 vcc, exec, s[4:5]
	v_mov_b64_e32 v[104:105], 0
	s_cbranch_vccnz .LBB134_83
; %bb.52:
	v_mov_b32_e32 v2, 0
	v_bfe_u32 v1, v0, 10, 10
	v_lshlrev_b32_e32 v6, 6, v1
	v_mov_b32_e32 v7, v2
	v_lshl_add_u64 v[6:7], s[18:19], 3, v[6:7]
	v_lshl_add_u64 v[8:9], v[6:7], 0, 8
	v_mov_b64_e32 v[10:11], s[12:13]
	v_mov_b64_e32 v[22:23], s[14:15]
	v_lshlrev_b32_e32 v36, 3, v1
	v_mov_b32_e32 v37, v2
	v_mad_u64_u32 v[38:39], s[4:5], s10, v8, v[10:11]
	v_mul_lo_u32 v3, s10, v9
	v_mul_lo_u32 v9, s11, v8
	v_lshl_add_u64 v[12:13], v[6:7], 0, 16
	v_lshl_add_u64 v[14:15], v[6:7], 0, 24
	;; [unrolled: 1-line block ×5, first 2 shown]
	v_mad_u64_u32 v[48:49], s[4:5], s10, v8, v[22:23]
	v_lshl_add_u64 v[6:7], v[6:7], 0, 56
	v_lshl_add_u64 v[4:5], v[36:37], 0, s[18:19]
	v_add3_u32 v39, v9, v39, v3
	v_add3_u32 v49, v9, v49, v3
	v_mad_u64_u32 v[54:55], s[4:5], s10, v6, v[10:11]
	v_mul_lo_u32 v7, s10, v7
	v_mul_lo_u32 v9, s11, v6
	v_mad_u64_u32 v[64:65], s[4:5], s10, v6, v[22:23]
	v_mad_u64_u32 v[50:51], s[4:5], s10, v20, v[10:11]
	v_mul_lo_u32 v3, s10, v21
	v_mul_lo_u32 v8, s11, v20
	v_add3_u32 v55, v9, v55, v7
	v_mad_u64_u32 v[62:63], s[4:5], s10, v20, v[22:23]
	v_add3_u32 v65, v9, v65, v7
	v_lshl_add_u64 v[6:7], v[4:5], 0, 7
	v_add3_u32 v51, v8, v51, v3
	v_add3_u32 v63, v8, v63, v3
	v_mul_lo_u32 v3, s11, v6
	v_mul_lo_u32 v8, s10, v7
	v_mad_u64_u32 v[6:7], s[4:5], s10, v6, 0
	v_add3_u32 v7, v7, v8, v3
	v_lshl_add_u64 v[8:9], v[4:5], 0, 6
	v_mad_u64_u32 v[40:41], s[4:5], s10, v12, v[10:11]
	v_mad_u64_u32 v[42:43], s[4:5], s10, v14, v[10:11]
	;; [unrolled: 1-line block ×4, first 2 shown]
	v_mul_lo_u32 v3, s11, v8
	v_mul_lo_u32 v10, s10, v9
	v_mad_u64_u32 v[8:9], s[4:5], s10, v8, 0
	v_add3_u32 v9, v9, v10, v3
	v_lshl_add_u64 v[10:11], v[4:5], 0, 5
	v_mul_lo_u32 v13, s10, v13
	v_mul_lo_u32 v24, s11, v12
	v_mad_u64_u32 v[52:53], s[4:5], s10, v12, v[22:23]
	v_mul_lo_u32 v3, s11, v10
	v_mul_lo_u32 v12, s10, v11
	v_mad_u64_u32 v[10:11], s[4:5], s10, v10, 0
	v_add3_u32 v41, v24, v41, v13
	v_add3_u32 v53, v24, v53, v13
	v_add3_u32 v11, v11, v12, v3
	v_lshl_add_u64 v[12:13], v[4:5], 0, 4
	v_mul_lo_u32 v15, s10, v15
	v_mul_lo_u32 v25, s11, v14
	v_mad_u64_u32 v[56:57], s[4:5], s10, v14, v[22:23]
	v_mul_lo_u32 v3, s11, v12
	v_mul_lo_u32 v14, s10, v13
	v_mad_u64_u32 v[12:13], s[4:5], s10, v12, 0
	v_add3_u32 v43, v25, v43, v15
	v_add3_u32 v57, v25, v57, v15
	;; [unrolled: 10-line block ×4, first 2 shown]
	v_add3_u32 v17, v17, v18, v3
	v_mov_b64_e32 v[18:19], s[10:11]
	v_mad_u64_u32 v[18:19], s[4:5], s10, v4, v[18:19]
	v_mul_lo_u32 v3, s11, v4
	v_mul_lo_u32 v20, s10, v5
	v_mad_u64_u32 v[4:5], s[4:5], s10, v4, 0
	v_add3_u32 v5, v5, v20, v3
	s_load_dword s3, s[0:1], 0x44
	v_lshlrev_b64 v[4:5], 3, v[4:5]
	v_lshl_add_u64 v[68:69], s[12:13], 0, v[4:5]
	v_lshl_add_u64 v[70:71], s[14:15], 0, v[4:5]
	v_lshlrev_b64 v[4:5], 3, v[6:7]
	v_lshl_add_u64 v[72:73], s[12:13], 0, v[4:5]
	v_lshl_add_u64 v[74:75], s[14:15], 0, v[4:5]
	v_lshlrev_b64 v[4:5], 3, v[8:9]
	s_add_u32 s4, s0, 64
	v_lshl_add_u64 v[76:77], s[12:13], 0, v[4:5]
	v_lshl_add_u64 v[78:79], s[14:15], 0, v[4:5]
	v_lshlrev_b64 v[4:5], 3, v[10:11]
	s_addc_u32 s5, s1, 0
	s_waitcnt lgkmcnt(0)
	s_lshl_b32 s3, s3, 6
	v_lshl_add_u64 v[80:81], s[12:13], 0, v[4:5]
	v_lshl_add_u64 v[82:83], s[14:15], 0, v[4:5]
	v_lshlrev_b64 v[4:5], 3, v[12:13]
	s_mul_i32 s6, s11, s3
	s_mul_hi_u32 s7, s10, s3
	v_lshl_add_u64 v[84:85], s[12:13], 0, v[4:5]
	v_lshl_add_u64 v[86:87], s[14:15], 0, v[4:5]
	v_lshlrev_b64 v[4:5], 3, v[14:15]
	v_add3_u32 v19, v3, v19, v20
	s_add_i32 s7, s7, s6
	s_mul_i32 s6, s10, s3
	v_lshl_add_u64 v[88:89], s[12:13], 0, v[4:5]
	v_lshl_add_u64 v[90:91], s[14:15], 0, v[4:5]
	v_lshlrev_b64 v[4:5], 3, v[16:17]
	v_mbcnt_lo_u32_b32 v3, -1, 0
	v_and_b32_e32 v108, 0x3ff, v0
	s_lshl_b64 s[6:7], s[6:7], 3
	v_lshl_add_u64 v[92:93], s[12:13], 0, v[4:5]
	v_lshl_add_u64 v[94:95], s[14:15], 0, v[4:5]
	v_lshlrev_b64 v[4:5], 3, v[18:19]
	v_mbcnt_hi_u32_b32 v3, -1, v3
	v_add_u32_e32 v20, s33, v108
	v_mov_b32_e32 v21, v2
	s_add_u32 s20, s18, 63
	v_lshl_add_u64 v[96:97], s[12:13], 0, v[4:5]
	v_lshl_add_u64 v[98:99], s[14:15], 0, v[4:5]
	s_movk_i32 s12, 0xffc1
	s_movk_i32 s14, 0xffc2
	;; [unrolled: 1-line block ×8, first 2 shown]
	v_lshlrev_b32_e32 v3, 2, v3
	v_lshlrev_b64 v[66:67], 3, v[20:21]
	s_addc_u32 s21, 0, 0
	s_mov_b32 s13, -1
	s_mov_b32 s15, -1
	;; [unrolled: 1-line block ×8, first 2 shown]
	v_and_b32_e32 v109, 0x100, v3
	v_mov_b64_e32 v[100:101], 0
.LBB134_53:                             ; =>This Inner Loop Header: Depth=1
	v_mov_b64_e32 v[4:5], s[8:9]
	v_cmp_ge_i64_e32 vcc, s[20:21], v[4:5]
	v_lshl_add_u64 v[102:103], v[36:37], 0, s[20:21]
	s_mov_b64 s[36:37], -1
                                        ; implicit-def: $vgpr104_vgpr105
	s_cbranch_vccz .LBB134_75
; %bb.54:                               ;   in Loop: Header=BB134_53 Depth=1
	s_load_dword s33, s[4:5], 0xc
	v_mov_b64_e32 v[106:107], 0
	s_waitcnt lgkmcnt(0)
	s_and_b32 s33, s33, 0xffff
	v_mad_u32_u24 v3, v1, s33, v108
	v_and_b32_e32 v4, 63, v3
	v_cmp_gt_u32_e32 vcc, 8, v4
	s_and_saveexec_b64 s[36:37], vcc
	s_cbranch_execz .LBB134_58
; %bb.55:                               ;   in Loop: Header=BB134_53 Depth=1
	v_mov_b32_e32 v5, v2
	v_lshl_add_u64 v[4:5], v[102:103], 0, v[4:5]
	v_lshl_add_u64 v[4:5], v[4:5], 0, s[12:13]
	v_cmp_gt_i64_e32 vcc, s[8:9], v[4:5]
	v_mov_b64_e32 v[106:107], 0
	s_and_saveexec_b64 s[38:39], vcc
	s_cbranch_execz .LBB134_57
; %bb.56:                               ;   in Loop: Header=BB134_53 Depth=1
	v_lshl_add_u64 v[4:5], v[4:5], 3, s[16:17]
	global_load_dwordx2 v[106:107], v[4:5], off
.LBB134_57:                             ;   in Loop: Header=BB134_53 Depth=1
	s_or_b64 exec, exec, s[38:39]
.LBB134_58:                             ;   in Loop: Header=BB134_53 Depth=1
	s_or_b64 exec, exec, s[36:37]
	v_lshl_add_u64 v[4:5], v[102:103], 0, s[12:13]
	v_mov_b32_e32 v16, v2
	v_mov_b32_e32 v17, v2
	v_cmp_gt_i64_e32 vcc, s[8:9], v[4:5]
	v_mov_b32_e32 v3, v2
	v_mov_b32_e32 v4, v2
	v_mov_b32_e32 v5, v2
	v_mov_b32_e32 v6, v2
	v_mov_b32_e32 v7, v2
	v_mov_b32_e32 v8, v2
	v_mov_b32_e32 v9, v2
	v_mov_b32_e32 v10, v2
	v_mov_b32_e32 v11, v2
	v_mov_b32_e32 v12, v2
	v_mov_b32_e32 v13, v2
	v_mov_b32_e32 v14, v2
	v_mov_b32_e32 v15, v2
	v_mov_b64_e32 v[34:35], v[16:17]
	v_mov_b64_e32 v[32:33], v[14:15]
	;; [unrolled: 1-line block ×16, first 2 shown]
	s_and_saveexec_b64 s[36:37], vcc
	s_cbranch_execz .LBB134_60
; %bb.59:                               ;   in Loop: Header=BB134_53 Depth=1
	v_lshl_add_u64 v[4:5], v[68:69], 0, v[66:67]
	v_lshl_add_u64 v[6:7], v[70:71], 0, v[66:67]
	global_load_dwordx2 v[4:5], v[4:5], off
	v_mov_b32_e32 v8, v2
	global_load_dwordx2 v[20:21], v[6:7], off
	v_mov_b32_e32 v6, v2
	v_mov_b32_e32 v7, v2
	;; [unrolled: 1-line block ×27, first 2 shown]
.LBB134_60:                             ;   in Loop: Header=BB134_53 Depth=1
	s_or_b64 exec, exec, s[36:37]
	v_lshl_add_u64 v[104:105], v[102:103], 0, s[14:15]
	v_cmp_gt_i64_e32 vcc, s[8:9], v[104:105]
	s_and_saveexec_b64 s[36:37], vcc
	s_cbranch_execz .LBB134_62
; %bb.61:                               ;   in Loop: Header=BB134_53 Depth=1
	v_lshl_add_u64 v[6:7], v[96:97], 0, v[66:67]
	v_lshl_add_u64 v[22:23], v[98:99], 0, v[66:67]
	global_load_dwordx2 v[6:7], v[6:7], off
	s_nop 0
	global_load_dwordx2 v[22:23], v[22:23], off
.LBB134_62:                             ;   in Loop: Header=BB134_53 Depth=1
	s_or_b64 exec, exec, s[36:37]
	v_lshl_add_u64 v[104:105], v[102:103], 0, s[22:23]
	v_cmp_gt_i64_e32 vcc, s[8:9], v[104:105]
	s_and_saveexec_b64 s[36:37], vcc
	s_cbranch_execz .LBB134_64
; %bb.63:                               ;   in Loop: Header=BB134_53 Depth=1
	v_lshl_add_u64 v[8:9], v[92:93], 0, v[66:67]
	v_lshl_add_u64 v[24:25], v[94:95], 0, v[66:67]
	global_load_dwordx2 v[8:9], v[8:9], off
	s_nop 0
	global_load_dwordx2 v[24:25], v[24:25], off
.LBB134_64:                             ;   in Loop: Header=BB134_53 Depth=1
	;; [unrolled: 12-line block ×7, first 2 shown]
	s_or_b64 exec, exec, s[36:37]
	s_waitcnt vmcnt(0)
	ds_bpermute_b32 v104, v109, v106
	ds_bpermute_b32 v105, v109, v107
	ds_bpermute_b32 v110, v109, v106 offset:4
	ds_bpermute_b32 v111, v109, v107 offset:4
	v_mul_f64 v[4:5], v[20:21], v[4:5]
	ds_bpermute_b32 v20, v109, v106 offset:16
	s_waitcnt lgkmcnt(3)
	v_fma_f64 v[104:105], v[4:5], v[104:105], v[100:101]
	v_mul_f64 v[4:5], v[22:23], v[6:7]
	s_waitcnt lgkmcnt(1)
	v_fmac_f64_e32 v[104:105], v[4:5], v[110:111]
	ds_bpermute_b32 v4, v109, v106 offset:8
	ds_bpermute_b32 v5, v109, v107 offset:8
	v_mul_f64 v[6:7], v[24:25], v[8:9]
	ds_bpermute_b32 v8, v109, v106 offset:12
	ds_bpermute_b32 v9, v109, v107 offset:12
	;; [unrolled: 1-line block ×3, first 2 shown]
	s_waitcnt lgkmcnt(3)
	v_fmac_f64_e32 v[104:105], v[6:7], v[4:5]
	v_mul_f64 v[4:5], v[26:27], v[10:11]
	ds_bpermute_b32 v10, v109, v106 offset:28
	s_waitcnt lgkmcnt(2)
	v_fmac_f64_e32 v[104:105], v[4:5], v[8:9]
	v_mul_f64 v[4:5], v[28:29], v[12:13]
	s_waitcnt lgkmcnt(1)
	v_fmac_f64_e32 v[104:105], v[4:5], v[20:21]
	ds_bpermute_b32 v4, v109, v106 offset:20
	ds_bpermute_b32 v5, v109, v107 offset:20
	;; [unrolled: 1-line block ×5, first 2 shown]
	v_mul_f64 v[6:7], v[30:31], v[14:15]
	s_waitcnt lgkmcnt(3)
	v_fmac_f64_e32 v[104:105], v[6:7], v[4:5]
	v_mul_f64 v[4:5], v[32:33], v[16:17]
	s_waitcnt lgkmcnt(1)
	v_fmac_f64_e32 v[104:105], v[4:5], v[8:9]
	;; [unrolled: 3-line block ×3, first 2 shown]
	s_mov_b64 s[36:37], 0
.LBB134_75:                             ;   in Loop: Header=BB134_53 Depth=1
	s_and_b64 vcc, exec, s[36:37]
	s_cbranch_vccz .LBB134_81
; %bb.76:                               ;   in Loop: Header=BB134_53 Depth=1
	s_load_dword s33, s[4:5], 0x0
	v_mov_b64_e32 v[4:5], 0
	s_waitcnt lgkmcnt(0)
	s_cmp_lt_u32 s2, s33
	s_cselect_b32 s33, 12, 18
	s_add_u32 s36, s4, s33
	s_addc_u32 s37, s5, 0
	global_load_ushort v3, v2, s[36:37]
	s_waitcnt vmcnt(0)
	v_mad_u32_u24 v3, v1, v3, v108
	v_and_b32_e32 v6, 63, v3
	v_cmp_gt_u32_e32 vcc, 8, v6
	s_and_saveexec_b64 s[36:37], vcc
	s_cbranch_execz .LBB134_80
; %bb.77:                               ;   in Loop: Header=BB134_53 Depth=1
	v_mov_b32_e32 v7, v2
	v_lshl_add_u64 v[4:5], v[102:103], 0, v[6:7]
	v_lshl_add_u64 v[6:7], v[4:5], 0, s[12:13]
	v_cmp_gt_i64_e32 vcc, s[8:9], v[6:7]
	v_mov_b64_e32 v[4:5], 0
	s_and_saveexec_b64 s[38:39], vcc
	s_cbranch_execz .LBB134_79
; %bb.78:                               ;   in Loop: Header=BB134_53 Depth=1
	v_lshl_add_u64 v[4:5], v[6:7], 3, s[16:17]
	global_load_dwordx2 v[4:5], v[4:5], off
.LBB134_79:                             ;   in Loop: Header=BB134_53 Depth=1
	s_or_b64 exec, exec, s[38:39]
.LBB134_80:                             ;   in Loop: Header=BB134_53 Depth=1
	s_or_b64 exec, exec, s[36:37]
	v_lshl_add_u64 v[6:7], v[68:69], 0, v[66:67]
	v_lshl_add_u64 v[8:9], v[70:71], 0, v[66:67]
	global_load_dwordx2 v[6:7], v[6:7], off
	v_lshl_add_u64 v[10:11], v[38:39], 0, v[66:67]
	global_load_dwordx2 v[8:9], v[8:9], off
	;; [unrolled: 2-line block ×10, first 2 shown]
	v_lshl_add_u64 v[28:29], v[60:61], 0, v[66:67]
	v_lshl_add_u64 v[30:31], v[50:51], 0, v[66:67]
	v_lshl_add_u64 v[32:33], v[62:63], 0, v[66:67]
	global_load_dwordx2 v[34:35], v[26:27], off
	global_load_dwordx2 v[102:103], v[28:29], off
	;; [unrolled: 1-line block ×4, first 2 shown]
	v_lshl_add_u64 v[26:27], v[54:55], 0, v[66:67]
	v_lshl_add_u64 v[28:29], v[64:65], 0, v[66:67]
	global_load_dwordx2 v[30:31], v[26:27], off
	global_load_dwordx2 v[32:33], v[28:29], off
	s_waitcnt vmcnt(16)
	ds_bpermute_b32 v26, v109, v4
	ds_bpermute_b32 v27, v109, v5
	ds_bpermute_b32 v28, v109, v4 offset:4
	ds_bpermute_b32 v29, v109, v5 offset:4
	;; [unrolled: 1-line block ×14, first 2 shown]
	s_waitcnt vmcnt(14)
	v_mul_f64 v[6:7], v[6:7], v[8:9]
	s_waitcnt lgkmcnt(14)
	v_fmac_f64_e32 v[100:101], v[6:7], v[26:27]
	s_waitcnt vmcnt(12)
	v_mul_f64 v[8:9], v[10:11], v[12:13]
	s_waitcnt lgkmcnt(12)
	v_fmac_f64_e32 v[100:101], v[8:9], v[28:29]
	;; [unrolled: 4-line block ×8, first 2 shown]
	v_mov_b64_e32 v[104:105], v[100:101]
.LBB134_81:                             ;   in Loop: Header=BB134_53 Depth=1
	s_add_u32 s18, s18, s3
	s_addc_u32 s19, s19, 0
	v_mov_b64_e32 v[4:5], s[8:9]
	s_add_u32 s20, s20, s3
	v_cmp_ge_i64_e32 vcc, s[18:19], v[4:5]
	v_lshl_add_u64 v[68:69], v[68:69], 0, s[6:7]
	v_lshl_add_u64 v[70:71], v[70:71], 0, s[6:7]
	s_addc_u32 s21, s21, 0
	v_lshl_add_u64 v[38:39], v[38:39], 0, s[6:7]
	v_lshl_add_u64 v[40:41], v[40:41], 0, s[6:7]
	;; [unrolled: 1-line block ×28, first 2 shown]
	s_cbranch_vccnz .LBB134_83
; %bb.82:                               ;   in Loop: Header=BB134_53 Depth=1
	v_mov_b64_e32 v[100:101], v[104:105]
	s_branch .LBB134_53
.LBB134_83:
	v_and_b32_e32 v1, 0x3ff, v0
	v_bfe_u32 v0, v0, 10, 10
	v_mad_u32_u24 v2, v0, 33, v1
	v_mov_b32_e32 v4, 0
	v_sub_u32_e32 v7, v2, v0
	s_movk_i32 s3, 0x800
	v_lshl_add_u32 v3, v2, 3, 0
	v_mov_b32_e32 v5, v4
	v_cmp_gt_u32_e32 vcc, s3, v7
	ds_write_b64 v3, v[104:105]
	ds_write_b64 v3, v[4:5] offset:2112
	s_waitcnt lgkmcnt(0)
	s_barrier
	s_and_saveexec_b64 s[4:5], vcc
	s_cbranch_execz .LBB134_123
; %bb.84:
	s_load_dwordx2 s[4:5], s[0:1], 0x30
	v_and_b32_e32 v2, 63, v7
	v_lshrrev_b32_e32 v0, 6, v7
	v_cmp_gt_u32_e32 vcc, 8, v2
	v_mul_u32_u24_e32 v6, 33, v2
                                        ; implicit-def: $vgpr2_vgpr3
	s_and_saveexec_b64 s[0:1], vcc
; %bb.85:
	v_lshlrev_b32_e32 v2, 3, v0
	v_lshlrev_b32_e32 v3, 3, v6
	v_add3_u32 v2, 0, v2, v3
	ds_read_b64 v[2:3], v2
; %bb.86:
	s_or_b64 exec, exec, s[0:1]
	v_mbcnt_lo_u32_b32 v4, -1, 0
	v_mbcnt_hi_u32_b32 v10, -1, v4
	v_and_b32_e32 v4, 64, v10
	v_add_u32_e32 v11, 64, v4
	v_xor_b32_e32 v4, 4, v10
	v_cmp_lt_i32_e64 s[0:1], v4, v11
	v_xor_b32_e32 v9, 2, v10
	s_mov_b32 s3, 0
	v_cndmask_b32_e64 v4, v10, v4, s[0:1]
	v_lshlrev_b32_e32 v8, 2, v4
	s_waitcnt lgkmcnt(0)
	ds_bpermute_b32 v4, v8, v2
	ds_bpermute_b32 v5, v8, v3
	v_cmp_lt_i32_e64 s[0:1], v9, v11
	s_lshl_b64 s[6:7], s[2:3], 5
	s_cmp_eq_u64 s[4:5], 0
	s_cselect_b64 s[8:9], -1, 0
	s_waitcnt lgkmcnt(0)
	v_add_f64 v[2:3], v[2:3], v[4:5]
	v_cndmask_b32_e64 v4, v10, v9, s[0:1]
	v_lshlrev_b32_e32 v9, 2, v4
	ds_bpermute_b32 v4, v9, v2
	ds_bpermute_b32 v5, v9, v3
	s_waitcnt lgkmcnt(0)
	v_add_f64 v[2:3], v[2:3], v[4:5]
	v_xor_b32_e32 v4, 1, v10
	v_cmp_lt_i32_e64 s[0:1], v4, v11
	s_nop 1
	v_cndmask_b32_e64 v4, v10, v4, s[0:1]
	v_lshlrev_b32_e32 v10, 2, v4
	ds_bpermute_b32 v4, v10, v2
	ds_bpermute_b32 v5, v10, v3
	v_cmp_ne_u32_e64 s[0:1], 0, v1
	s_waitcnt lgkmcnt(0)
	v_add_f64 v[2:3], v[2:3], v[4:5]
	v_or_b32_e32 v4, s6, v0
	v_mov_b32_e32 v5, s7
	v_cmp_le_i64_e64 s[2:3], s[10:11], v[4:5]
	s_or_b64 s[2:3], s[0:1], s[2:3]
	s_nor_b64 s[12:13], s[8:9], s[2:3]
	s_and_saveexec_b64 s[2:3], s[12:13]
	s_cbranch_execz .LBB134_88
; %bb.87:
	v_lshl_add_u64 v[4:5], v[4:5], 3, s[4:5]
	global_store_dwordx2 v[4:5], v[2:3], off
.LBB134_88:
	s_or_b64 exec, exec, s[2:3]
	s_movk_i32 s2, 0x700
	v_cmp_gt_u32_e64 s[2:3], s2, v7
	s_and_b64 exec, exec, s[2:3]
	s_cbranch_execz .LBB134_123
; %bb.89:
	v_mov_b32_e32 v1, 0
	s_and_saveexec_b64 s[2:3], vcc
; %bb.90:
	v_lshlrev_b32_e32 v2, 3, v0
	v_lshlrev_b32_e32 v3, 3, v6
	v_add3_u32 v2, 0, v2, v3
	ds_read_b64 v[2:3], v2 offset:32
; %bb.91:
	s_or_b64 exec, exec, s[2:3]
	s_waitcnt lgkmcnt(0)
	ds_bpermute_b32 v4, v8, v2
	ds_bpermute_b32 v5, v8, v3
	v_add_u32_e32 v12, 4, v0
	v_mov_b32_e32 v13, v1
	v_lshl_add_u64 v[12:13], s[6:7], 0, v[12:13]
	v_cmp_le_i64_e64 s[2:3], s[10:11], v[12:13]
	s_waitcnt lgkmcnt(0)
	v_add_f64 v[2:3], v[2:3], v[4:5]
	ds_bpermute_b32 v4, v9, v2
	ds_bpermute_b32 v5, v9, v3
	s_or_b64 s[2:3], s[0:1], s[2:3]
	s_nor_b64 s[12:13], s[8:9], s[2:3]
	s_waitcnt lgkmcnt(0)
	v_add_f64 v[2:3], v[2:3], v[4:5]
	ds_bpermute_b32 v4, v10, v2
	ds_bpermute_b32 v5, v10, v3
	s_waitcnt lgkmcnt(0)
	v_add_f64 v[2:3], v[2:3], v[4:5]
	s_and_saveexec_b64 s[2:3], s[12:13]
	s_cbranch_execz .LBB134_93
; %bb.92:
	v_lshl_add_u64 v[4:5], s[6:7], 0, v[0:1]
	v_lshl_add_u64 v[4:5], v[4:5], 3, s[4:5]
	global_store_dwordx2 v[4:5], v[2:3], off offset:32
.LBB134_93:
	s_or_b64 exec, exec, s[2:3]
	s_movk_i32 s2, 0x600
	v_cmp_gt_u32_e64 s[2:3], s2, v7
	s_and_b64 exec, exec, s[2:3]
	s_cbranch_execz .LBB134_123
; %bb.94:
	s_and_saveexec_b64 s[2:3], vcc
; %bb.95:
	v_lshlrev_b32_e32 v2, 3, v0
	v_lshlrev_b32_e32 v3, 3, v6
	v_add3_u32 v2, 0, v2, v3
	ds_read_b64 v[2:3], v2 offset:64
; %bb.96:
	s_or_b64 exec, exec, s[2:3]
	s_waitcnt lgkmcnt(0)
	ds_bpermute_b32 v4, v8, v2
	ds_bpermute_b32 v5, v8, v3
	v_add_u32_e32 v12, 8, v0
	v_mov_b32_e32 v13, 0
	v_lshl_add_u64 v[12:13], s[6:7], 0, v[12:13]
	v_cmp_le_i64_e64 s[2:3], s[10:11], v[12:13]
	s_waitcnt lgkmcnt(0)
	v_add_f64 v[2:3], v[2:3], v[4:5]
	ds_bpermute_b32 v4, v9, v2
	ds_bpermute_b32 v5, v9, v3
	s_or_b64 s[2:3], s[0:1], s[2:3]
	s_nor_b64 s[12:13], s[8:9], s[2:3]
	s_waitcnt lgkmcnt(0)
	v_add_f64 v[2:3], v[2:3], v[4:5]
	ds_bpermute_b32 v4, v10, v2
	ds_bpermute_b32 v5, v10, v3
	s_waitcnt lgkmcnt(0)
	v_add_f64 v[2:3], v[2:3], v[4:5]
	s_and_saveexec_b64 s[2:3], s[12:13]
	s_cbranch_execz .LBB134_98
; %bb.97:
	v_lshl_add_u64 v[4:5], s[6:7], 0, v[0:1]
	v_lshl_add_u64 v[4:5], v[4:5], 3, s[4:5]
	global_store_dwordx2 v[4:5], v[2:3], off offset:64
.LBB134_98:
	s_or_b64 exec, exec, s[2:3]
	s_movk_i32 s2, 0x500
	v_cmp_gt_u32_e64 s[2:3], s2, v7
	s_and_b64 exec, exec, s[2:3]
	s_cbranch_execz .LBB134_123
; %bb.99:
	;; [unrolled: 40-line block ×3, first 2 shown]
	s_and_saveexec_b64 s[2:3], vcc
; %bb.105:
	v_lshlrev_b32_e32 v2, 3, v0
	v_lshlrev_b32_e32 v3, 3, v6
	v_add3_u32 v2, 0, v2, v3
	ds_read_b64 v[2:3], v2 offset:128
; %bb.106:
	s_or_b64 exec, exec, s[2:3]
	s_waitcnt lgkmcnt(0)
	ds_bpermute_b32 v4, v8, v2
	ds_bpermute_b32 v5, v8, v3
	v_add_u32_e32 v11, 16, v0
	v_mov_b32_e32 v13, s7
	v_or_b32_e32 v12, s6, v11
	v_cmp_le_i64_e64 s[2:3], s[10:11], v[12:13]
	s_waitcnt lgkmcnt(0)
	v_add_f64 v[2:3], v[2:3], v[4:5]
	ds_bpermute_b32 v4, v9, v2
	ds_bpermute_b32 v5, v9, v3
	s_or_b64 s[2:3], s[0:1], s[2:3]
	s_nor_b64 s[12:13], s[8:9], s[2:3]
	s_waitcnt lgkmcnt(0)
	v_add_f64 v[2:3], v[2:3], v[4:5]
	ds_bpermute_b32 v4, v10, v2
	ds_bpermute_b32 v5, v10, v3
	s_waitcnt lgkmcnt(0)
	v_add_f64 v[2:3], v[2:3], v[4:5]
	s_and_saveexec_b64 s[2:3], s[12:13]
	s_cbranch_execz .LBB134_108
; %bb.107:
	v_lshl_add_u64 v[4:5], s[6:7], 0, v[0:1]
	v_lshl_add_u64 v[4:5], v[4:5], 3, s[4:5]
	global_store_dwordx2 v[4:5], v[2:3], off offset:128
.LBB134_108:
	s_or_b64 exec, exec, s[2:3]
	s_movk_i32 s2, 0x300
	v_cmp_gt_u32_e64 s[2:3], s2, v7
	s_and_b64 exec, exec, s[2:3]
	s_cbranch_execz .LBB134_123
; %bb.109:
	s_and_saveexec_b64 s[2:3], vcc
; %bb.110:
	v_lshlrev_b32_e32 v2, 3, v0
	v_lshlrev_b32_e32 v3, 3, v6
	v_add3_u32 v2, 0, v2, v3
	ds_read_b64 v[2:3], v2 offset:160
; %bb.111:
	s_or_b64 exec, exec, s[2:3]
	s_waitcnt lgkmcnt(0)
	ds_bpermute_b32 v4, v8, v2
	ds_bpermute_b32 v5, v8, v3
	v_add_u32_e32 v12, 20, v0
	v_mov_b32_e32 v13, 0
	v_lshl_add_u64 v[12:13], s[6:7], 0, v[12:13]
	v_cmp_le_i64_e64 s[2:3], s[10:11], v[12:13]
	s_waitcnt lgkmcnt(0)
	v_add_f64 v[2:3], v[2:3], v[4:5]
	ds_bpermute_b32 v4, v9, v2
	ds_bpermute_b32 v5, v9, v3
	s_or_b64 s[2:3], s[0:1], s[2:3]
	s_nor_b64 s[12:13], s[8:9], s[2:3]
	s_waitcnt lgkmcnt(0)
	v_add_f64 v[2:3], v[2:3], v[4:5]
	ds_bpermute_b32 v4, v10, v2
	ds_bpermute_b32 v5, v10, v3
	s_waitcnt lgkmcnt(0)
	v_add_f64 v[2:3], v[2:3], v[4:5]
	s_and_saveexec_b64 s[2:3], s[12:13]
	s_cbranch_execz .LBB134_113
; %bb.112:
	v_lshl_add_u64 v[4:5], s[6:7], 0, v[0:1]
	v_lshl_add_u64 v[4:5], v[4:5], 3, s[4:5]
	global_store_dwordx2 v[4:5], v[2:3], off offset:160
.LBB134_113:
	s_or_b64 exec, exec, s[2:3]
	s_movk_i32 s2, 0x200
	v_cmp_gt_u32_e64 s[2:3], s2, v7
	s_and_b64 exec, exec, s[2:3]
	s_cbranch_execz .LBB134_123
; %bb.114:
	s_and_saveexec_b64 s[2:3], vcc
; %bb.115:
	v_lshlrev_b32_e32 v2, 3, v0
	v_lshlrev_b32_e32 v3, 3, v6
	v_add3_u32 v2, 0, v2, v3
	ds_read_b64 v[2:3], v2 offset:192
; %bb.116:
	s_or_b64 exec, exec, s[2:3]
	s_waitcnt lgkmcnt(0)
	ds_bpermute_b32 v4, v8, v2
	ds_bpermute_b32 v5, v8, v3
	v_add_u32_e32 v11, 24, v0
	v_mov_b32_e32 v13, s7
	v_or_b32_e32 v12, s6, v11
	v_cmp_le_i64_e64 s[2:3], s[10:11], v[12:13]
	s_waitcnt lgkmcnt(0)
	v_add_f64 v[2:3], v[2:3], v[4:5]
	ds_bpermute_b32 v4, v9, v2
	ds_bpermute_b32 v5, v9, v3
	s_or_b64 s[2:3], s[0:1], s[2:3]
	s_nor_b64 s[12:13], s[8:9], s[2:3]
	s_waitcnt lgkmcnt(0)
	v_add_f64 v[2:3], v[2:3], v[4:5]
	ds_bpermute_b32 v4, v10, v2
	ds_bpermute_b32 v5, v10, v3
	s_waitcnt lgkmcnt(0)
	v_add_f64 v[2:3], v[2:3], v[4:5]
	s_and_saveexec_b64 s[2:3], s[12:13]
	s_cbranch_execz .LBB134_118
; %bb.117:
	v_lshl_add_u64 v[4:5], s[6:7], 0, v[0:1]
	v_lshl_add_u64 v[4:5], v[4:5], 3, s[4:5]
	global_store_dwordx2 v[4:5], v[2:3], off offset:192
.LBB134_118:
	s_or_b64 exec, exec, s[2:3]
	s_movk_i32 s2, 0x100
	v_cmp_gt_u32_e64 s[2:3], s2, v7
	s_and_b64 exec, exec, s[2:3]
	s_cbranch_execz .LBB134_123
; %bb.119:
	s_and_saveexec_b64 s[2:3], vcc
; %bb.120:
	v_lshlrev_b32_e32 v2, 3, v0
	v_lshlrev_b32_e32 v3, 3, v6
	v_add3_u32 v2, 0, v2, v3
	ds_read_b64 v[2:3], v2 offset:224
; %bb.121:
	s_or_b64 exec, exec, s[2:3]
	s_waitcnt lgkmcnt(0)
	ds_bpermute_b32 v4, v8, v2
	ds_bpermute_b32 v5, v8, v3
	v_add_u32_e32 v6, 28, v0
	v_or_b32_e32 v6, s6, v6
	v_mov_b32_e32 v7, s7
	v_cmp_le_i64_e32 vcc, s[10:11], v[6:7]
	s_waitcnt lgkmcnt(0)
	v_add_f64 v[2:3], v[2:3], v[4:5]
	ds_bpermute_b32 v4, v9, v2
	ds_bpermute_b32 v5, v9, v3
	s_or_b64 s[0:1], s[0:1], vcc
	s_nor_b64 s[0:1], s[8:9], s[0:1]
	s_waitcnt lgkmcnt(0)
	v_add_f64 v[2:3], v[2:3], v[4:5]
	ds_bpermute_b32 v4, v10, v2
	ds_bpermute_b32 v5, v10, v3
	s_and_saveexec_b64 s[2:3], s[0:1]
	s_xor_b64 s[2:3], exec, s[2:3]
	s_cbranch_execz .LBB134_123
; %bb.122:
	v_lshl_add_u64 v[0:1], s[6:7], 0, v[0:1]
	s_waitcnt lgkmcnt(0)
	v_add_f64 v[2:3], v[2:3], v[4:5]
	v_lshl_add_u64 v[0:1], v[0:1], 3, s[4:5]
	global_store_dwordx2 v[0:1], v[2:3], off offset:224
.LBB134_123:
	s_endpgm
	.section	.rodata,"a",@progbits
	.p2align	6, 0x0
	.amdhsa_kernel _ZN2at6native12_GLOBAL__N_135GammaBetaBackwardCUDAKernelTemplateIddLj32ELj8ELj64ELb0ELb0ELb1EEEvllPKT_S5_PKT0_S8_PS3_S9_
		.amdhsa_group_segment_fixed_size 0
		.amdhsa_private_segment_fixed_size 0
		.amdhsa_kernarg_size 320
		.amdhsa_user_sgpr_count 2
		.amdhsa_user_sgpr_dispatch_ptr 0
		.amdhsa_user_sgpr_queue_ptr 0
		.amdhsa_user_sgpr_kernarg_segment_ptr 1
		.amdhsa_user_sgpr_dispatch_id 0
		.amdhsa_user_sgpr_kernarg_preload_length 0
		.amdhsa_user_sgpr_kernarg_preload_offset 0
		.amdhsa_user_sgpr_private_segment_size 0
		.amdhsa_uses_dynamic_stack 0
		.amdhsa_enable_private_segment 0
		.amdhsa_system_sgpr_workgroup_id_x 1
		.amdhsa_system_sgpr_workgroup_id_y 1
		.amdhsa_system_sgpr_workgroup_id_z 0
		.amdhsa_system_sgpr_workgroup_info 0
		.amdhsa_system_vgpr_workitem_id 1
		.amdhsa_next_free_vgpr 120
		.amdhsa_next_free_sgpr 50
		.amdhsa_accum_offset 120
		.amdhsa_reserve_vcc 1
		.amdhsa_float_round_mode_32 0
		.amdhsa_float_round_mode_16_64 0
		.amdhsa_float_denorm_mode_32 3
		.amdhsa_float_denorm_mode_16_64 3
		.amdhsa_dx10_clamp 1
		.amdhsa_ieee_mode 1
		.amdhsa_fp16_overflow 0
		.amdhsa_tg_split 0
		.amdhsa_exception_fp_ieee_invalid_op 0
		.amdhsa_exception_fp_denorm_src 0
		.amdhsa_exception_fp_ieee_div_zero 0
		.amdhsa_exception_fp_ieee_overflow 0
		.amdhsa_exception_fp_ieee_underflow 0
		.amdhsa_exception_fp_ieee_inexact 0
		.amdhsa_exception_int_div_zero 0
	.end_amdhsa_kernel
	.section	.text._ZN2at6native12_GLOBAL__N_135GammaBetaBackwardCUDAKernelTemplateIddLj32ELj8ELj64ELb0ELb0ELb1EEEvllPKT_S5_PKT0_S8_PS3_S9_,"axG",@progbits,_ZN2at6native12_GLOBAL__N_135GammaBetaBackwardCUDAKernelTemplateIddLj32ELj8ELj64ELb0ELb0ELb1EEEvllPKT_S5_PKT0_S8_PS3_S9_,comdat
.Lfunc_end134:
	.size	_ZN2at6native12_GLOBAL__N_135GammaBetaBackwardCUDAKernelTemplateIddLj32ELj8ELj64ELb0ELb0ELb1EEEvllPKT_S5_PKT0_S8_PS3_S9_, .Lfunc_end134-_ZN2at6native12_GLOBAL__N_135GammaBetaBackwardCUDAKernelTemplateIddLj32ELj8ELj64ELb0ELb0ELb1EEEvllPKT_S5_PKT0_S8_PS3_S9_
                                        ; -- End function
	.set _ZN2at6native12_GLOBAL__N_135GammaBetaBackwardCUDAKernelTemplateIddLj32ELj8ELj64ELb0ELb0ELb1EEEvllPKT_S5_PKT0_S8_PS3_S9_.num_vgpr, 120
	.set _ZN2at6native12_GLOBAL__N_135GammaBetaBackwardCUDAKernelTemplateIddLj32ELj8ELj64ELb0ELb0ELb1EEEvllPKT_S5_PKT0_S8_PS3_S9_.num_agpr, 0
	.set _ZN2at6native12_GLOBAL__N_135GammaBetaBackwardCUDAKernelTemplateIddLj32ELj8ELj64ELb0ELb0ELb1EEEvllPKT_S5_PKT0_S8_PS3_S9_.numbered_sgpr, 50
	.set _ZN2at6native12_GLOBAL__N_135GammaBetaBackwardCUDAKernelTemplateIddLj32ELj8ELj64ELb0ELb0ELb1EEEvllPKT_S5_PKT0_S8_PS3_S9_.num_named_barrier, 0
	.set _ZN2at6native12_GLOBAL__N_135GammaBetaBackwardCUDAKernelTemplateIddLj32ELj8ELj64ELb0ELb0ELb1EEEvllPKT_S5_PKT0_S8_PS3_S9_.private_seg_size, 0
	.set _ZN2at6native12_GLOBAL__N_135GammaBetaBackwardCUDAKernelTemplateIddLj32ELj8ELj64ELb0ELb0ELb1EEEvllPKT_S5_PKT0_S8_PS3_S9_.uses_vcc, 1
	.set _ZN2at6native12_GLOBAL__N_135GammaBetaBackwardCUDAKernelTemplateIddLj32ELj8ELj64ELb0ELb0ELb1EEEvllPKT_S5_PKT0_S8_PS3_S9_.uses_flat_scratch, 0
	.set _ZN2at6native12_GLOBAL__N_135GammaBetaBackwardCUDAKernelTemplateIddLj32ELj8ELj64ELb0ELb0ELb1EEEvllPKT_S5_PKT0_S8_PS3_S9_.has_dyn_sized_stack, 0
	.set _ZN2at6native12_GLOBAL__N_135GammaBetaBackwardCUDAKernelTemplateIddLj32ELj8ELj64ELb0ELb0ELb1EEEvllPKT_S5_PKT0_S8_PS3_S9_.has_recursion, 0
	.set _ZN2at6native12_GLOBAL__N_135GammaBetaBackwardCUDAKernelTemplateIddLj32ELj8ELj64ELb0ELb0ELb1EEEvllPKT_S5_PKT0_S8_PS3_S9_.has_indirect_call, 0
	.section	.AMDGPU.csdata,"",@progbits
; Kernel info:
; codeLenInByte = 8240
; TotalNumSgprs: 56
; NumVgprs: 120
; NumAgprs: 0
; TotalNumVgprs: 120
; ScratchSize: 0
; MemoryBound: 1
; FloatMode: 240
; IeeeMode: 1
; LDSByteSize: 0 bytes/workgroup (compile time only)
; SGPRBlocks: 6
; VGPRBlocks: 14
; NumSGPRsForWavesPerEU: 56
; NumVGPRsForWavesPerEU: 120
; AccumOffset: 120
; Occupancy: 4
; WaveLimiterHint : 0
; COMPUTE_PGM_RSRC2:SCRATCH_EN: 0
; COMPUTE_PGM_RSRC2:USER_SGPR: 2
; COMPUTE_PGM_RSRC2:TRAP_HANDLER: 0
; COMPUTE_PGM_RSRC2:TGID_X_EN: 1
; COMPUTE_PGM_RSRC2:TGID_Y_EN: 1
; COMPUTE_PGM_RSRC2:TGID_Z_EN: 0
; COMPUTE_PGM_RSRC2:TIDIG_COMP_CNT: 1
; COMPUTE_PGM_RSRC3_GFX90A:ACCUM_OFFSET: 29
; COMPUTE_PGM_RSRC3_GFX90A:TG_SPLIT: 0
	.section	.text._ZN2at6native12_GLOBAL__N_135GammaBetaBackwardCUDAKernelTemplateIddLj32ELj16ELj128ELb0ELb1ELb1EEEvllPKT_S5_PKT0_S8_PS3_S9_,"axG",@progbits,_ZN2at6native12_GLOBAL__N_135GammaBetaBackwardCUDAKernelTemplateIddLj32ELj16ELj128ELb0ELb1ELb1EEEvllPKT_S5_PKT0_S8_PS3_S9_,comdat
	.globl	_ZN2at6native12_GLOBAL__N_135GammaBetaBackwardCUDAKernelTemplateIddLj32ELj16ELj128ELb0ELb1ELb1EEEvllPKT_S5_PKT0_S8_PS3_S9_ ; -- Begin function _ZN2at6native12_GLOBAL__N_135GammaBetaBackwardCUDAKernelTemplateIddLj32ELj16ELj128ELb0ELb1ELb1EEEvllPKT_S5_PKT0_S8_PS3_S9_
	.p2align	8
	.type	_ZN2at6native12_GLOBAL__N_135GammaBetaBackwardCUDAKernelTemplateIddLj32ELj16ELj128ELb0ELb1ELb1EEEvllPKT_S5_PKT0_S8_PS3_S9_,@function
_ZN2at6native12_GLOBAL__N_135GammaBetaBackwardCUDAKernelTemplateIddLj32ELj16ELj128ELb0ELb1ELb1EEEvllPKT_S5_PKT0_S8_PS3_S9_: ; @_ZN2at6native12_GLOBAL__N_135GammaBetaBackwardCUDAKernelTemplateIddLj32ELj16ELj128ELb0ELb1ELb1EEEvllPKT_S5_PKT0_S8_PS3_S9_
; %bb.0:
	s_load_dwordx4 s[4:7], s[0:1], 0x0
	s_lshl_b32 s14, s3, 7
	s_mov_b32 s15, 0
	v_mov_b64_e32 v[2:3], s[14:15]
	v_bfe_u32 v14, v0, 10, 10
	s_waitcnt lgkmcnt(0)
	v_cmp_gt_i64_e32 vcc, s[4:5], v[2:3]
	s_cbranch_vccnz .LBB135_2
; %bb.1:
	s_mov_b64 s[8:9], 0
	v_bfe_u32 v2, v0, 10, 10
	s_branch .LBB135_3
.LBB135_2:
	s_mov_b64 s[8:9], -1
                                        ; implicit-def: $vgpr2
.LBB135_3:
	s_load_dwordx2 s[12:13], s[0:1], 0x30
	v_and_b32_e32 v12, 0x3ff, v0
	v_mov_b64_e32 v[0:1], 0
	s_andn2_b64 vcc, exec, s[8:9]
	v_mbcnt_lo_u32_b32 v13, -1, 0
	s_cbranch_vccnz .LBB135_11
; %bb.4:
	s_load_dword s3, s[0:1], 0x4c
	s_load_dword s16, s[0:1], 0x44
	s_load_dwordx2 s[18:19], s[0:1], 0x28
	s_load_dwordx4 s[8:11], s[0:1], 0x10
	v_lshlrev_b32_e32 v0, 3, v14
	s_waitcnt lgkmcnt(0)
	s_and_b32 s0, s3, 0xffff
	v_mad_u32_u24 v1, v14, s0, v12
	v_and_b32_e32 v2, 63, v1
	v_mov_b32_e32 v1, 0
	v_mov_b32_e32 v3, v1
	;; [unrolled: 1-line block ×3, first 2 shown]
	v_lshl_add_u64 v[0:1], v[0:1], 0, s[14:15]
	v_cmp_gt_u32_e64 s[0:1], 8, v2
	v_mbcnt_hi_u32_b32 v4, -1, v13
	s_lshl_b32 s16, s16, 7
	v_lshl_add_u64 v[2:3], v[0:1], 0, v[2:3]
	v_mul_lo_u32 v8, s7, v0
	v_mul_lo_u32 v9, s6, v1
	v_mad_u64_u32 v[0:1], s[20:21], s6, v0, 0
	v_lshl_add_u32 v6, s2, 5, v12
	v_lshlrev_b32_e32 v4, 2, v4
	s_mul_i32 s3, s7, s16
	s_mul_hi_u32 s20, s6, s16
	s_mov_b32 s17, 0
	v_and_b32_e32 v15, 0x100, v4
	v_add3_u32 v1, v1, v9, v8
	v_lshlrev_b64 v[6:7], 3, v[6:7]
	s_add_i32 s21, s20, s3
	s_mul_i32 s20, s6, s16
	v_or_b32_e32 v16, 4, v15
	v_or_b32_e32 v17, 8, v15
	;; [unrolled: 1-line block ×7, first 2 shown]
	v_lshl_add_u64 v[4:5], v[2:3], 3, s[18:19]
	s_lshl_b64 s[18:19], s[16:17], 3
	v_lshl_add_u64 v[6:7], v[0:1], 3, v[6:7]
	s_lshl_b64 s[20:21], s[20:21], 3
	s_lshl_b64 s[6:7], s[6:7], 3
	v_mov_b64_e32 v[0:1], 0
	v_mov_b64_e32 v[8:9], s[4:5]
	s_branch .LBB135_7
.LBB135_5:                              ;   in Loop: Header=BB135_7 Depth=1
	s_or_b64 exec, exec, s[24:25]
.LBB135_6:                              ;   in Loop: Header=BB135_7 Depth=1
	s_or_b64 exec, exec, s[22:23]
	v_lshl_add_u64 v[24:25], s[8:9], 0, v[6:7]
	v_lshl_add_u64 v[28:29], s[10:11], 0, v[6:7]
	global_load_dwordx2 v[26:27], v[24:25], off
	global_load_dwordx2 v[30:31], v[28:29], off
	v_lshl_add_u64 v[24:25], v[24:25], 0, s[6:7]
	v_lshl_add_u64 v[28:29], v[28:29], 0, s[6:7]
	global_load_dwordx2 v[32:33], v[24:25], off
	global_load_dwordx2 v[34:35], v[28:29], off
	v_lshl_add_u64 v[24:25], v[24:25], 0, s[6:7]
	v_lshl_add_u64 v[28:29], v[28:29], 0, s[6:7]
	global_load_dwordx2 v[36:37], v[24:25], off
	global_load_dwordx2 v[38:39], v[28:29], off
	v_lshl_add_u64 v[24:25], v[24:25], 0, s[6:7]
	v_lshl_add_u64 v[28:29], v[28:29], 0, s[6:7]
	global_load_dwordx2 v[40:41], v[24:25], off
	global_load_dwordx2 v[42:43], v[28:29], off
	v_lshl_add_u64 v[24:25], v[24:25], 0, s[6:7]
	v_lshl_add_u64 v[28:29], v[28:29], 0, s[6:7]
	global_load_dwordx2 v[44:45], v[24:25], off
	global_load_dwordx2 v[46:47], v[28:29], off
	v_lshl_add_u64 v[24:25], v[24:25], 0, s[6:7]
	v_lshl_add_u64 v[28:29], v[28:29], 0, s[6:7]
	global_load_dwordx2 v[48:49], v[24:25], off
	global_load_dwordx2 v[50:51], v[28:29], off
	v_lshl_add_u64 v[24:25], v[24:25], 0, s[6:7]
	v_lshl_add_u64 v[28:29], v[28:29], 0, s[6:7]
	global_load_dwordx2 v[52:53], v[24:25], off
	global_load_dwordx2 v[54:55], v[28:29], off
	v_lshl_add_u64 v[24:25], v[24:25], 0, s[6:7]
	v_lshl_add_u64 v[28:29], v[28:29], 0, s[6:7]
	global_load_dwordx2 v[24:25], v[24:25], off
	s_waitcnt vmcnt(15)
	ds_bpermute_b32 v56, v15, v10
	global_load_dwordx2 v[28:29], v[28:29], off
	ds_bpermute_b32 v57, v15, v11
	s_add_u32 s14, s14, s16
	s_addc_u32 s15, s15, 0
	v_cmp_lt_i64_e32 vcc, s[14:15], v[8:9]
	v_lshl_add_u64 v[4:5], v[4:5], 0, s[18:19]
	v_lshl_add_u64 v[2:3], v[2:3], 0, s[16:17]
	;; [unrolled: 1-line block ×3, first 2 shown]
	s_and_b64 vcc, exec, vcc
	s_waitcnt vmcnt(14)
	v_mul_f64 v[26:27], v[26:27], v[30:31]
	s_waitcnt lgkmcnt(0)
	v_fmac_f64_e32 v[0:1], v[26:27], v[56:57]
	ds_bpermute_b32 v26, v16, v10
	ds_bpermute_b32 v27, v16, v11
	s_waitcnt vmcnt(12)
	v_mul_f64 v[30:31], v[32:33], v[34:35]
	s_waitcnt lgkmcnt(0)
	v_fmac_f64_e32 v[0:1], v[30:31], v[26:27]
	ds_bpermute_b32 v26, v17, v10
	ds_bpermute_b32 v27, v17, v11
	;; [unrolled: 6-line block ×5, first 2 shown]
	s_waitcnt vmcnt(4)
	v_mul_f64 v[30:31], v[48:49], v[50:51]
	s_waitcnt vmcnt(0)
	v_mul_f64 v[24:25], v[24:25], v[28:29]
	s_waitcnt lgkmcnt(0)
	v_fmac_f64_e32 v[0:1], v[30:31], v[26:27]
	ds_bpermute_b32 v26, v21, v10
	ds_bpermute_b32 v27, v21, v11
	;; [unrolled: 1-line block ×4, first 2 shown]
	v_mul_f64 v[30:31], v[52:53], v[54:55]
	s_waitcnt lgkmcnt(2)
	v_fmac_f64_e32 v[0:1], v[30:31], v[26:27]
	s_waitcnt lgkmcnt(0)
	v_fmac_f64_e32 v[0:1], v[24:25], v[10:11]
	s_cbranch_vccz .LBB135_10
.LBB135_7:                              ; =>This Inner Loop Header: Depth=1
	v_mov_b64_e32 v[10:11], 0
	s_and_saveexec_b64 s[22:23], s[0:1]
	s_cbranch_execz .LBB135_6
; %bb.8:                                ;   in Loop: Header=BB135_7 Depth=1
	v_cmp_gt_i64_e32 vcc, s[4:5], v[2:3]
	v_mov_b64_e32 v[10:11], 0
	s_and_saveexec_b64 s[24:25], vcc
	s_cbranch_execz .LBB135_5
; %bb.9:                                ;   in Loop: Header=BB135_7 Depth=1
	global_load_dwordx2 v[10:11], v[4:5], off
	s_branch .LBB135_5
.LBB135_10:
	v_mov_b32_e32 v2, v14
.LBB135_11:
	v_mad_u32_u24 v3, v2, 33, v12
	v_lshl_add_u32 v4, v3, 3, 0
	ds_write_b64 v4, v[0:1]
	v_mov_b32_e32 v0, 0
	v_sub_u32_e32 v3, v3, v2
	s_movk_i32 s0, 0x800
	v_mov_b32_e32 v1, v0
	v_cmp_gt_u32_e32 vcc, s0, v3
	ds_write_b64 v4, v[0:1] offset:4224
	s_waitcnt lgkmcnt(0)
	s_barrier
	s_and_saveexec_b64 s[0:1], vcc
	s_cbranch_execz .LBB135_31
; %bb.12:
	v_lshrrev_b32_e32 v0, 6, v3
	v_and_b32_e32 v1, 63, v3
	v_cmp_gt_u32_e32 vcc, 16, v1
	v_mul_u32_u24_e32 v2, 33, v1
	v_lshlrev_b32_e32 v4, 3, v0
                                        ; implicit-def: $vgpr0_vgpr1
	s_and_saveexec_b64 s[0:1], vcc
; %bb.13:
	v_lshlrev_b32_e32 v0, 3, v2
	v_add3_u32 v0, 0, v4, v0
	ds_read_b64 v[0:1], v0
; %bb.14:
	s_or_b64 exec, exec, s[0:1]
	v_mbcnt_hi_u32_b32 v10, -1, v13
	v_and_b32_e32 v5, 64, v10
	v_add_u32_e32 v11, 64, v5
	v_xor_b32_e32 v5, 8, v10
	v_cmp_lt_i32_e64 s[0:1], v5, v11
	v_xor_b32_e32 v8, 4, v10
	s_cmp_lg_u64 s[12:13], 0
	v_cndmask_b32_e64 v5, v10, v5, s[0:1]
	v_lshlrev_b32_e32 v5, 2, v5
	s_waitcnt lgkmcnt(0)
	ds_bpermute_b32 v6, v5, v0
	ds_bpermute_b32 v7, v5, v1
	v_cmp_lt_i32_e64 s[0:1], v8, v11
	s_mov_b32 s3, 0
	s_cselect_b64 s[6:7], -1, 0
	s_waitcnt lgkmcnt(0)
	v_add_f64 v[0:1], v[0:1], v[6:7]
	v_cndmask_b32_e64 v6, v10, v8, s[0:1]
	v_lshlrev_b32_e32 v6, 2, v6
	ds_bpermute_b32 v8, v6, v0
	ds_bpermute_b32 v9, v6, v1
	v_xor_b32_e32 v7, 2, v10
	v_cmp_lt_i32_e64 s[0:1], v7, v11
	s_waitcnt lgkmcnt(0)
	v_add_f64 v[0:1], v[0:1], v[8:9]
	v_cndmask_b32_e64 v7, v10, v7, s[0:1]
	v_lshlrev_b32_e32 v7, 2, v7
	ds_bpermute_b32 v8, v7, v0
	ds_bpermute_b32 v9, v7, v1
	v_cmp_eq_u32_e64 s[0:1], 0, v12
	s_waitcnt lgkmcnt(0)
	v_add_f64 v[0:1], v[0:1], v[8:9]
	v_xor_b32_e32 v8, 1, v10
	v_cmp_lt_i32_e64 s[4:5], v8, v11
	s_nop 1
	v_cndmask_b32_e64 v8, v10, v8, s[4:5]
	v_lshlrev_b32_e32 v8, 2, v8
	ds_bpermute_b32 v10, v8, v0
	ds_bpermute_b32 v11, v8, v1
	s_and_b64 s[4:5], s[0:1], s[6:7]
	s_lshl_b64 s[0:1], s[2:3], 8
	s_add_u32 s2, s12, s0
	s_addc_u32 s3, s13, s1
	s_waitcnt lgkmcnt(0)
	v_add_f64 v[0:1], v[0:1], v[10:11]
	s_and_saveexec_b64 s[0:1], s[4:5]
	s_cbranch_execz .LBB135_16
; %bb.15:
	global_store_dwordx2 v4, v[0:1], s[2:3]
.LBB135_16:
	s_or_b64 exec, exec, s[0:1]
	s_movk_i32 s0, 0x600
	v_cmp_gt_u32_e64 s[0:1], s0, v3
	s_and_b64 exec, exec, s[0:1]
	s_cbranch_execz .LBB135_31
; %bb.17:
	s_and_saveexec_b64 s[0:1], vcc
; %bb.18:
	v_lshlrev_b32_e32 v0, 3, v2
	v_add3_u32 v0, 0, v4, v0
	ds_read_b64 v[0:1], v0 offset:64
; %bb.19:
	s_or_b64 exec, exec, s[0:1]
	s_waitcnt lgkmcnt(0)
	ds_bpermute_b32 v10, v5, v0
	ds_bpermute_b32 v11, v5, v1
	s_waitcnt lgkmcnt(0)
	v_add_f64 v[0:1], v[0:1], v[10:11]
	ds_bpermute_b32 v10, v6, v0
	ds_bpermute_b32 v11, v6, v1
	s_waitcnt lgkmcnt(0)
	v_add_f64 v[0:1], v[0:1], v[10:11]
	;; [unrolled: 4-line block ×4, first 2 shown]
	s_and_saveexec_b64 s[0:1], s[4:5]
	s_cbranch_execz .LBB135_21
; %bb.20:
	global_store_dwordx2 v4, v[0:1], s[2:3] offset:64
.LBB135_21:
	s_or_b64 exec, exec, s[0:1]
	s_movk_i32 s0, 0x400
	v_cmp_gt_u32_e64 s[0:1], s0, v3
	s_and_b64 exec, exec, s[0:1]
	s_cbranch_execz .LBB135_31
; %bb.22:
	s_and_saveexec_b64 s[0:1], vcc
; %bb.23:
	v_lshlrev_b32_e32 v0, 3, v2
	v_add3_u32 v0, 0, v4, v0
	ds_read_b64 v[0:1], v0 offset:128
; %bb.24:
	s_or_b64 exec, exec, s[0:1]
	s_waitcnt lgkmcnt(0)
	ds_bpermute_b32 v10, v5, v0
	ds_bpermute_b32 v11, v5, v1
	s_waitcnt lgkmcnt(0)
	v_add_f64 v[0:1], v[0:1], v[10:11]
	ds_bpermute_b32 v10, v6, v0
	ds_bpermute_b32 v11, v6, v1
	s_waitcnt lgkmcnt(0)
	v_add_f64 v[0:1], v[0:1], v[10:11]
	ds_bpermute_b32 v10, v7, v0
	ds_bpermute_b32 v11, v7, v1
	s_waitcnt lgkmcnt(0)
	v_add_f64 v[0:1], v[0:1], v[10:11]
	ds_bpermute_b32 v10, v8, v0
	ds_bpermute_b32 v11, v8, v1
	s_waitcnt lgkmcnt(0)
	v_add_f64 v[0:1], v[0:1], v[10:11]
	s_and_saveexec_b64 s[0:1], s[4:5]
	s_cbranch_execz .LBB135_26
; %bb.25:
	global_store_dwordx2 v4, v[0:1], s[2:3] offset:128
.LBB135_26:
	s_or_b64 exec, exec, s[0:1]
	s_movk_i32 s0, 0x200
	v_cmp_gt_u32_e64 s[0:1], s0, v3
	s_and_b64 exec, exec, s[0:1]
	s_cbranch_execz .LBB135_31
; %bb.27:
	s_and_saveexec_b64 s[0:1], vcc
; %bb.28:
	v_lshlrev_b32_e32 v0, 3, v2
	v_add3_u32 v0, 0, v4, v0
	ds_read_b64 v[0:1], v0 offset:192
; %bb.29:
	s_or_b64 exec, exec, s[0:1]
	s_waitcnt lgkmcnt(0)
	ds_bpermute_b32 v2, v5, v0
	ds_bpermute_b32 v3, v5, v1
	s_waitcnt lgkmcnt(0)
	v_add_f64 v[0:1], v[0:1], v[2:3]
	ds_bpermute_b32 v2, v6, v0
	ds_bpermute_b32 v3, v6, v1
	s_waitcnt lgkmcnt(0)
	v_add_f64 v[0:1], v[0:1], v[2:3]
	;; [unrolled: 4-line block ×3, first 2 shown]
	ds_bpermute_b32 v2, v8, v0
	ds_bpermute_b32 v3, v8, v1
	s_and_saveexec_b64 s[0:1], s[4:5]
	s_xor_b64 s[0:1], exec, s[0:1]
	s_cbranch_execz .LBB135_31
; %bb.30:
	s_waitcnt lgkmcnt(0)
	v_add_f64 v[0:1], v[0:1], v[2:3]
	global_store_dwordx2 v4, v[0:1], s[2:3] offset:192
.LBB135_31:
	s_endpgm
	.section	.rodata,"a",@progbits
	.p2align	6, 0x0
	.amdhsa_kernel _ZN2at6native12_GLOBAL__N_135GammaBetaBackwardCUDAKernelTemplateIddLj32ELj16ELj128ELb0ELb1ELb1EEEvllPKT_S5_PKT0_S8_PS3_S9_
		.amdhsa_group_segment_fixed_size 0
		.amdhsa_private_segment_fixed_size 0
		.amdhsa_kernarg_size 320
		.amdhsa_user_sgpr_count 2
		.amdhsa_user_sgpr_dispatch_ptr 0
		.amdhsa_user_sgpr_queue_ptr 0
		.amdhsa_user_sgpr_kernarg_segment_ptr 1
		.amdhsa_user_sgpr_dispatch_id 0
		.amdhsa_user_sgpr_kernarg_preload_length 0
		.amdhsa_user_sgpr_kernarg_preload_offset 0
		.amdhsa_user_sgpr_private_segment_size 0
		.amdhsa_uses_dynamic_stack 0
		.amdhsa_enable_private_segment 0
		.amdhsa_system_sgpr_workgroup_id_x 1
		.amdhsa_system_sgpr_workgroup_id_y 1
		.amdhsa_system_sgpr_workgroup_id_z 0
		.amdhsa_system_sgpr_workgroup_info 0
		.amdhsa_system_vgpr_workitem_id 1
		.amdhsa_next_free_vgpr 58
		.amdhsa_next_free_sgpr 26
		.amdhsa_accum_offset 60
		.amdhsa_reserve_vcc 1
		.amdhsa_float_round_mode_32 0
		.amdhsa_float_round_mode_16_64 0
		.amdhsa_float_denorm_mode_32 3
		.amdhsa_float_denorm_mode_16_64 3
		.amdhsa_dx10_clamp 1
		.amdhsa_ieee_mode 1
		.amdhsa_fp16_overflow 0
		.amdhsa_tg_split 0
		.amdhsa_exception_fp_ieee_invalid_op 0
		.amdhsa_exception_fp_denorm_src 0
		.amdhsa_exception_fp_ieee_div_zero 0
		.amdhsa_exception_fp_ieee_overflow 0
		.amdhsa_exception_fp_ieee_underflow 0
		.amdhsa_exception_fp_ieee_inexact 0
		.amdhsa_exception_int_div_zero 0
	.end_amdhsa_kernel
	.section	.text._ZN2at6native12_GLOBAL__N_135GammaBetaBackwardCUDAKernelTemplateIddLj32ELj16ELj128ELb0ELb1ELb1EEEvllPKT_S5_PKT0_S8_PS3_S9_,"axG",@progbits,_ZN2at6native12_GLOBAL__N_135GammaBetaBackwardCUDAKernelTemplateIddLj32ELj16ELj128ELb0ELb1ELb1EEEvllPKT_S5_PKT0_S8_PS3_S9_,comdat
.Lfunc_end135:
	.size	_ZN2at6native12_GLOBAL__N_135GammaBetaBackwardCUDAKernelTemplateIddLj32ELj16ELj128ELb0ELb1ELb1EEEvllPKT_S5_PKT0_S8_PS3_S9_, .Lfunc_end135-_ZN2at6native12_GLOBAL__N_135GammaBetaBackwardCUDAKernelTemplateIddLj32ELj16ELj128ELb0ELb1ELb1EEEvllPKT_S5_PKT0_S8_PS3_S9_
                                        ; -- End function
	.set _ZN2at6native12_GLOBAL__N_135GammaBetaBackwardCUDAKernelTemplateIddLj32ELj16ELj128ELb0ELb1ELb1EEEvllPKT_S5_PKT0_S8_PS3_S9_.num_vgpr, 58
	.set _ZN2at6native12_GLOBAL__N_135GammaBetaBackwardCUDAKernelTemplateIddLj32ELj16ELj128ELb0ELb1ELb1EEEvllPKT_S5_PKT0_S8_PS3_S9_.num_agpr, 0
	.set _ZN2at6native12_GLOBAL__N_135GammaBetaBackwardCUDAKernelTemplateIddLj32ELj16ELj128ELb0ELb1ELb1EEEvllPKT_S5_PKT0_S8_PS3_S9_.numbered_sgpr, 26
	.set _ZN2at6native12_GLOBAL__N_135GammaBetaBackwardCUDAKernelTemplateIddLj32ELj16ELj128ELb0ELb1ELb1EEEvllPKT_S5_PKT0_S8_PS3_S9_.num_named_barrier, 0
	.set _ZN2at6native12_GLOBAL__N_135GammaBetaBackwardCUDAKernelTemplateIddLj32ELj16ELj128ELb0ELb1ELb1EEEvllPKT_S5_PKT0_S8_PS3_S9_.private_seg_size, 0
	.set _ZN2at6native12_GLOBAL__N_135GammaBetaBackwardCUDAKernelTemplateIddLj32ELj16ELj128ELb0ELb1ELb1EEEvllPKT_S5_PKT0_S8_PS3_S9_.uses_vcc, 1
	.set _ZN2at6native12_GLOBAL__N_135GammaBetaBackwardCUDAKernelTemplateIddLj32ELj16ELj128ELb0ELb1ELb1EEEvllPKT_S5_PKT0_S8_PS3_S9_.uses_flat_scratch, 0
	.set _ZN2at6native12_GLOBAL__N_135GammaBetaBackwardCUDAKernelTemplateIddLj32ELj16ELj128ELb0ELb1ELb1EEEvllPKT_S5_PKT0_S8_PS3_S9_.has_dyn_sized_stack, 0
	.set _ZN2at6native12_GLOBAL__N_135GammaBetaBackwardCUDAKernelTemplateIddLj32ELj16ELj128ELb0ELb1ELb1EEEvllPKT_S5_PKT0_S8_PS3_S9_.has_recursion, 0
	.set _ZN2at6native12_GLOBAL__N_135GammaBetaBackwardCUDAKernelTemplateIddLj32ELj16ELj128ELb0ELb1ELb1EEEvllPKT_S5_PKT0_S8_PS3_S9_.has_indirect_call, 0
	.section	.AMDGPU.csdata,"",@progbits
; Kernel info:
; codeLenInByte = 1952
; TotalNumSgprs: 32
; NumVgprs: 58
; NumAgprs: 0
; TotalNumVgprs: 58
; ScratchSize: 0
; MemoryBound: 0
; FloatMode: 240
; IeeeMode: 1
; LDSByteSize: 0 bytes/workgroup (compile time only)
; SGPRBlocks: 3
; VGPRBlocks: 7
; NumSGPRsForWavesPerEU: 32
; NumVGPRsForWavesPerEU: 58
; AccumOffset: 60
; Occupancy: 8
; WaveLimiterHint : 0
; COMPUTE_PGM_RSRC2:SCRATCH_EN: 0
; COMPUTE_PGM_RSRC2:USER_SGPR: 2
; COMPUTE_PGM_RSRC2:TRAP_HANDLER: 0
; COMPUTE_PGM_RSRC2:TGID_X_EN: 1
; COMPUTE_PGM_RSRC2:TGID_Y_EN: 1
; COMPUTE_PGM_RSRC2:TGID_Z_EN: 0
; COMPUTE_PGM_RSRC2:TIDIG_COMP_CNT: 1
; COMPUTE_PGM_RSRC3_GFX90A:ACCUM_OFFSET: 14
; COMPUTE_PGM_RSRC3_GFX90A:TG_SPLIT: 0
	.section	.text._ZN2at6native12_GLOBAL__N_135GammaBetaBackwardCUDAKernelTemplateIddLj32ELj16ELj128ELb0ELb0ELb1EEEvllPKT_S5_PKT0_S8_PS3_S9_,"axG",@progbits,_ZN2at6native12_GLOBAL__N_135GammaBetaBackwardCUDAKernelTemplateIddLj32ELj16ELj128ELb0ELb0ELb1EEEvllPKT_S5_PKT0_S8_PS3_S9_,comdat
	.globl	_ZN2at6native12_GLOBAL__N_135GammaBetaBackwardCUDAKernelTemplateIddLj32ELj16ELj128ELb0ELb0ELb1EEEvllPKT_S5_PKT0_S8_PS3_S9_ ; -- Begin function _ZN2at6native12_GLOBAL__N_135GammaBetaBackwardCUDAKernelTemplateIddLj32ELj16ELj128ELb0ELb0ELb1EEEvllPKT_S5_PKT0_S8_PS3_S9_
	.p2align	8
	.type	_ZN2at6native12_GLOBAL__N_135GammaBetaBackwardCUDAKernelTemplateIddLj32ELj16ELj128ELb0ELb0ELb1EEEvllPKT_S5_PKT0_S8_PS3_S9_,@function
_ZN2at6native12_GLOBAL__N_135GammaBetaBackwardCUDAKernelTemplateIddLj32ELj16ELj128ELb0ELb0ELb1EEEvllPKT_S5_PKT0_S8_PS3_S9_: ; @_ZN2at6native12_GLOBAL__N_135GammaBetaBackwardCUDAKernelTemplateIddLj32ELj16ELj128ELb0ELb0ELb1EEEvllPKT_S5_PKT0_S8_PS3_S9_
; %bb.0:
	s_load_dwordx8 s[8:15], s[0:1], 0x0
	s_load_dwordx2 s[16:17], s[0:1], 0x28
	s_lshl_b32 s33, s2, 5
	s_or_b32 s4, s33, 31
	s_mov_b32 s19, 0
	v_mov_b32_e32 v2, s4
	v_mov_b32_e32 v3, 0
	s_lshl_b32 s18, s3, 7
	s_waitcnt lgkmcnt(0)
	v_cmp_le_i64_e32 vcc, s[10:11], v[2:3]
	v_mov_b64_e32 v[2:3], s[18:19]
	v_cmp_gt_i64_e64 s[4:5], s[8:9], v[2:3]
	s_nop 1
	v_cndmask_b32_e64 v1, 0, 1, s[4:5]
	v_cmp_ne_u32_e64 s[4:5], 1, v1
	s_cbranch_vccz .LBB136_49
; %bb.1:
	s_and_b64 vcc, exec, s[4:5]
	v_mov_b64_e32 v[104:105], 0
	s_cbranch_vccnz .LBB136_50
; %bb.2:
	v_and_b32_e32 v1, 0x3ff, v0
	v_mov_b32_e32 v2, 0
	v_bfe_u32 v78, v0, 10, 10
	v_add_u32_e32 v4, s33, v1
	v_mov_b32_e32 v5, v2
	v_lshlrev_b32_e32 v36, 3, v78
	v_mov_b32_e32 v37, v2
	v_cmp_gt_i64_e64 s[6:7], s[10:11], v[4:5]
	v_lshlrev_b64 v[38:39], 3, v[4:5]
	v_lshl_add_u64 v[4:5], v[36:37], 0, s[18:19]
	v_mul_lo_u32 v3, s11, v4
	v_mul_lo_u32 v8, s10, v5
	v_mad_u64_u32 v[6:7], s[22:23], s10, v4, 0
	v_add3_u32 v7, v7, v8, v3
	v_lshlrev_b64 v[6:7], 3, v[6:7]
	v_lshl_add_u64 v[40:41], s[12:13], 0, v[6:7]
	v_lshl_add_u64 v[42:43], s[14:15], 0, v[6:7]
	v_lshl_add_u64 v[6:7], v[4:5], 0, 7
	v_mul_lo_u32 v9, s11, v6
	v_mul_lo_u32 v10, s10, v7
	v_mad_u64_u32 v[6:7], s[24:25], s10, v6, 0
	v_add3_u32 v7, v7, v10, v9
	v_lshlrev_b64 v[6:7], 3, v[6:7]
	v_lshl_add_u64 v[44:45], s[12:13], 0, v[6:7]
	v_lshl_add_u64 v[46:47], s[14:15], 0, v[6:7]
	;; [unrolled: 8-line block ×5, first 2 shown]
	v_lshl_add_u64 v[6:7], v[4:5], 0, 3
	v_mul_lo_u32 v9, s11, v6
	v_mul_lo_u32 v10, s10, v7
	v_mad_u64_u32 v[6:7], s[24:25], s10, v6, 0
	v_add3_u32 v7, v7, v10, v9
	s_load_dword s3, s[0:1], 0x44
	v_lshlrev_b64 v[6:7], 3, v[6:7]
	v_lshl_add_u64 v[60:61], s[12:13], 0, v[6:7]
	v_lshl_add_u64 v[62:63], s[14:15], 0, v[6:7]
	;; [unrolled: 1-line block ×3, first 2 shown]
	v_mul_lo_u32 v5, s11, v6
	v_mul_lo_u32 v9, s10, v7
	v_mad_u64_u32 v[6:7], s[24:25], s10, v6, 0
	v_add3_u32 v7, v7, v9, v5
	s_add_u32 s20, s0, 64
	v_lshlrev_b64 v[6:7], 3, v[6:7]
	s_addc_u32 s21, s1, 0
	s_waitcnt lgkmcnt(0)
	s_lshl_b32 s3, s3, 7
	v_lshl_add_u64 v[64:65], s[12:13], 0, v[6:7]
	v_lshl_add_u64 v[66:67], s[14:15], 0, v[6:7]
	v_mov_b64_e32 v[6:7], s[10:11]
	s_mul_i32 s22, s11, s3
	s_mul_hi_u32 s23, s10, s3
	v_mad_u64_u32 v[4:5], s[24:25], s10, v4, v[6:7]
	s_add_i32 s23, s23, s22
	s_mul_i32 s22, s10, s3
	v_add3_u32 v5, v3, v5, v8
	v_mbcnt_lo_u32_b32 v3, -1, 0
	s_lshl_b64 s[22:23], s[22:23], 3
	v_mbcnt_hi_u32_b32 v3, -1, v3
	v_lshlrev_b64 v[4:5], 3, v[4:5]
	s_add_u32 s24, s18, 0x7f
	s_movk_i32 s26, 0xff81
	s_movk_i32 s28, 0xff82
	s_movk_i32 s30, 0xff83
	s_movk_i32 s34, 0xff84
	s_movk_i32 s36, 0xff85
	s_movk_i32 s38, 0xff86
	s_movk_i32 s40, 0xff87
	s_movk_i32 s42, 0xff88
	v_lshlrev_b32_e32 v3, 2, v3
	v_lshl_add_u64 v[68:69], s[12:13], 0, v[4:5]
	v_lshl_add_u64 v[70:71], s[14:15], 0, v[4:5]
	s_addc_u32 s25, 0, 0
	v_mov_b64_e32 v[72:73], 0
	s_mov_b32 s27, -1
	s_mov_b32 s29, -1
	s_mov_b32 s31, -1
	s_mov_b32 s35, -1
	s_mov_b32 s37, -1
	s_mov_b32 s39, -1
	s_mov_b32 s41, -1
	s_mov_b32 s43, -1
	v_and_b32_e32 v79, 0x100, v3
	s_mov_b64 s[44:45], s[18:19]
.LBB136_3:                              ; =>This Inner Loop Header: Depth=1
	v_mov_b64_e32 v[4:5], s[8:9]
	v_cmp_ge_i64_e32 vcc, s[24:25], v[4:5]
	v_lshl_add_u64 v[74:75], v[36:37], 0, s[24:25]
	s_mov_b64 s[46:47], -1
	s_and_b64 vcc, exec, vcc
                                        ; implicit-def: $vgpr4_vgpr5_vgpr6_vgpr7_vgpr8_vgpr9_vgpr10_vgpr11_vgpr12_vgpr13_vgpr14_vgpr15_vgpr16_vgpr17_vgpr18_vgpr19
                                        ; implicit-def: $vgpr104_vgpr105
                                        ; implicit-def: $vgpr20_vgpr21_vgpr22_vgpr23_vgpr24_vgpr25_vgpr26_vgpr27_vgpr28_vgpr29_vgpr30_vgpr31_vgpr32_vgpr33_vgpr34_vgpr35
                                        ; implicit-def: $vgpr4
	s_cbranch_vccz .LBB136_25
; %bb.4:                                ;   in Loop: Header=BB136_3 Depth=1
	s_load_dword s46, s[20:21], 0xc
	v_mov_b64_e32 v[76:77], 0
	s_waitcnt lgkmcnt(0)
	s_and_b32 s46, s46, 0xffff
	v_mad_u32_u24 v3, v78, s46, v1
	v_and_b32_e32 v4, 63, v3
	v_cmp_gt_u32_e32 vcc, 8, v4
	s_and_saveexec_b64 s[46:47], vcc
	s_cbranch_execz .LBB136_8
; %bb.5:                                ;   in Loop: Header=BB136_3 Depth=1
	v_mov_b32_e32 v5, v2
	v_lshl_add_u64 v[4:5], v[74:75], 0, v[4:5]
	v_lshl_add_u64 v[4:5], v[4:5], 0, s[26:27]
	v_cmp_gt_i64_e32 vcc, s[8:9], v[4:5]
	v_mov_b64_e32 v[76:77], 0
	s_and_saveexec_b64 s[48:49], vcc
	s_cbranch_execz .LBB136_7
; %bb.6:                                ;   in Loop: Header=BB136_3 Depth=1
	v_lshl_add_u64 v[4:5], v[4:5], 3, s[16:17]
	global_load_dwordx2 v[76:77], v[4:5], off
.LBB136_7:                              ;   in Loop: Header=BB136_3 Depth=1
	s_or_b64 exec, exec, s[48:49]
.LBB136_8:                              ;   in Loop: Header=BB136_3 Depth=1
	s_or_b64 exec, exec, s[46:47]
	v_lshl_add_u64 v[4:5], v[74:75], 0, s[26:27]
	v_mov_b32_e32 v16, v2
	v_mov_b32_e32 v17, v2
	v_cmp_gt_i64_e32 vcc, s[8:9], v[4:5]
	v_mov_b32_e32 v3, v2
	v_mov_b32_e32 v4, v2
	;; [unrolled: 1-line block ×13, first 2 shown]
	v_mov_b64_e32 v[34:35], v[16:17]
	v_mov_b64_e32 v[32:33], v[14:15]
	;; [unrolled: 1-line block ×9, first 2 shown]
	s_and_b64 s[48:49], s[6:7], vcc
	v_mov_b64_e32 v[16:17], v[14:15]
	v_mov_b64_e32 v[14:15], v[12:13]
	;; [unrolled: 1-line block ×7, first 2 shown]
	s_and_saveexec_b64 s[46:47], s[48:49]
	s_cbranch_execz .LBB136_10
; %bb.9:                                ;   in Loop: Header=BB136_3 Depth=1
	v_lshl_add_u64 v[4:5], v[40:41], 0, v[38:39]
	v_lshl_add_u64 v[6:7], v[42:43], 0, v[38:39]
	global_load_dwordx2 v[4:5], v[4:5], off
	v_mov_b32_e32 v8, v2
	global_load_dwordx2 v[20:21], v[6:7], off
	v_mov_b32_e32 v6, v2
	v_mov_b32_e32 v7, v2
	;; [unrolled: 1-line block ×27, first 2 shown]
.LBB136_10:                             ;   in Loop: Header=BB136_3 Depth=1
	s_or_b64 exec, exec, s[46:47]
	v_lshl_add_u64 v[80:81], v[74:75], 0, s[28:29]
	v_cmp_gt_i64_e32 vcc, s[8:9], v[80:81]
	s_and_b64 s[48:49], s[6:7], vcc
	s_and_saveexec_b64 s[46:47], s[48:49]
	s_cbranch_execz .LBB136_12
; %bb.11:                               ;   in Loop: Header=BB136_3 Depth=1
	v_lshl_add_u64 v[6:7], v[68:69], 0, v[38:39]
	v_lshl_add_u64 v[22:23], v[70:71], 0, v[38:39]
	global_load_dwordx2 v[6:7], v[6:7], off
	s_nop 0
	global_load_dwordx2 v[22:23], v[22:23], off
.LBB136_12:                             ;   in Loop: Header=BB136_3 Depth=1
	s_or_b64 exec, exec, s[46:47]
	v_lshl_add_u64 v[80:81], v[74:75], 0, s[30:31]
	v_cmp_gt_i64_e32 vcc, s[8:9], v[80:81]
	s_and_b64 s[48:49], s[6:7], vcc
	s_and_saveexec_b64 s[46:47], s[48:49]
	s_cbranch_execz .LBB136_14
; %bb.13:                               ;   in Loop: Header=BB136_3 Depth=1
	v_lshl_add_u64 v[8:9], v[64:65], 0, v[38:39]
	v_lshl_add_u64 v[24:25], v[66:67], 0, v[38:39]
	global_load_dwordx2 v[8:9], v[8:9], off
	s_nop 0
	global_load_dwordx2 v[24:25], v[24:25], off
.LBB136_14:                             ;   in Loop: Header=BB136_3 Depth=1
	;; [unrolled: 13-line block ×7, first 2 shown]
	s_or_b64 exec, exec, s[46:47]
	s_waitcnt vmcnt(0)
	ds_bpermute_b32 v80, v79, v76
	ds_bpermute_b32 v81, v79, v77
	ds_bpermute_b32 v82, v79, v76 offset:4
	ds_bpermute_b32 v83, v79, v77 offset:4
	v_mul_f64 v[4:5], v[20:21], v[4:5]
	ds_bpermute_b32 v20, v79, v76 offset:16
	s_waitcnt lgkmcnt(3)
	v_fma_f64 v[104:105], v[4:5], v[80:81], v[72:73]
	v_mul_f64 v[4:5], v[22:23], v[6:7]
	s_waitcnt lgkmcnt(1)
	v_fmac_f64_e32 v[104:105], v[4:5], v[82:83]
	ds_bpermute_b32 v4, v79, v76 offset:8
	ds_bpermute_b32 v5, v79, v77 offset:8
	v_mul_f64 v[6:7], v[24:25], v[8:9]
	ds_bpermute_b32 v8, v79, v76 offset:12
	ds_bpermute_b32 v9, v79, v77 offset:12
	;; [unrolled: 1-line block ×3, first 2 shown]
	s_waitcnt lgkmcnt(3)
	v_fmac_f64_e32 v[104:105], v[6:7], v[4:5]
	v_mul_f64 v[4:5], v[26:27], v[10:11]
	ds_bpermute_b32 v6, v79, v76 offset:20
	ds_bpermute_b32 v7, v79, v77 offset:20
	s_waitcnt lgkmcnt(3)
	v_fmac_f64_e32 v[104:105], v[4:5], v[8:9]
	v_mul_f64 v[4:5], v[28:29], v[12:13]
	ds_bpermute_b32 v10, v79, v76 offset:24
	ds_bpermute_b32 v11, v79, v77 offset:24
	s_waitcnt lgkmcnt(4)
	v_fmac_f64_e32 v[104:105], v[4:5], v[20:21]
	ds_bpermute_b32 v4, v79, v76 offset:28
	ds_bpermute_b32 v5, v79, v77 offset:28
	v_mul_f64 v[8:9], v[30:31], v[14:15]
	s_waitcnt lgkmcnt(4)
	v_fmac_f64_e32 v[104:105], v[8:9], v[6:7]
	v_mul_f64 v[6:7], v[32:33], v[16:17]
	s_waitcnt lgkmcnt(2)
	v_fmac_f64_e32 v[104:105], v[6:7], v[10:11]
	s_mov_b64 s[46:47], 0
.LBB136_25:                             ;   in Loop: Header=BB136_3 Depth=1
	s_and_b64 vcc, exec, s[46:47]
	s_cbranch_vccz .LBB136_40
; %bb.26:                               ;   in Loop: Header=BB136_3 Depth=1
	s_load_dword s46, s[20:21], 0x0
	v_mov_b64_e32 v[76:77], 0
	s_waitcnt lgkmcnt(0)
	s_cmp_lt_u32 s2, s46
	s_cselect_b32 s46, 12, 18
	s_add_u32 s46, s20, s46
	s_addc_u32 s47, s21, 0
	global_load_ushort v3, v2, s[46:47]
	s_waitcnt vmcnt(0)
	v_mad_u32_u24 v3, v78, v3, v1
	v_and_b32_e32 v4, 63, v3
	v_cmp_gt_u32_e32 vcc, 8, v4
	s_and_saveexec_b64 s[46:47], vcc
	s_cbranch_execz .LBB136_30
; %bb.27:                               ;   in Loop: Header=BB136_3 Depth=1
	v_mov_b32_e32 v5, v2
	v_lshl_add_u64 v[4:5], v[74:75], 0, v[4:5]
	v_lshl_add_u64 v[4:5], v[4:5], 0, s[26:27]
	v_cmp_gt_i64_e32 vcc, s[8:9], v[4:5]
	v_mov_b64_e32 v[76:77], 0
	s_and_saveexec_b64 s[48:49], vcc
	s_cbranch_execz .LBB136_29
; %bb.28:                               ;   in Loop: Header=BB136_3 Depth=1
	v_lshl_add_u64 v[4:5], v[4:5], 3, s[16:17]
	global_load_dwordx2 v[76:77], v[4:5], off
.LBB136_29:                             ;   in Loop: Header=BB136_3 Depth=1
	s_or_b64 exec, exec, s[48:49]
.LBB136_30:                             ;   in Loop: Header=BB136_3 Depth=1
	s_or_b64 exec, exec, s[46:47]
	v_mov_b32_e32 v16, v2
	v_mov_b32_e32 v17, v2
	;; [unrolled: 1-line block ×15, first 2 shown]
	v_mov_b64_e32 v[34:35], v[16:17]
	v_mov_b64_e32 v[32:33], v[14:15]
	;; [unrolled: 1-line block ×16, first 2 shown]
	s_and_saveexec_b64 s[46:47], s[6:7]
	s_cbranch_execnz .LBB136_42
; %bb.31:                               ;   in Loop: Header=BB136_3 Depth=1
	s_or_b64 exec, exec, s[46:47]
	s_and_saveexec_b64 s[46:47], s[6:7]
	s_cbranch_execnz .LBB136_43
.LBB136_32:                             ;   in Loop: Header=BB136_3 Depth=1
	s_or_b64 exec, exec, s[46:47]
	s_and_saveexec_b64 s[46:47], s[6:7]
	s_cbranch_execnz .LBB136_44
.LBB136_33:                             ;   in Loop: Header=BB136_3 Depth=1
	s_or_b64 exec, exec, s[46:47]
	s_and_saveexec_b64 s[46:47], s[6:7]
	s_cbranch_execnz .LBB136_45
.LBB136_34:                             ;   in Loop: Header=BB136_3 Depth=1
	s_or_b64 exec, exec, s[46:47]
	s_and_saveexec_b64 s[46:47], s[6:7]
	s_cbranch_execnz .LBB136_46
.LBB136_35:                             ;   in Loop: Header=BB136_3 Depth=1
	s_or_b64 exec, exec, s[46:47]
	s_and_saveexec_b64 s[46:47], s[6:7]
	s_cbranch_execnz .LBB136_47
.LBB136_36:                             ;   in Loop: Header=BB136_3 Depth=1
	s_or_b64 exec, exec, s[46:47]
	s_and_saveexec_b64 s[46:47], s[6:7]
	s_cbranch_execnz .LBB136_48
.LBB136_37:                             ;   in Loop: Header=BB136_3 Depth=1
	s_or_b64 exec, exec, s[46:47]
	s_and_saveexec_b64 s[46:47], s[6:7]
	s_cbranch_execz .LBB136_39
.LBB136_38:                             ;   in Loop: Header=BB136_3 Depth=1
	v_lshl_add_u64 v[18:19], v[44:45], 0, v[38:39]
	v_lshl_add_u64 v[34:35], v[46:47], 0, v[38:39]
	global_load_dwordx2 v[18:19], v[18:19], off
	s_nop 0
	global_load_dwordx2 v[34:35], v[34:35], off
.LBB136_39:                             ;   in Loop: Header=BB136_3 Depth=1
	s_or_b64 exec, exec, s[46:47]
	s_waitcnt vmcnt(0)
	ds_bpermute_b32 v74, v79, v76
	ds_bpermute_b32 v75, v79, v77
	ds_bpermute_b32 v80, v79, v76 offset:4
	ds_bpermute_b32 v81, v79, v77 offset:4
	v_mul_f64 v[4:5], v[20:21], v[4:5]
	ds_bpermute_b32 v20, v79, v76 offset:16
	s_waitcnt lgkmcnt(3)
	v_fmac_f64_e32 v[72:73], v[4:5], v[74:75]
	v_mul_f64 v[4:5], v[22:23], v[6:7]
	s_waitcnt lgkmcnt(1)
	v_fmac_f64_e32 v[72:73], v[4:5], v[80:81]
	ds_bpermute_b32 v4, v79, v76 offset:8
	ds_bpermute_b32 v5, v79, v77 offset:8
	v_mul_f64 v[6:7], v[24:25], v[8:9]
	ds_bpermute_b32 v8, v79, v76 offset:12
	ds_bpermute_b32 v9, v79, v77 offset:12
	;; [unrolled: 1-line block ×3, first 2 shown]
	s_waitcnt lgkmcnt(3)
	v_fmac_f64_e32 v[72:73], v[6:7], v[4:5]
	ds_bpermute_b32 v6, v79, v76 offset:20
	ds_bpermute_b32 v7, v79, v77 offset:20
	v_mul_f64 v[4:5], v[26:27], v[10:11]
	ds_bpermute_b32 v10, v79, v76 offset:24
	ds_bpermute_b32 v11, v79, v77 offset:24
	s_waitcnt lgkmcnt(5)
	v_fmac_f64_e32 v[72:73], v[4:5], v[8:9]
	v_mul_f64 v[4:5], v[28:29], v[12:13]
	s_waitcnt lgkmcnt(4)
	v_fmac_f64_e32 v[72:73], v[4:5], v[20:21]
	ds_bpermute_b32 v4, v79, v76 offset:28
	ds_bpermute_b32 v5, v79, v77 offset:28
	v_mul_f64 v[8:9], v[30:31], v[14:15]
	s_waitcnt lgkmcnt(4)
	v_fmac_f64_e32 v[72:73], v[8:9], v[6:7]
	v_mul_f64 v[6:7], v[32:33], v[16:17]
	s_waitcnt lgkmcnt(2)
	v_fmac_f64_e32 v[72:73], v[6:7], v[10:11]
	v_mov_b64_e32 v[104:105], v[72:73]
.LBB136_40:                             ;   in Loop: Header=BB136_3 Depth=1
	v_mul_f64 v[6:7], v[18:19], v[34:35]
	s_add_u32 s44, s44, s3
	s_waitcnt lgkmcnt(0)
	v_fmac_f64_e32 v[104:105], v[6:7], v[4:5]
	s_addc_u32 s45, s45, 0
	v_mov_b64_e32 v[4:5], s[8:9]
	s_add_u32 s24, s24, s3
	v_cmp_lt_i64_e32 vcc, s[44:45], v[4:5]
	v_lshl_add_u64 v[40:41], v[40:41], 0, s[22:23]
	v_lshl_add_u64 v[42:43], v[42:43], 0, s[22:23]
	v_lshl_add_u64 v[44:45], v[44:45], 0, s[22:23]
	v_lshl_add_u64 v[46:47], v[46:47], 0, s[22:23]
	v_lshl_add_u64 v[48:49], v[48:49], 0, s[22:23]
	v_lshl_add_u64 v[50:51], v[50:51], 0, s[22:23]
	v_lshl_add_u64 v[52:53], v[52:53], 0, s[22:23]
	v_lshl_add_u64 v[54:55], v[54:55], 0, s[22:23]
	v_lshl_add_u64 v[56:57], v[56:57], 0, s[22:23]
	v_lshl_add_u64 v[58:59], v[58:59], 0, s[22:23]
	v_lshl_add_u64 v[60:61], v[60:61], 0, s[22:23]
	v_lshl_add_u64 v[62:63], v[62:63], 0, s[22:23]
	v_lshl_add_u64 v[64:65], v[64:65], 0, s[22:23]
	v_lshl_add_u64 v[66:67], v[66:67], 0, s[22:23]
	v_lshl_add_u64 v[68:69], v[68:69], 0, s[22:23]
	v_lshl_add_u64 v[70:71], v[70:71], 0, s[22:23]
	s_addc_u32 s25, s25, 0
	s_cbranch_vccz .LBB136_50
; %bb.41:                               ;   in Loop: Header=BB136_3 Depth=1
	v_mov_b64_e32 v[72:73], v[104:105]
	s_branch .LBB136_3
.LBB136_42:                             ;   in Loop: Header=BB136_3 Depth=1
	v_lshl_add_u64 v[4:5], v[40:41], 0, v[38:39]
	v_lshl_add_u64 v[6:7], v[42:43], 0, v[38:39]
	global_load_dwordx2 v[4:5], v[4:5], off
	v_mov_b32_e32 v8, v2
	global_load_dwordx2 v[20:21], v[6:7], off
	v_mov_b32_e32 v6, v2
	v_mov_b32_e32 v7, v2
	;; [unrolled: 1-line block ×27, first 2 shown]
	s_or_b64 exec, exec, s[46:47]
	s_and_saveexec_b64 s[46:47], s[6:7]
	s_cbranch_execz .LBB136_32
.LBB136_43:                             ;   in Loop: Header=BB136_3 Depth=1
	v_lshl_add_u64 v[6:7], v[68:69], 0, v[38:39]
	v_lshl_add_u64 v[22:23], v[70:71], 0, v[38:39]
	global_load_dwordx2 v[6:7], v[6:7], off
	s_nop 0
	global_load_dwordx2 v[22:23], v[22:23], off
	s_or_b64 exec, exec, s[46:47]
	s_and_saveexec_b64 s[46:47], s[6:7]
	s_cbranch_execz .LBB136_33
.LBB136_44:                             ;   in Loop: Header=BB136_3 Depth=1
	v_lshl_add_u64 v[8:9], v[64:65], 0, v[38:39]
	v_lshl_add_u64 v[24:25], v[66:67], 0, v[38:39]
	global_load_dwordx2 v[8:9], v[8:9], off
	s_nop 0
	global_load_dwordx2 v[24:25], v[24:25], off
	s_or_b64 exec, exec, s[46:47]
	s_and_saveexec_b64 s[46:47], s[6:7]
	s_cbranch_execz .LBB136_34
.LBB136_45:                             ;   in Loop: Header=BB136_3 Depth=1
	v_lshl_add_u64 v[10:11], v[60:61], 0, v[38:39]
	v_lshl_add_u64 v[26:27], v[62:63], 0, v[38:39]
	global_load_dwordx2 v[10:11], v[10:11], off
	s_nop 0
	global_load_dwordx2 v[26:27], v[26:27], off
	s_or_b64 exec, exec, s[46:47]
	s_and_saveexec_b64 s[46:47], s[6:7]
	s_cbranch_execz .LBB136_35
.LBB136_46:                             ;   in Loop: Header=BB136_3 Depth=1
	v_lshl_add_u64 v[12:13], v[56:57], 0, v[38:39]
	v_lshl_add_u64 v[28:29], v[58:59], 0, v[38:39]
	global_load_dwordx2 v[12:13], v[12:13], off
	s_nop 0
	global_load_dwordx2 v[28:29], v[28:29], off
	s_or_b64 exec, exec, s[46:47]
	s_and_saveexec_b64 s[46:47], s[6:7]
	s_cbranch_execz .LBB136_36
.LBB136_47:                             ;   in Loop: Header=BB136_3 Depth=1
	v_lshl_add_u64 v[14:15], v[52:53], 0, v[38:39]
	v_lshl_add_u64 v[30:31], v[54:55], 0, v[38:39]
	global_load_dwordx2 v[14:15], v[14:15], off
	s_nop 0
	global_load_dwordx2 v[30:31], v[30:31], off
	s_or_b64 exec, exec, s[46:47]
	s_and_saveexec_b64 s[46:47], s[6:7]
	s_cbranch_execz .LBB136_37
.LBB136_48:                             ;   in Loop: Header=BB136_3 Depth=1
	v_lshl_add_u64 v[16:17], v[48:49], 0, v[38:39]
	v_lshl_add_u64 v[32:33], v[50:51], 0, v[38:39]
	global_load_dwordx2 v[16:17], v[16:17], off
	s_nop 0
	global_load_dwordx2 v[32:33], v[32:33], off
	s_or_b64 exec, exec, s[46:47]
	s_and_saveexec_b64 s[46:47], s[6:7]
	s_cbranch_execnz .LBB136_38
	s_branch .LBB136_39
.LBB136_49:
                                        ; implicit-def: $vgpr104_vgpr105
	s_branch .LBB136_51
.LBB136_50:
	s_cbranch_execnz .LBB136_83
.LBB136_51:
	s_and_b64 vcc, exec, s[4:5]
	v_mov_b64_e32 v[104:105], 0
	s_cbranch_vccnz .LBB136_83
; %bb.52:
	v_mov_b32_e32 v2, 0
	v_bfe_u32 v1, v0, 10, 10
	v_lshlrev_b32_e32 v6, 6, v1
	v_mov_b32_e32 v7, v2
	v_lshl_add_u64 v[6:7], s[18:19], 3, v[6:7]
	v_lshl_add_u64 v[8:9], v[6:7], 0, 8
	v_mov_b64_e32 v[10:11], s[12:13]
	v_mov_b64_e32 v[22:23], s[14:15]
	v_lshlrev_b32_e32 v36, 3, v1
	v_mov_b32_e32 v37, v2
	v_mad_u64_u32 v[38:39], s[4:5], s10, v8, v[10:11]
	v_mul_lo_u32 v3, s10, v9
	v_mul_lo_u32 v9, s11, v8
	v_lshl_add_u64 v[12:13], v[6:7], 0, 16
	v_lshl_add_u64 v[14:15], v[6:7], 0, 24
	;; [unrolled: 1-line block ×5, first 2 shown]
	v_mad_u64_u32 v[48:49], s[4:5], s10, v8, v[22:23]
	v_lshl_add_u64 v[6:7], v[6:7], 0, 56
	v_lshl_add_u64 v[4:5], v[36:37], 0, s[18:19]
	v_add3_u32 v39, v9, v39, v3
	v_add3_u32 v49, v9, v49, v3
	v_mad_u64_u32 v[54:55], s[4:5], s10, v6, v[10:11]
	v_mul_lo_u32 v7, s10, v7
	v_mul_lo_u32 v9, s11, v6
	v_mad_u64_u32 v[64:65], s[4:5], s10, v6, v[22:23]
	v_mad_u64_u32 v[50:51], s[4:5], s10, v20, v[10:11]
	v_mul_lo_u32 v3, s10, v21
	v_mul_lo_u32 v8, s11, v20
	v_add3_u32 v55, v9, v55, v7
	v_mad_u64_u32 v[62:63], s[4:5], s10, v20, v[22:23]
	v_add3_u32 v65, v9, v65, v7
	v_lshl_add_u64 v[6:7], v[4:5], 0, 7
	v_add3_u32 v51, v8, v51, v3
	v_add3_u32 v63, v8, v63, v3
	v_mul_lo_u32 v3, s11, v6
	v_mul_lo_u32 v8, s10, v7
	v_mad_u64_u32 v[6:7], s[4:5], s10, v6, 0
	v_add3_u32 v7, v7, v8, v3
	v_lshl_add_u64 v[8:9], v[4:5], 0, 6
	v_mad_u64_u32 v[40:41], s[4:5], s10, v12, v[10:11]
	v_mad_u64_u32 v[42:43], s[4:5], s10, v14, v[10:11]
	;; [unrolled: 1-line block ×4, first 2 shown]
	v_mul_lo_u32 v3, s11, v8
	v_mul_lo_u32 v10, s10, v9
	v_mad_u64_u32 v[8:9], s[4:5], s10, v8, 0
	v_add3_u32 v9, v9, v10, v3
	v_lshl_add_u64 v[10:11], v[4:5], 0, 5
	v_mul_lo_u32 v13, s10, v13
	v_mul_lo_u32 v24, s11, v12
	v_mad_u64_u32 v[52:53], s[4:5], s10, v12, v[22:23]
	v_mul_lo_u32 v3, s11, v10
	v_mul_lo_u32 v12, s10, v11
	v_mad_u64_u32 v[10:11], s[4:5], s10, v10, 0
	v_add3_u32 v41, v24, v41, v13
	v_add3_u32 v53, v24, v53, v13
	v_add3_u32 v11, v11, v12, v3
	v_lshl_add_u64 v[12:13], v[4:5], 0, 4
	v_mul_lo_u32 v15, s10, v15
	v_mul_lo_u32 v25, s11, v14
	v_mad_u64_u32 v[56:57], s[4:5], s10, v14, v[22:23]
	v_mul_lo_u32 v3, s11, v12
	v_mul_lo_u32 v14, s10, v13
	v_mad_u64_u32 v[12:13], s[4:5], s10, v12, 0
	v_add3_u32 v43, v25, v43, v15
	v_add3_u32 v57, v25, v57, v15
	;; [unrolled: 10-line block ×4, first 2 shown]
	v_add3_u32 v17, v17, v18, v3
	v_mov_b64_e32 v[18:19], s[10:11]
	v_mad_u64_u32 v[18:19], s[4:5], s10, v4, v[18:19]
	v_mul_lo_u32 v3, s11, v4
	v_mul_lo_u32 v20, s10, v5
	v_mad_u64_u32 v[4:5], s[4:5], s10, v4, 0
	v_add3_u32 v5, v5, v20, v3
	s_load_dword s3, s[0:1], 0x44
	v_lshlrev_b64 v[4:5], 3, v[4:5]
	v_lshl_add_u64 v[68:69], s[12:13], 0, v[4:5]
	v_lshl_add_u64 v[70:71], s[14:15], 0, v[4:5]
	v_lshlrev_b64 v[4:5], 3, v[6:7]
	v_lshl_add_u64 v[72:73], s[12:13], 0, v[4:5]
	v_lshl_add_u64 v[74:75], s[14:15], 0, v[4:5]
	v_lshlrev_b64 v[4:5], 3, v[8:9]
	s_add_u32 s4, s0, 64
	v_lshl_add_u64 v[76:77], s[12:13], 0, v[4:5]
	v_lshl_add_u64 v[78:79], s[14:15], 0, v[4:5]
	v_lshlrev_b64 v[4:5], 3, v[10:11]
	s_addc_u32 s5, s1, 0
	s_waitcnt lgkmcnt(0)
	s_lshl_b32 s3, s3, 7
	v_lshl_add_u64 v[80:81], s[12:13], 0, v[4:5]
	v_lshl_add_u64 v[82:83], s[14:15], 0, v[4:5]
	v_lshlrev_b64 v[4:5], 3, v[12:13]
	s_mul_i32 s6, s11, s3
	s_mul_hi_u32 s7, s10, s3
	v_lshl_add_u64 v[84:85], s[12:13], 0, v[4:5]
	v_lshl_add_u64 v[86:87], s[14:15], 0, v[4:5]
	v_lshlrev_b64 v[4:5], 3, v[14:15]
	v_add3_u32 v19, v3, v19, v20
	s_add_i32 s7, s7, s6
	s_mul_i32 s6, s10, s3
	v_lshl_add_u64 v[88:89], s[12:13], 0, v[4:5]
	v_lshl_add_u64 v[90:91], s[14:15], 0, v[4:5]
	v_lshlrev_b64 v[4:5], 3, v[16:17]
	v_mbcnt_lo_u32_b32 v3, -1, 0
	v_and_b32_e32 v108, 0x3ff, v0
	s_lshl_b64 s[6:7], s[6:7], 3
	v_lshl_add_u64 v[92:93], s[12:13], 0, v[4:5]
	v_lshl_add_u64 v[94:95], s[14:15], 0, v[4:5]
	v_lshlrev_b64 v[4:5], 3, v[18:19]
	v_mbcnt_hi_u32_b32 v3, -1, v3
	v_add_u32_e32 v20, s33, v108
	v_mov_b32_e32 v21, v2
	s_add_u32 s20, s18, 0x7f
	v_lshl_add_u64 v[96:97], s[12:13], 0, v[4:5]
	v_lshl_add_u64 v[98:99], s[14:15], 0, v[4:5]
	s_movk_i32 s12, 0xff81
	s_movk_i32 s14, 0xff82
	;; [unrolled: 1-line block ×8, first 2 shown]
	v_lshlrev_b32_e32 v3, 2, v3
	v_lshlrev_b64 v[66:67], 3, v[20:21]
	s_addc_u32 s21, 0, 0
	s_mov_b32 s13, -1
	s_mov_b32 s15, -1
	;; [unrolled: 1-line block ×8, first 2 shown]
	v_and_b32_e32 v109, 0x100, v3
	v_mov_b64_e32 v[100:101], 0
.LBB136_53:                             ; =>This Inner Loop Header: Depth=1
	v_mov_b64_e32 v[4:5], s[8:9]
	v_cmp_ge_i64_e32 vcc, s[20:21], v[4:5]
	v_lshl_add_u64 v[102:103], v[36:37], 0, s[20:21]
	s_mov_b64 s[36:37], -1
                                        ; implicit-def: $vgpr104_vgpr105
	s_cbranch_vccz .LBB136_75
; %bb.54:                               ;   in Loop: Header=BB136_53 Depth=1
	s_load_dword s33, s[4:5], 0xc
	v_mov_b64_e32 v[106:107], 0
	s_waitcnt lgkmcnt(0)
	s_and_b32 s33, s33, 0xffff
	v_mad_u32_u24 v3, v1, s33, v108
	v_and_b32_e32 v4, 63, v3
	v_cmp_gt_u32_e32 vcc, 8, v4
	s_and_saveexec_b64 s[36:37], vcc
	s_cbranch_execz .LBB136_58
; %bb.55:                               ;   in Loop: Header=BB136_53 Depth=1
	v_mov_b32_e32 v5, v2
	v_lshl_add_u64 v[4:5], v[102:103], 0, v[4:5]
	v_lshl_add_u64 v[4:5], v[4:5], 0, s[12:13]
	v_cmp_gt_i64_e32 vcc, s[8:9], v[4:5]
	v_mov_b64_e32 v[106:107], 0
	s_and_saveexec_b64 s[38:39], vcc
	s_cbranch_execz .LBB136_57
; %bb.56:                               ;   in Loop: Header=BB136_53 Depth=1
	v_lshl_add_u64 v[4:5], v[4:5], 3, s[16:17]
	global_load_dwordx2 v[106:107], v[4:5], off
.LBB136_57:                             ;   in Loop: Header=BB136_53 Depth=1
	s_or_b64 exec, exec, s[38:39]
.LBB136_58:                             ;   in Loop: Header=BB136_53 Depth=1
	s_or_b64 exec, exec, s[36:37]
	v_lshl_add_u64 v[4:5], v[102:103], 0, s[12:13]
	v_mov_b32_e32 v16, v2
	v_mov_b32_e32 v17, v2
	v_cmp_gt_i64_e32 vcc, s[8:9], v[4:5]
	v_mov_b32_e32 v3, v2
	v_mov_b32_e32 v4, v2
	;; [unrolled: 1-line block ×13, first 2 shown]
	v_mov_b64_e32 v[34:35], v[16:17]
	v_mov_b64_e32 v[32:33], v[14:15]
	;; [unrolled: 1-line block ×16, first 2 shown]
	s_and_saveexec_b64 s[36:37], vcc
	s_cbranch_execz .LBB136_60
; %bb.59:                               ;   in Loop: Header=BB136_53 Depth=1
	v_lshl_add_u64 v[4:5], v[68:69], 0, v[66:67]
	v_lshl_add_u64 v[6:7], v[70:71], 0, v[66:67]
	global_load_dwordx2 v[4:5], v[4:5], off
	v_mov_b32_e32 v8, v2
	global_load_dwordx2 v[20:21], v[6:7], off
	v_mov_b32_e32 v6, v2
	v_mov_b32_e32 v7, v2
	;; [unrolled: 1-line block ×27, first 2 shown]
.LBB136_60:                             ;   in Loop: Header=BB136_53 Depth=1
	s_or_b64 exec, exec, s[36:37]
	v_lshl_add_u64 v[104:105], v[102:103], 0, s[14:15]
	v_cmp_gt_i64_e32 vcc, s[8:9], v[104:105]
	s_and_saveexec_b64 s[36:37], vcc
	s_cbranch_execz .LBB136_62
; %bb.61:                               ;   in Loop: Header=BB136_53 Depth=1
	v_lshl_add_u64 v[6:7], v[96:97], 0, v[66:67]
	v_lshl_add_u64 v[22:23], v[98:99], 0, v[66:67]
	global_load_dwordx2 v[6:7], v[6:7], off
	s_nop 0
	global_load_dwordx2 v[22:23], v[22:23], off
.LBB136_62:                             ;   in Loop: Header=BB136_53 Depth=1
	s_or_b64 exec, exec, s[36:37]
	v_lshl_add_u64 v[104:105], v[102:103], 0, s[22:23]
	v_cmp_gt_i64_e32 vcc, s[8:9], v[104:105]
	s_and_saveexec_b64 s[36:37], vcc
	s_cbranch_execz .LBB136_64
; %bb.63:                               ;   in Loop: Header=BB136_53 Depth=1
	v_lshl_add_u64 v[8:9], v[92:93], 0, v[66:67]
	v_lshl_add_u64 v[24:25], v[94:95], 0, v[66:67]
	global_load_dwordx2 v[8:9], v[8:9], off
	s_nop 0
	global_load_dwordx2 v[24:25], v[24:25], off
.LBB136_64:                             ;   in Loop: Header=BB136_53 Depth=1
	;; [unrolled: 12-line block ×7, first 2 shown]
	s_or_b64 exec, exec, s[36:37]
	s_waitcnt vmcnt(0)
	ds_bpermute_b32 v104, v109, v106
	ds_bpermute_b32 v105, v109, v107
	ds_bpermute_b32 v110, v109, v106 offset:4
	ds_bpermute_b32 v111, v109, v107 offset:4
	v_mul_f64 v[4:5], v[20:21], v[4:5]
	ds_bpermute_b32 v20, v109, v106 offset:16
	s_waitcnt lgkmcnt(3)
	v_fma_f64 v[104:105], v[4:5], v[104:105], v[100:101]
	v_mul_f64 v[4:5], v[22:23], v[6:7]
	s_waitcnt lgkmcnt(1)
	v_fmac_f64_e32 v[104:105], v[4:5], v[110:111]
	ds_bpermute_b32 v4, v109, v106 offset:8
	ds_bpermute_b32 v5, v109, v107 offset:8
	v_mul_f64 v[6:7], v[24:25], v[8:9]
	ds_bpermute_b32 v8, v109, v106 offset:12
	ds_bpermute_b32 v9, v109, v107 offset:12
	;; [unrolled: 1-line block ×3, first 2 shown]
	s_waitcnt lgkmcnt(3)
	v_fmac_f64_e32 v[104:105], v[6:7], v[4:5]
	v_mul_f64 v[4:5], v[26:27], v[10:11]
	ds_bpermute_b32 v10, v109, v106 offset:28
	s_waitcnt lgkmcnt(2)
	v_fmac_f64_e32 v[104:105], v[4:5], v[8:9]
	v_mul_f64 v[4:5], v[28:29], v[12:13]
	s_waitcnt lgkmcnt(1)
	v_fmac_f64_e32 v[104:105], v[4:5], v[20:21]
	ds_bpermute_b32 v4, v109, v106 offset:20
	ds_bpermute_b32 v5, v109, v107 offset:20
	ds_bpermute_b32 v8, v109, v106 offset:24
	ds_bpermute_b32 v9, v109, v107 offset:24
	ds_bpermute_b32 v11, v109, v107 offset:28
	v_mul_f64 v[6:7], v[30:31], v[14:15]
	s_waitcnt lgkmcnt(3)
	v_fmac_f64_e32 v[104:105], v[6:7], v[4:5]
	v_mul_f64 v[4:5], v[32:33], v[16:17]
	s_waitcnt lgkmcnt(1)
	v_fmac_f64_e32 v[104:105], v[4:5], v[8:9]
	;; [unrolled: 3-line block ×3, first 2 shown]
	s_mov_b64 s[36:37], 0
.LBB136_75:                             ;   in Loop: Header=BB136_53 Depth=1
	s_and_b64 vcc, exec, s[36:37]
	s_cbranch_vccz .LBB136_81
; %bb.76:                               ;   in Loop: Header=BB136_53 Depth=1
	s_load_dword s33, s[4:5], 0x0
	v_mov_b64_e32 v[4:5], 0
	s_waitcnt lgkmcnt(0)
	s_cmp_lt_u32 s2, s33
	s_cselect_b32 s33, 12, 18
	s_add_u32 s36, s4, s33
	s_addc_u32 s37, s5, 0
	global_load_ushort v3, v2, s[36:37]
	s_waitcnt vmcnt(0)
	v_mad_u32_u24 v3, v1, v3, v108
	v_and_b32_e32 v6, 63, v3
	v_cmp_gt_u32_e32 vcc, 8, v6
	s_and_saveexec_b64 s[36:37], vcc
	s_cbranch_execz .LBB136_80
; %bb.77:                               ;   in Loop: Header=BB136_53 Depth=1
	v_mov_b32_e32 v7, v2
	v_lshl_add_u64 v[4:5], v[102:103], 0, v[6:7]
	v_lshl_add_u64 v[6:7], v[4:5], 0, s[12:13]
	v_cmp_gt_i64_e32 vcc, s[8:9], v[6:7]
	v_mov_b64_e32 v[4:5], 0
	s_and_saveexec_b64 s[38:39], vcc
	s_cbranch_execz .LBB136_79
; %bb.78:                               ;   in Loop: Header=BB136_53 Depth=1
	v_lshl_add_u64 v[4:5], v[6:7], 3, s[16:17]
	global_load_dwordx2 v[4:5], v[4:5], off
.LBB136_79:                             ;   in Loop: Header=BB136_53 Depth=1
	s_or_b64 exec, exec, s[38:39]
.LBB136_80:                             ;   in Loop: Header=BB136_53 Depth=1
	s_or_b64 exec, exec, s[36:37]
	v_lshl_add_u64 v[6:7], v[68:69], 0, v[66:67]
	v_lshl_add_u64 v[8:9], v[70:71], 0, v[66:67]
	global_load_dwordx2 v[6:7], v[6:7], off
	v_lshl_add_u64 v[10:11], v[38:39], 0, v[66:67]
	global_load_dwordx2 v[8:9], v[8:9], off
	;; [unrolled: 2-line block ×10, first 2 shown]
	v_lshl_add_u64 v[28:29], v[60:61], 0, v[66:67]
	v_lshl_add_u64 v[30:31], v[50:51], 0, v[66:67]
	;; [unrolled: 1-line block ×3, first 2 shown]
	global_load_dwordx2 v[34:35], v[26:27], off
	global_load_dwordx2 v[102:103], v[28:29], off
	global_load_dwordx2 v[104:105], v[30:31], off
	global_load_dwordx2 v[106:107], v[32:33], off
	v_lshl_add_u64 v[26:27], v[54:55], 0, v[66:67]
	v_lshl_add_u64 v[28:29], v[64:65], 0, v[66:67]
	global_load_dwordx2 v[30:31], v[26:27], off
	global_load_dwordx2 v[32:33], v[28:29], off
	s_waitcnt vmcnt(16)
	ds_bpermute_b32 v26, v109, v4
	ds_bpermute_b32 v27, v109, v5
	ds_bpermute_b32 v28, v109, v4 offset:4
	ds_bpermute_b32 v29, v109, v5 offset:4
	;; [unrolled: 1-line block ×14, first 2 shown]
	s_waitcnt vmcnt(14)
	v_mul_f64 v[6:7], v[6:7], v[8:9]
	s_waitcnt lgkmcnt(14)
	v_fmac_f64_e32 v[100:101], v[6:7], v[26:27]
	s_waitcnt vmcnt(12)
	v_mul_f64 v[8:9], v[10:11], v[12:13]
	s_waitcnt lgkmcnt(12)
	v_fmac_f64_e32 v[100:101], v[8:9], v[28:29]
	;; [unrolled: 4-line block ×8, first 2 shown]
	v_mov_b64_e32 v[104:105], v[100:101]
.LBB136_81:                             ;   in Loop: Header=BB136_53 Depth=1
	s_add_u32 s18, s18, s3
	s_addc_u32 s19, s19, 0
	v_mov_b64_e32 v[4:5], s[8:9]
	s_add_u32 s20, s20, s3
	v_cmp_ge_i64_e32 vcc, s[18:19], v[4:5]
	v_lshl_add_u64 v[68:69], v[68:69], 0, s[6:7]
	v_lshl_add_u64 v[70:71], v[70:71], 0, s[6:7]
	s_addc_u32 s21, s21, 0
	v_lshl_add_u64 v[38:39], v[38:39], 0, s[6:7]
	v_lshl_add_u64 v[40:41], v[40:41], 0, s[6:7]
	v_lshl_add_u64 v[42:43], v[42:43], 0, s[6:7]
	v_lshl_add_u64 v[44:45], v[44:45], 0, s[6:7]
	v_lshl_add_u64 v[46:47], v[46:47], 0, s[6:7]
	v_lshl_add_u64 v[50:51], v[50:51], 0, s[6:7]
	v_lshl_add_u64 v[54:55], v[54:55], 0, s[6:7]
	v_lshl_add_u64 v[48:49], v[48:49], 0, s[6:7]
	v_lshl_add_u64 v[52:53], v[52:53], 0, s[6:7]
	v_lshl_add_u64 v[56:57], v[56:57], 0, s[6:7]
	v_lshl_add_u64 v[58:59], v[58:59], 0, s[6:7]
	v_lshl_add_u64 v[60:61], v[60:61], 0, s[6:7]
	v_lshl_add_u64 v[62:63], v[62:63], 0, s[6:7]
	v_lshl_add_u64 v[64:65], v[64:65], 0, s[6:7]
	v_lshl_add_u64 v[72:73], v[72:73], 0, s[6:7]
	v_lshl_add_u64 v[74:75], v[74:75], 0, s[6:7]
	v_lshl_add_u64 v[76:77], v[76:77], 0, s[6:7]
	v_lshl_add_u64 v[78:79], v[78:79], 0, s[6:7]
	v_lshl_add_u64 v[80:81], v[80:81], 0, s[6:7]
	v_lshl_add_u64 v[82:83], v[82:83], 0, s[6:7]
	v_lshl_add_u64 v[84:85], v[84:85], 0, s[6:7]
	v_lshl_add_u64 v[86:87], v[86:87], 0, s[6:7]
	v_lshl_add_u64 v[88:89], v[88:89], 0, s[6:7]
	v_lshl_add_u64 v[90:91], v[90:91], 0, s[6:7]
	v_lshl_add_u64 v[92:93], v[92:93], 0, s[6:7]
	v_lshl_add_u64 v[94:95], v[94:95], 0, s[6:7]
	v_lshl_add_u64 v[96:97], v[96:97], 0, s[6:7]
	v_lshl_add_u64 v[98:99], v[98:99], 0, s[6:7]
	s_cbranch_vccnz .LBB136_83
; %bb.82:                               ;   in Loop: Header=BB136_53 Depth=1
	v_mov_b64_e32 v[100:101], v[104:105]
	s_branch .LBB136_53
.LBB136_83:
	v_and_b32_e32 v1, 0x3ff, v0
	v_bfe_u32 v0, v0, 10, 10
	v_mad_u32_u24 v4, v0, 33, v1
	v_mov_b32_e32 v2, 0
	v_sub_u32_e32 v7, v4, v0
	s_movk_i32 s3, 0x800
	v_lshl_add_u32 v5, v4, 3, 0
	v_mov_b32_e32 v3, v2
	v_cmp_gt_u32_e32 vcc, s3, v7
	ds_write_b64 v5, v[104:105]
	ds_write_b64 v5, v[2:3] offset:4224
	s_waitcnt lgkmcnt(0)
	s_barrier
	s_and_saveexec_b64 s[4:5], vcc
	s_cbranch_execz .LBB136_103
; %bb.84:
	s_load_dwordx2 s[4:5], s[0:1], 0x30
	v_and_b32_e32 v2, 63, v7
	v_lshrrev_b32_e32 v0, 6, v7
	v_cmp_gt_u32_e32 vcc, 16, v2
	v_mul_u32_u24_e32 v6, 33, v2
                                        ; implicit-def: $vgpr2_vgpr3
	s_and_saveexec_b64 s[0:1], vcc
; %bb.85:
	v_lshlrev_b32_e32 v2, 3, v0
	v_lshlrev_b32_e32 v3, 3, v6
	v_add3_u32 v2, 0, v2, v3
	ds_read_b64 v[2:3], v2
; %bb.86:
	s_or_b64 exec, exec, s[0:1]
	v_mbcnt_lo_u32_b32 v4, -1, 0
	v_mbcnt_hi_u32_b32 v11, -1, v4
	v_and_b32_e32 v4, 64, v11
	v_add_u32_e32 v12, 64, v4
	v_xor_b32_e32 v4, 8, v11
	v_cmp_lt_i32_e64 s[0:1], v4, v12
	v_xor_b32_e32 v9, 4, v11
	s_mov_b32 s3, 0
	v_cndmask_b32_e64 v4, v11, v4, s[0:1]
	v_lshlrev_b32_e32 v8, 2, v4
	s_waitcnt lgkmcnt(0)
	ds_bpermute_b32 v4, v8, v2
	ds_bpermute_b32 v5, v8, v3
	v_cmp_lt_i32_e64 s[0:1], v9, v12
	s_lshl_b64 s[6:7], s[2:3], 5
	s_cmp_eq_u64 s[4:5], 0
	s_cselect_b64 s[8:9], -1, 0
	s_waitcnt lgkmcnt(0)
	v_add_f64 v[2:3], v[2:3], v[4:5]
	v_cndmask_b32_e64 v4, v11, v9, s[0:1]
	v_lshlrev_b32_e32 v9, 2, v4
	ds_bpermute_b32 v4, v9, v2
	ds_bpermute_b32 v5, v9, v3
	s_waitcnt lgkmcnt(0)
	v_add_f64 v[2:3], v[2:3], v[4:5]
	v_xor_b32_e32 v4, 2, v11
	v_cmp_lt_i32_e64 s[0:1], v4, v12
	s_nop 1
	v_cndmask_b32_e64 v4, v11, v4, s[0:1]
	v_lshlrev_b32_e32 v10, 2, v4
	ds_bpermute_b32 v4, v10, v2
	ds_bpermute_b32 v5, v10, v3
	s_waitcnt lgkmcnt(0)
	v_add_f64 v[2:3], v[2:3], v[4:5]
	v_xor_b32_e32 v4, 1, v11
	v_cmp_lt_i32_e64 s[0:1], v4, v12
	s_nop 1
	v_cndmask_b32_e64 v4, v11, v4, s[0:1]
	v_lshlrev_b32_e32 v11, 2, v4
	ds_bpermute_b32 v4, v11, v2
	ds_bpermute_b32 v5, v11, v3
	v_cmp_ne_u32_e64 s[0:1], 0, v1
	s_waitcnt lgkmcnt(0)
	v_add_f64 v[2:3], v[2:3], v[4:5]
	v_or_b32_e32 v4, s6, v0
	v_mov_b32_e32 v5, s7
	v_cmp_le_i64_e64 s[2:3], s[10:11], v[4:5]
	s_or_b64 s[2:3], s[0:1], s[2:3]
	s_nor_b64 s[12:13], s[8:9], s[2:3]
	s_and_saveexec_b64 s[2:3], s[12:13]
	s_cbranch_execz .LBB136_88
; %bb.87:
	v_lshl_add_u64 v[4:5], v[4:5], 3, s[4:5]
	global_store_dwordx2 v[4:5], v[2:3], off
.LBB136_88:
	s_or_b64 exec, exec, s[2:3]
	s_movk_i32 s2, 0x600
	v_cmp_gt_u32_e64 s[2:3], s2, v7
	s_and_b64 exec, exec, s[2:3]
	s_cbranch_execz .LBB136_103
; %bb.89:
	v_mov_b32_e32 v1, 0
	s_and_saveexec_b64 s[2:3], vcc
; %bb.90:
	v_lshlrev_b32_e32 v2, 3, v0
	v_lshlrev_b32_e32 v3, 3, v6
	v_add3_u32 v2, 0, v2, v3
	ds_read_b64 v[2:3], v2 offset:64
; %bb.91:
	s_or_b64 exec, exec, s[2:3]
	s_waitcnt lgkmcnt(0)
	ds_bpermute_b32 v4, v8, v2
	ds_bpermute_b32 v5, v8, v3
	v_add_u32_e32 v12, 8, v0
	v_mov_b32_e32 v13, v1
	v_lshl_add_u64 v[12:13], s[6:7], 0, v[12:13]
	v_cmp_le_i64_e64 s[2:3], s[10:11], v[12:13]
	s_waitcnt lgkmcnt(0)
	v_add_f64 v[2:3], v[2:3], v[4:5]
	ds_bpermute_b32 v4, v9, v2
	ds_bpermute_b32 v5, v9, v3
	s_or_b64 s[2:3], s[0:1], s[2:3]
	s_nor_b64 s[12:13], s[8:9], s[2:3]
	s_waitcnt lgkmcnt(0)
	v_add_f64 v[2:3], v[2:3], v[4:5]
	ds_bpermute_b32 v4, v10, v2
	ds_bpermute_b32 v5, v10, v3
	s_waitcnt lgkmcnt(0)
	v_add_f64 v[2:3], v[2:3], v[4:5]
	ds_bpermute_b32 v4, v11, v2
	ds_bpermute_b32 v5, v11, v3
	s_waitcnt lgkmcnt(0)
	v_add_f64 v[2:3], v[2:3], v[4:5]
	s_and_saveexec_b64 s[2:3], s[12:13]
	s_cbranch_execz .LBB136_93
; %bb.92:
	v_lshl_add_u64 v[4:5], s[6:7], 0, v[0:1]
	v_lshl_add_u64 v[4:5], v[4:5], 3, s[4:5]
	global_store_dwordx2 v[4:5], v[2:3], off offset:64
.LBB136_93:
	s_or_b64 exec, exec, s[2:3]
	s_movk_i32 s2, 0x400
	v_cmp_gt_u32_e64 s[2:3], s2, v7
	s_and_b64 exec, exec, s[2:3]
	s_cbranch_execz .LBB136_103
; %bb.94:
	s_and_saveexec_b64 s[2:3], vcc
; %bb.95:
	v_lshlrev_b32_e32 v2, 3, v0
	v_lshlrev_b32_e32 v3, 3, v6
	v_add3_u32 v2, 0, v2, v3
	ds_read_b64 v[2:3], v2 offset:128
; %bb.96:
	s_or_b64 exec, exec, s[2:3]
	s_waitcnt lgkmcnt(0)
	ds_bpermute_b32 v4, v8, v2
	ds_bpermute_b32 v5, v8, v3
	v_add_u32_e32 v12, 16, v0
	v_mov_b32_e32 v13, s7
	v_or_b32_e32 v12, s6, v12
	v_cmp_le_i64_e64 s[2:3], s[10:11], v[12:13]
	s_waitcnt lgkmcnt(0)
	v_add_f64 v[2:3], v[2:3], v[4:5]
	ds_bpermute_b32 v4, v9, v2
	ds_bpermute_b32 v5, v9, v3
	s_or_b64 s[2:3], s[0:1], s[2:3]
	s_nor_b64 s[12:13], s[8:9], s[2:3]
	s_waitcnt lgkmcnt(0)
	v_add_f64 v[2:3], v[2:3], v[4:5]
	ds_bpermute_b32 v4, v10, v2
	ds_bpermute_b32 v5, v10, v3
	s_waitcnt lgkmcnt(0)
	v_add_f64 v[2:3], v[2:3], v[4:5]
	ds_bpermute_b32 v4, v11, v2
	ds_bpermute_b32 v5, v11, v3
	s_waitcnt lgkmcnt(0)
	v_add_f64 v[2:3], v[2:3], v[4:5]
	s_and_saveexec_b64 s[2:3], s[12:13]
	s_cbranch_execz .LBB136_98
; %bb.97:
	v_lshl_add_u64 v[4:5], s[6:7], 0, v[0:1]
	v_lshl_add_u64 v[4:5], v[4:5], 3, s[4:5]
	global_store_dwordx2 v[4:5], v[2:3], off offset:128
.LBB136_98:
	s_or_b64 exec, exec, s[2:3]
	s_movk_i32 s2, 0x200
	v_cmp_gt_u32_e64 s[2:3], s2, v7
	s_and_b64 exec, exec, s[2:3]
	s_cbranch_execz .LBB136_103
; %bb.99:
	s_and_saveexec_b64 s[2:3], vcc
; %bb.100:
	v_lshlrev_b32_e32 v2, 3, v0
	v_lshlrev_b32_e32 v3, 3, v6
	v_add3_u32 v2, 0, v2, v3
	ds_read_b64 v[2:3], v2 offset:192
; %bb.101:
	s_or_b64 exec, exec, s[2:3]
	s_waitcnt lgkmcnt(0)
	ds_bpermute_b32 v4, v8, v2
	ds_bpermute_b32 v5, v8, v3
	v_add_u32_e32 v6, 24, v0
	v_or_b32_e32 v6, s6, v6
	v_mov_b32_e32 v7, s7
	v_cmp_le_i64_e32 vcc, s[10:11], v[6:7]
	s_waitcnt lgkmcnt(0)
	v_add_f64 v[2:3], v[2:3], v[4:5]
	ds_bpermute_b32 v4, v9, v2
	ds_bpermute_b32 v5, v9, v3
	s_or_b64 s[0:1], s[0:1], vcc
	s_nor_b64 s[0:1], s[8:9], s[0:1]
	s_waitcnt lgkmcnt(0)
	v_add_f64 v[2:3], v[2:3], v[4:5]
	ds_bpermute_b32 v4, v10, v2
	ds_bpermute_b32 v5, v10, v3
	s_waitcnt lgkmcnt(0)
	v_add_f64 v[2:3], v[2:3], v[4:5]
	ds_bpermute_b32 v4, v11, v2
	ds_bpermute_b32 v5, v11, v3
	s_and_saveexec_b64 s[2:3], s[0:1]
	s_xor_b64 s[2:3], exec, s[2:3]
	s_cbranch_execz .LBB136_103
; %bb.102:
	v_lshl_add_u64 v[0:1], s[6:7], 0, v[0:1]
	s_waitcnt lgkmcnt(0)
	v_add_f64 v[2:3], v[2:3], v[4:5]
	v_lshl_add_u64 v[0:1], v[0:1], 3, s[4:5]
	global_store_dwordx2 v[0:1], v[2:3], off offset:192
.LBB136_103:
	s_endpgm
	.section	.rodata,"a",@progbits
	.p2align	6, 0x0
	.amdhsa_kernel _ZN2at6native12_GLOBAL__N_135GammaBetaBackwardCUDAKernelTemplateIddLj32ELj16ELj128ELb0ELb0ELb1EEEvllPKT_S5_PKT0_S8_PS3_S9_
		.amdhsa_group_segment_fixed_size 0
		.amdhsa_private_segment_fixed_size 0
		.amdhsa_kernarg_size 320
		.amdhsa_user_sgpr_count 2
		.amdhsa_user_sgpr_dispatch_ptr 0
		.amdhsa_user_sgpr_queue_ptr 0
		.amdhsa_user_sgpr_kernarg_segment_ptr 1
		.amdhsa_user_sgpr_dispatch_id 0
		.amdhsa_user_sgpr_kernarg_preload_length 0
		.amdhsa_user_sgpr_kernarg_preload_offset 0
		.amdhsa_user_sgpr_private_segment_size 0
		.amdhsa_uses_dynamic_stack 0
		.amdhsa_enable_private_segment 0
		.amdhsa_system_sgpr_workgroup_id_x 1
		.amdhsa_system_sgpr_workgroup_id_y 1
		.amdhsa_system_sgpr_workgroup_id_z 0
		.amdhsa_system_sgpr_workgroup_info 0
		.amdhsa_system_vgpr_workitem_id 1
		.amdhsa_next_free_vgpr 120
		.amdhsa_next_free_sgpr 50
		.amdhsa_accum_offset 120
		.amdhsa_reserve_vcc 1
		.amdhsa_float_round_mode_32 0
		.amdhsa_float_round_mode_16_64 0
		.amdhsa_float_denorm_mode_32 3
		.amdhsa_float_denorm_mode_16_64 3
		.amdhsa_dx10_clamp 1
		.amdhsa_ieee_mode 1
		.amdhsa_fp16_overflow 0
		.amdhsa_tg_split 0
		.amdhsa_exception_fp_ieee_invalid_op 0
		.amdhsa_exception_fp_denorm_src 0
		.amdhsa_exception_fp_ieee_div_zero 0
		.amdhsa_exception_fp_ieee_overflow 0
		.amdhsa_exception_fp_ieee_underflow 0
		.amdhsa_exception_fp_ieee_inexact 0
		.amdhsa_exception_int_div_zero 0
	.end_amdhsa_kernel
	.section	.text._ZN2at6native12_GLOBAL__N_135GammaBetaBackwardCUDAKernelTemplateIddLj32ELj16ELj128ELb0ELb0ELb1EEEvllPKT_S5_PKT0_S8_PS3_S9_,"axG",@progbits,_ZN2at6native12_GLOBAL__N_135GammaBetaBackwardCUDAKernelTemplateIddLj32ELj16ELj128ELb0ELb0ELb1EEEvllPKT_S5_PKT0_S8_PS3_S9_,comdat
.Lfunc_end136:
	.size	_ZN2at6native12_GLOBAL__N_135GammaBetaBackwardCUDAKernelTemplateIddLj32ELj16ELj128ELb0ELb0ELb1EEEvllPKT_S5_PKT0_S8_PS3_S9_, .Lfunc_end136-_ZN2at6native12_GLOBAL__N_135GammaBetaBackwardCUDAKernelTemplateIddLj32ELj16ELj128ELb0ELb0ELb1EEEvllPKT_S5_PKT0_S8_PS3_S9_
                                        ; -- End function
	.set _ZN2at6native12_GLOBAL__N_135GammaBetaBackwardCUDAKernelTemplateIddLj32ELj16ELj128ELb0ELb0ELb1EEEvllPKT_S5_PKT0_S8_PS3_S9_.num_vgpr, 120
	.set _ZN2at6native12_GLOBAL__N_135GammaBetaBackwardCUDAKernelTemplateIddLj32ELj16ELj128ELb0ELb0ELb1EEEvllPKT_S5_PKT0_S8_PS3_S9_.num_agpr, 0
	.set _ZN2at6native12_GLOBAL__N_135GammaBetaBackwardCUDAKernelTemplateIddLj32ELj16ELj128ELb0ELb0ELb1EEEvllPKT_S5_PKT0_S8_PS3_S9_.numbered_sgpr, 50
	.set _ZN2at6native12_GLOBAL__N_135GammaBetaBackwardCUDAKernelTemplateIddLj32ELj16ELj128ELb0ELb0ELb1EEEvllPKT_S5_PKT0_S8_PS3_S9_.num_named_barrier, 0
	.set _ZN2at6native12_GLOBAL__N_135GammaBetaBackwardCUDAKernelTemplateIddLj32ELj16ELj128ELb0ELb0ELb1EEEvllPKT_S5_PKT0_S8_PS3_S9_.private_seg_size, 0
	.set _ZN2at6native12_GLOBAL__N_135GammaBetaBackwardCUDAKernelTemplateIddLj32ELj16ELj128ELb0ELb0ELb1EEEvllPKT_S5_PKT0_S8_PS3_S9_.uses_vcc, 1
	.set _ZN2at6native12_GLOBAL__N_135GammaBetaBackwardCUDAKernelTemplateIddLj32ELj16ELj128ELb0ELb0ELb1EEEvllPKT_S5_PKT0_S8_PS3_S9_.uses_flat_scratch, 0
	.set _ZN2at6native12_GLOBAL__N_135GammaBetaBackwardCUDAKernelTemplateIddLj32ELj16ELj128ELb0ELb0ELb1EEEvllPKT_S5_PKT0_S8_PS3_S9_.has_dyn_sized_stack, 0
	.set _ZN2at6native12_GLOBAL__N_135GammaBetaBackwardCUDAKernelTemplateIddLj32ELj16ELj128ELb0ELb0ELb1EEEvllPKT_S5_PKT0_S8_PS3_S9_.has_recursion, 0
	.set _ZN2at6native12_GLOBAL__N_135GammaBetaBackwardCUDAKernelTemplateIddLj32ELj16ELj128ELb0ELb0ELb1EEEvllPKT_S5_PKT0_S8_PS3_S9_.has_indirect_call, 0
	.section	.AMDGPU.csdata,"",@progbits
; Kernel info:
; codeLenInByte = 7560
; TotalNumSgprs: 56
; NumVgprs: 120
; NumAgprs: 0
; TotalNumVgprs: 120
; ScratchSize: 0
; MemoryBound: 1
; FloatMode: 240
; IeeeMode: 1
; LDSByteSize: 0 bytes/workgroup (compile time only)
; SGPRBlocks: 6
; VGPRBlocks: 14
; NumSGPRsForWavesPerEU: 56
; NumVGPRsForWavesPerEU: 120
; AccumOffset: 120
; Occupancy: 4
; WaveLimiterHint : 0
; COMPUTE_PGM_RSRC2:SCRATCH_EN: 0
; COMPUTE_PGM_RSRC2:USER_SGPR: 2
; COMPUTE_PGM_RSRC2:TRAP_HANDLER: 0
; COMPUTE_PGM_RSRC2:TGID_X_EN: 1
; COMPUTE_PGM_RSRC2:TGID_Y_EN: 1
; COMPUTE_PGM_RSRC2:TGID_Z_EN: 0
; COMPUTE_PGM_RSRC2:TIDIG_COMP_CNT: 1
; COMPUTE_PGM_RSRC3_GFX90A:ACCUM_OFFSET: 29
; COMPUTE_PGM_RSRC3_GFX90A:TG_SPLIT: 0
	.section	.text._ZN2at6native12_GLOBAL__N_135GammaBetaBackwardCUDAKernelTemplateIddLj32ELj32ELj256ELb0ELb1ELb1EEEvllPKT_S5_PKT0_S8_PS3_S9_,"axG",@progbits,_ZN2at6native12_GLOBAL__N_135GammaBetaBackwardCUDAKernelTemplateIddLj32ELj32ELj256ELb0ELb1ELb1EEEvllPKT_S5_PKT0_S8_PS3_S9_,comdat
	.globl	_ZN2at6native12_GLOBAL__N_135GammaBetaBackwardCUDAKernelTemplateIddLj32ELj32ELj256ELb0ELb1ELb1EEEvllPKT_S5_PKT0_S8_PS3_S9_ ; -- Begin function _ZN2at6native12_GLOBAL__N_135GammaBetaBackwardCUDAKernelTemplateIddLj32ELj32ELj256ELb0ELb1ELb1EEEvllPKT_S5_PKT0_S8_PS3_S9_
	.p2align	8
	.type	_ZN2at6native12_GLOBAL__N_135GammaBetaBackwardCUDAKernelTemplateIddLj32ELj32ELj256ELb0ELb1ELb1EEEvllPKT_S5_PKT0_S8_PS3_S9_,@function
_ZN2at6native12_GLOBAL__N_135GammaBetaBackwardCUDAKernelTemplateIddLj32ELj32ELj256ELb0ELb1ELb1EEEvllPKT_S5_PKT0_S8_PS3_S9_: ; @_ZN2at6native12_GLOBAL__N_135GammaBetaBackwardCUDAKernelTemplateIddLj32ELj32ELj256ELb0ELb1ELb1EEEvllPKT_S5_PKT0_S8_PS3_S9_
; %bb.0:
	s_load_dwordx4 s[4:7], s[0:1], 0x0
	s_lshl_b32 s14, s3, 8
	s_mov_b32 s15, 0
	v_mov_b64_e32 v[2:3], s[14:15]
	v_bfe_u32 v14, v0, 10, 10
	s_waitcnt lgkmcnt(0)
	v_cmp_gt_i64_e32 vcc, s[4:5], v[2:3]
	s_cbranch_vccnz .LBB137_2
; %bb.1:
	s_mov_b64 s[8:9], 0
	v_bfe_u32 v2, v0, 10, 10
	s_branch .LBB137_3
.LBB137_2:
	s_mov_b64 s[8:9], -1
                                        ; implicit-def: $vgpr2
.LBB137_3:
	s_load_dwordx2 s[12:13], s[0:1], 0x30
	v_and_b32_e32 v12, 0x3ff, v0
	v_mov_b64_e32 v[0:1], 0
	s_andn2_b64 vcc, exec, s[8:9]
	v_mbcnt_lo_u32_b32 v13, -1, 0
	s_cbranch_vccnz .LBB137_11
; %bb.4:
	s_load_dword s3, s[0:1], 0x4c
	s_load_dword s16, s[0:1], 0x44
	s_load_dwordx2 s[18:19], s[0:1], 0x28
	s_load_dwordx4 s[8:11], s[0:1], 0x10
	v_lshlrev_b32_e32 v0, 3, v14
	s_waitcnt lgkmcnt(0)
	s_and_b32 s0, s3, 0xffff
	v_mad_u32_u24 v1, v14, s0, v12
	v_and_b32_e32 v2, 63, v1
	v_mov_b32_e32 v1, 0
	v_mov_b32_e32 v3, v1
	;; [unrolled: 1-line block ×3, first 2 shown]
	v_lshl_add_u64 v[0:1], v[0:1], 0, s[14:15]
	v_cmp_gt_u32_e64 s[0:1], 8, v2
	v_mbcnt_hi_u32_b32 v4, -1, v13
	s_lshl_b32 s16, s16, 8
	v_lshl_add_u64 v[2:3], v[0:1], 0, v[2:3]
	v_mul_lo_u32 v8, s7, v0
	v_mul_lo_u32 v9, s6, v1
	v_mad_u64_u32 v[0:1], s[20:21], s6, v0, 0
	v_lshl_add_u32 v6, s2, 5, v12
	v_lshlrev_b32_e32 v4, 2, v4
	s_mul_i32 s3, s7, s16
	s_mul_hi_u32 s20, s6, s16
	s_mov_b32 s17, 0
	v_and_b32_e32 v15, 0x100, v4
	v_add3_u32 v1, v1, v9, v8
	v_lshlrev_b64 v[6:7], 3, v[6:7]
	s_add_i32 s21, s20, s3
	s_mul_i32 s20, s6, s16
	v_or_b32_e32 v16, 4, v15
	v_or_b32_e32 v17, 8, v15
	;; [unrolled: 1-line block ×7, first 2 shown]
	v_lshl_add_u64 v[4:5], v[2:3], 3, s[18:19]
	s_lshl_b64 s[18:19], s[16:17], 3
	v_lshl_add_u64 v[6:7], v[0:1], 3, v[6:7]
	s_lshl_b64 s[20:21], s[20:21], 3
	s_lshl_b64 s[6:7], s[6:7], 3
	v_mov_b64_e32 v[0:1], 0
	v_mov_b64_e32 v[8:9], s[4:5]
	s_branch .LBB137_7
.LBB137_5:                              ;   in Loop: Header=BB137_7 Depth=1
	s_or_b64 exec, exec, s[24:25]
.LBB137_6:                              ;   in Loop: Header=BB137_7 Depth=1
	s_or_b64 exec, exec, s[22:23]
	v_lshl_add_u64 v[24:25], s[8:9], 0, v[6:7]
	v_lshl_add_u64 v[28:29], s[10:11], 0, v[6:7]
	global_load_dwordx2 v[26:27], v[24:25], off
	global_load_dwordx2 v[30:31], v[28:29], off
	v_lshl_add_u64 v[24:25], v[24:25], 0, s[6:7]
	v_lshl_add_u64 v[28:29], v[28:29], 0, s[6:7]
	global_load_dwordx2 v[32:33], v[24:25], off
	global_load_dwordx2 v[34:35], v[28:29], off
	;; [unrolled: 4-line block ×7, first 2 shown]
	v_lshl_add_u64 v[24:25], v[24:25], 0, s[6:7]
	v_lshl_add_u64 v[28:29], v[28:29], 0, s[6:7]
	global_load_dwordx2 v[24:25], v[24:25], off
	s_waitcnt vmcnt(15)
	ds_bpermute_b32 v56, v15, v10
	global_load_dwordx2 v[28:29], v[28:29], off
	ds_bpermute_b32 v57, v15, v11
	s_add_u32 s14, s14, s16
	s_addc_u32 s15, s15, 0
	v_cmp_lt_i64_e32 vcc, s[14:15], v[8:9]
	v_lshl_add_u64 v[4:5], v[4:5], 0, s[18:19]
	v_lshl_add_u64 v[2:3], v[2:3], 0, s[16:17]
	;; [unrolled: 1-line block ×3, first 2 shown]
	s_and_b64 vcc, exec, vcc
	s_waitcnt vmcnt(14)
	v_mul_f64 v[26:27], v[26:27], v[30:31]
	s_waitcnt lgkmcnt(0)
	v_fmac_f64_e32 v[0:1], v[26:27], v[56:57]
	ds_bpermute_b32 v26, v16, v10
	ds_bpermute_b32 v27, v16, v11
	s_waitcnt vmcnt(12)
	v_mul_f64 v[30:31], v[32:33], v[34:35]
	s_waitcnt lgkmcnt(0)
	v_fmac_f64_e32 v[0:1], v[30:31], v[26:27]
	ds_bpermute_b32 v26, v17, v10
	ds_bpermute_b32 v27, v17, v11
	;; [unrolled: 6-line block ×5, first 2 shown]
	s_waitcnt vmcnt(4)
	v_mul_f64 v[30:31], v[48:49], v[50:51]
	s_waitcnt vmcnt(0)
	v_mul_f64 v[24:25], v[24:25], v[28:29]
	s_waitcnt lgkmcnt(0)
	v_fmac_f64_e32 v[0:1], v[30:31], v[26:27]
	ds_bpermute_b32 v26, v21, v10
	ds_bpermute_b32 v27, v21, v11
	;; [unrolled: 1-line block ×4, first 2 shown]
	v_mul_f64 v[30:31], v[52:53], v[54:55]
	s_waitcnt lgkmcnt(2)
	v_fmac_f64_e32 v[0:1], v[30:31], v[26:27]
	s_waitcnt lgkmcnt(0)
	v_fmac_f64_e32 v[0:1], v[24:25], v[10:11]
	s_cbranch_vccz .LBB137_10
.LBB137_7:                              ; =>This Inner Loop Header: Depth=1
	v_mov_b64_e32 v[10:11], 0
	s_and_saveexec_b64 s[22:23], s[0:1]
	s_cbranch_execz .LBB137_6
; %bb.8:                                ;   in Loop: Header=BB137_7 Depth=1
	v_cmp_gt_i64_e32 vcc, s[4:5], v[2:3]
	v_mov_b64_e32 v[10:11], 0
	s_and_saveexec_b64 s[24:25], vcc
	s_cbranch_execz .LBB137_5
; %bb.9:                                ;   in Loop: Header=BB137_7 Depth=1
	global_load_dwordx2 v[10:11], v[4:5], off
	s_branch .LBB137_5
.LBB137_10:
	v_mov_b32_e32 v2, v14
.LBB137_11:
	v_mad_u32_u24 v3, v2, 33, v12
	v_lshl_add_u32 v4, v3, 3, 0
	ds_write_b64 v4, v[0:1]
	v_mov_b32_e32 v0, 0
	v_sub_u32_e32 v3, v3, v2
	s_movk_i32 s0, 0x800
	v_mov_b32_e32 v1, v0
	v_cmp_gt_u32_e32 vcc, s0, v3
	ds_write_b64 v4, v[0:1] offset:8448
	s_waitcnt lgkmcnt(0)
	s_barrier
	s_and_saveexec_b64 s[0:1], vcc
	s_cbranch_execz .LBB137_21
; %bb.12:
	v_lshrrev_b32_e32 v0, 6, v3
	v_and_b32_e32 v1, 63, v3
	v_cmp_gt_u32_e32 vcc, 32, v1
	v_mul_u32_u24_e32 v2, 33, v1
	v_lshlrev_b32_e32 v4, 3, v0
                                        ; implicit-def: $vgpr0_vgpr1
	s_and_saveexec_b64 s[0:1], vcc
; %bb.13:
	v_lshlrev_b32_e32 v0, 3, v2
	v_add3_u32 v0, 0, v4, v0
	ds_read_b64 v[0:1], v0
; %bb.14:
	s_or_b64 exec, exec, s[0:1]
	v_mbcnt_hi_u32_b32 v13, -1, v13
	v_and_b32_e32 v5, 64, v13
	v_add_u32_e32 v14, 64, v5
	v_xor_b32_e32 v5, 16, v13
	v_cmp_lt_i32_e64 s[0:1], v5, v14
	v_xor_b32_e32 v8, 8, v13
	s_cmp_lg_u64 s[12:13], 0
	v_cndmask_b32_e64 v5, v13, v5, s[0:1]
	v_lshlrev_b32_e32 v5, 2, v5
	s_waitcnt lgkmcnt(0)
	ds_bpermute_b32 v6, v5, v0
	ds_bpermute_b32 v7, v5, v1
	v_cmp_lt_i32_e64 s[0:1], v8, v14
	s_mov_b32 s3, 0
	s_cselect_b64 s[6:7], -1, 0
	s_waitcnt lgkmcnt(0)
	v_add_f64 v[0:1], v[0:1], v[6:7]
	v_cndmask_b32_e64 v6, v13, v8, s[0:1]
	v_lshlrev_b32_e32 v6, 2, v6
	ds_bpermute_b32 v8, v6, v0
	ds_bpermute_b32 v9, v6, v1
	v_xor_b32_e32 v7, 4, v13
	v_cmp_lt_i32_e64 s[0:1], v7, v14
	s_waitcnt lgkmcnt(0)
	v_add_f64 v[0:1], v[0:1], v[8:9]
	v_cndmask_b32_e64 v7, v13, v7, s[0:1]
	v_lshlrev_b32_e32 v7, 2, v7
	ds_bpermute_b32 v8, v7, v0
	ds_bpermute_b32 v9, v7, v1
	s_waitcnt lgkmcnt(0)
	v_add_f64 v[0:1], v[0:1], v[8:9]
	v_xor_b32_e32 v8, 2, v13
	v_cmp_lt_i32_e64 s[0:1], v8, v14
	v_xor_b32_e32 v9, 1, v13
	v_cmp_lt_i32_e64 s[4:5], v9, v14
	v_cndmask_b32_e64 v8, v13, v8, s[0:1]
	v_lshlrev_b32_e32 v8, 2, v8
	ds_bpermute_b32 v10, v8, v0
	ds_bpermute_b32 v11, v8, v1
	v_cndmask_b32_e64 v9, v13, v9, s[4:5]
	v_lshlrev_b32_e32 v9, 2, v9
	v_cmp_eq_u32_e64 s[0:1], 0, v12
	s_and_b64 s[4:5], s[0:1], s[6:7]
	s_waitcnt lgkmcnt(0)
	v_add_f64 v[0:1], v[0:1], v[10:11]
	ds_bpermute_b32 v10, v9, v0
	ds_bpermute_b32 v11, v9, v1
	s_lshl_b64 s[0:1], s[2:3], 8
	s_add_u32 s2, s12, s0
	s_addc_u32 s3, s13, s1
	s_waitcnt lgkmcnt(0)
	v_add_f64 v[0:1], v[0:1], v[10:11]
	s_and_saveexec_b64 s[0:1], s[4:5]
	s_cbranch_execz .LBB137_16
; %bb.15:
	global_store_dwordx2 v4, v[0:1], s[2:3]
.LBB137_16:
	s_or_b64 exec, exec, s[0:1]
	s_movk_i32 s0, 0x400
	v_cmp_gt_u32_e64 s[0:1], s0, v3
	s_and_b64 exec, exec, s[0:1]
	s_cbranch_execz .LBB137_21
; %bb.17:
	s_and_saveexec_b64 s[0:1], vcc
; %bb.18:
	v_lshlrev_b32_e32 v0, 3, v2
	v_add3_u32 v0, 0, v4, v0
	ds_read_b64 v[0:1], v0 offset:128
; %bb.19:
	s_or_b64 exec, exec, s[0:1]
	s_waitcnt lgkmcnt(0)
	ds_bpermute_b32 v2, v5, v0
	ds_bpermute_b32 v3, v5, v1
	s_waitcnt lgkmcnt(0)
	v_add_f64 v[0:1], v[0:1], v[2:3]
	ds_bpermute_b32 v2, v6, v0
	ds_bpermute_b32 v3, v6, v1
	s_waitcnt lgkmcnt(0)
	v_add_f64 v[0:1], v[0:1], v[2:3]
	;; [unrolled: 4-line block ×4, first 2 shown]
	ds_bpermute_b32 v2, v9, v0
	ds_bpermute_b32 v3, v9, v1
	s_and_saveexec_b64 s[0:1], s[4:5]
	s_xor_b64 s[0:1], exec, s[0:1]
	s_cbranch_execz .LBB137_21
; %bb.20:
	s_waitcnt lgkmcnt(0)
	v_add_f64 v[0:1], v[0:1], v[2:3]
	global_store_dwordx2 v4, v[0:1], s[2:3] offset:128
.LBB137_21:
	s_endpgm
	.section	.rodata,"a",@progbits
	.p2align	6, 0x0
	.amdhsa_kernel _ZN2at6native12_GLOBAL__N_135GammaBetaBackwardCUDAKernelTemplateIddLj32ELj32ELj256ELb0ELb1ELb1EEEvllPKT_S5_PKT0_S8_PS3_S9_
		.amdhsa_group_segment_fixed_size 0
		.amdhsa_private_segment_fixed_size 0
		.amdhsa_kernarg_size 320
		.amdhsa_user_sgpr_count 2
		.amdhsa_user_sgpr_dispatch_ptr 0
		.amdhsa_user_sgpr_queue_ptr 0
		.amdhsa_user_sgpr_kernarg_segment_ptr 1
		.amdhsa_user_sgpr_dispatch_id 0
		.amdhsa_user_sgpr_kernarg_preload_length 0
		.amdhsa_user_sgpr_kernarg_preload_offset 0
		.amdhsa_user_sgpr_private_segment_size 0
		.amdhsa_uses_dynamic_stack 0
		.amdhsa_enable_private_segment 0
		.amdhsa_system_sgpr_workgroup_id_x 1
		.amdhsa_system_sgpr_workgroup_id_y 1
		.amdhsa_system_sgpr_workgroup_id_z 0
		.amdhsa_system_sgpr_workgroup_info 0
		.amdhsa_system_vgpr_workitem_id 1
		.amdhsa_next_free_vgpr 58
		.amdhsa_next_free_sgpr 26
		.amdhsa_accum_offset 60
		.amdhsa_reserve_vcc 1
		.amdhsa_float_round_mode_32 0
		.amdhsa_float_round_mode_16_64 0
		.amdhsa_float_denorm_mode_32 3
		.amdhsa_float_denorm_mode_16_64 3
		.amdhsa_dx10_clamp 1
		.amdhsa_ieee_mode 1
		.amdhsa_fp16_overflow 0
		.amdhsa_tg_split 0
		.amdhsa_exception_fp_ieee_invalid_op 0
		.amdhsa_exception_fp_denorm_src 0
		.amdhsa_exception_fp_ieee_div_zero 0
		.amdhsa_exception_fp_ieee_overflow 0
		.amdhsa_exception_fp_ieee_underflow 0
		.amdhsa_exception_fp_ieee_inexact 0
		.amdhsa_exception_int_div_zero 0
	.end_amdhsa_kernel
	.section	.text._ZN2at6native12_GLOBAL__N_135GammaBetaBackwardCUDAKernelTemplateIddLj32ELj32ELj256ELb0ELb1ELb1EEEvllPKT_S5_PKT0_S8_PS3_S9_,"axG",@progbits,_ZN2at6native12_GLOBAL__N_135GammaBetaBackwardCUDAKernelTemplateIddLj32ELj32ELj256ELb0ELb1ELb1EEEvllPKT_S5_PKT0_S8_PS3_S9_,comdat
.Lfunc_end137:
	.size	_ZN2at6native12_GLOBAL__N_135GammaBetaBackwardCUDAKernelTemplateIddLj32ELj32ELj256ELb0ELb1ELb1EEEvllPKT_S5_PKT0_S8_PS3_S9_, .Lfunc_end137-_ZN2at6native12_GLOBAL__N_135GammaBetaBackwardCUDAKernelTemplateIddLj32ELj32ELj256ELb0ELb1ELb1EEEvllPKT_S5_PKT0_S8_PS3_S9_
                                        ; -- End function
	.set _ZN2at6native12_GLOBAL__N_135GammaBetaBackwardCUDAKernelTemplateIddLj32ELj32ELj256ELb0ELb1ELb1EEEvllPKT_S5_PKT0_S8_PS3_S9_.num_vgpr, 58
	.set _ZN2at6native12_GLOBAL__N_135GammaBetaBackwardCUDAKernelTemplateIddLj32ELj32ELj256ELb0ELb1ELb1EEEvllPKT_S5_PKT0_S8_PS3_S9_.num_agpr, 0
	.set _ZN2at6native12_GLOBAL__N_135GammaBetaBackwardCUDAKernelTemplateIddLj32ELj32ELj256ELb0ELb1ELb1EEEvllPKT_S5_PKT0_S8_PS3_S9_.numbered_sgpr, 26
	.set _ZN2at6native12_GLOBAL__N_135GammaBetaBackwardCUDAKernelTemplateIddLj32ELj32ELj256ELb0ELb1ELb1EEEvllPKT_S5_PKT0_S8_PS3_S9_.num_named_barrier, 0
	.set _ZN2at6native12_GLOBAL__N_135GammaBetaBackwardCUDAKernelTemplateIddLj32ELj32ELj256ELb0ELb1ELb1EEEvllPKT_S5_PKT0_S8_PS3_S9_.private_seg_size, 0
	.set _ZN2at6native12_GLOBAL__N_135GammaBetaBackwardCUDAKernelTemplateIddLj32ELj32ELj256ELb0ELb1ELb1EEEvllPKT_S5_PKT0_S8_PS3_S9_.uses_vcc, 1
	.set _ZN2at6native12_GLOBAL__N_135GammaBetaBackwardCUDAKernelTemplateIddLj32ELj32ELj256ELb0ELb1ELb1EEEvllPKT_S5_PKT0_S8_PS3_S9_.uses_flat_scratch, 0
	.set _ZN2at6native12_GLOBAL__N_135GammaBetaBackwardCUDAKernelTemplateIddLj32ELj32ELj256ELb0ELb1ELb1EEEvllPKT_S5_PKT0_S8_PS3_S9_.has_dyn_sized_stack, 0
	.set _ZN2at6native12_GLOBAL__N_135GammaBetaBackwardCUDAKernelTemplateIddLj32ELj32ELj256ELb0ELb1ELb1EEEvllPKT_S5_PKT0_S8_PS3_S9_.has_recursion, 0
	.set _ZN2at6native12_GLOBAL__N_135GammaBetaBackwardCUDAKernelTemplateIddLj32ELj32ELj256ELb0ELb1ELb1EEEvllPKT_S5_PKT0_S8_PS3_S9_.has_indirect_call, 0
	.section	.AMDGPU.csdata,"",@progbits
; Kernel info:
; codeLenInByte = 1660
; TotalNumSgprs: 32
; NumVgprs: 58
; NumAgprs: 0
; TotalNumVgprs: 58
; ScratchSize: 0
; MemoryBound: 0
; FloatMode: 240
; IeeeMode: 1
; LDSByteSize: 0 bytes/workgroup (compile time only)
; SGPRBlocks: 3
; VGPRBlocks: 7
; NumSGPRsForWavesPerEU: 32
; NumVGPRsForWavesPerEU: 58
; AccumOffset: 60
; Occupancy: 8
; WaveLimiterHint : 0
; COMPUTE_PGM_RSRC2:SCRATCH_EN: 0
; COMPUTE_PGM_RSRC2:USER_SGPR: 2
; COMPUTE_PGM_RSRC2:TRAP_HANDLER: 0
; COMPUTE_PGM_RSRC2:TGID_X_EN: 1
; COMPUTE_PGM_RSRC2:TGID_Y_EN: 1
; COMPUTE_PGM_RSRC2:TGID_Z_EN: 0
; COMPUTE_PGM_RSRC2:TIDIG_COMP_CNT: 1
; COMPUTE_PGM_RSRC3_GFX90A:ACCUM_OFFSET: 14
; COMPUTE_PGM_RSRC3_GFX90A:TG_SPLIT: 0
	.section	.text._ZN2at6native12_GLOBAL__N_135GammaBetaBackwardCUDAKernelTemplateIddLj32ELj32ELj256ELb0ELb0ELb1EEEvllPKT_S5_PKT0_S8_PS3_S9_,"axG",@progbits,_ZN2at6native12_GLOBAL__N_135GammaBetaBackwardCUDAKernelTemplateIddLj32ELj32ELj256ELb0ELb0ELb1EEEvllPKT_S5_PKT0_S8_PS3_S9_,comdat
	.globl	_ZN2at6native12_GLOBAL__N_135GammaBetaBackwardCUDAKernelTemplateIddLj32ELj32ELj256ELb0ELb0ELb1EEEvllPKT_S5_PKT0_S8_PS3_S9_ ; -- Begin function _ZN2at6native12_GLOBAL__N_135GammaBetaBackwardCUDAKernelTemplateIddLj32ELj32ELj256ELb0ELb0ELb1EEEvllPKT_S5_PKT0_S8_PS3_S9_
	.p2align	8
	.type	_ZN2at6native12_GLOBAL__N_135GammaBetaBackwardCUDAKernelTemplateIddLj32ELj32ELj256ELb0ELb0ELb1EEEvllPKT_S5_PKT0_S8_PS3_S9_,@function
_ZN2at6native12_GLOBAL__N_135GammaBetaBackwardCUDAKernelTemplateIddLj32ELj32ELj256ELb0ELb0ELb1EEEvllPKT_S5_PKT0_S8_PS3_S9_: ; @_ZN2at6native12_GLOBAL__N_135GammaBetaBackwardCUDAKernelTemplateIddLj32ELj32ELj256ELb0ELb0ELb1EEEvllPKT_S5_PKT0_S8_PS3_S9_
; %bb.0:
	s_load_dwordx8 s[8:15], s[0:1], 0x0
	s_load_dwordx2 s[16:17], s[0:1], 0x28
	s_lshl_b32 s33, s2, 5
	s_or_b32 s4, s33, 31
	s_mov_b32 s19, 0
	v_mov_b32_e32 v2, s4
	v_mov_b32_e32 v3, 0
	s_lshl_b32 s18, s3, 8
	s_waitcnt lgkmcnt(0)
	v_cmp_le_i64_e32 vcc, s[10:11], v[2:3]
	v_mov_b64_e32 v[2:3], s[18:19]
	v_cmp_gt_i64_e64 s[4:5], s[8:9], v[2:3]
	s_nop 1
	v_cndmask_b32_e64 v1, 0, 1, s[4:5]
	v_cmp_ne_u32_e64 s[4:5], 1, v1
	s_cbranch_vccz .LBB138_49
; %bb.1:
	s_and_b64 vcc, exec, s[4:5]
	v_mov_b64_e32 v[104:105], 0
	s_cbranch_vccnz .LBB138_50
; %bb.2:
	v_and_b32_e32 v1, 0x3ff, v0
	v_mov_b32_e32 v2, 0
	v_bfe_u32 v78, v0, 10, 10
	v_add_u32_e32 v4, s33, v1
	v_mov_b32_e32 v5, v2
	v_lshlrev_b32_e32 v36, 3, v78
	v_mov_b32_e32 v37, v2
	v_cmp_gt_i64_e64 s[6:7], s[10:11], v[4:5]
	v_lshlrev_b64 v[38:39], 3, v[4:5]
	v_lshl_add_u64 v[4:5], v[36:37], 0, s[18:19]
	v_mul_lo_u32 v3, s11, v4
	v_mul_lo_u32 v8, s10, v5
	v_mad_u64_u32 v[6:7], s[22:23], s10, v4, 0
	v_add3_u32 v7, v7, v8, v3
	v_lshlrev_b64 v[6:7], 3, v[6:7]
	v_lshl_add_u64 v[40:41], s[12:13], 0, v[6:7]
	v_lshl_add_u64 v[42:43], s[14:15], 0, v[6:7]
	v_lshl_add_u64 v[6:7], v[4:5], 0, 7
	v_mul_lo_u32 v9, s11, v6
	v_mul_lo_u32 v10, s10, v7
	v_mad_u64_u32 v[6:7], s[24:25], s10, v6, 0
	v_add3_u32 v7, v7, v10, v9
	v_lshlrev_b64 v[6:7], 3, v[6:7]
	v_lshl_add_u64 v[44:45], s[12:13], 0, v[6:7]
	v_lshl_add_u64 v[46:47], s[14:15], 0, v[6:7]
	;; [unrolled: 8-line block ×5, first 2 shown]
	v_lshl_add_u64 v[6:7], v[4:5], 0, 3
	v_mul_lo_u32 v9, s11, v6
	v_mul_lo_u32 v10, s10, v7
	v_mad_u64_u32 v[6:7], s[24:25], s10, v6, 0
	v_add3_u32 v7, v7, v10, v9
	s_load_dword s3, s[0:1], 0x44
	v_lshlrev_b64 v[6:7], 3, v[6:7]
	v_lshl_add_u64 v[60:61], s[12:13], 0, v[6:7]
	v_lshl_add_u64 v[62:63], s[14:15], 0, v[6:7]
	;; [unrolled: 1-line block ×3, first 2 shown]
	v_mul_lo_u32 v5, s11, v6
	v_mul_lo_u32 v9, s10, v7
	v_mad_u64_u32 v[6:7], s[24:25], s10, v6, 0
	v_add3_u32 v7, v7, v9, v5
	s_add_u32 s20, s0, 64
	v_lshlrev_b64 v[6:7], 3, v[6:7]
	s_addc_u32 s21, s1, 0
	s_waitcnt lgkmcnt(0)
	s_lshl_b32 s3, s3, 8
	v_lshl_add_u64 v[64:65], s[12:13], 0, v[6:7]
	v_lshl_add_u64 v[66:67], s[14:15], 0, v[6:7]
	v_mov_b64_e32 v[6:7], s[10:11]
	s_mul_i32 s22, s11, s3
	s_mul_hi_u32 s23, s10, s3
	v_mad_u64_u32 v[4:5], s[24:25], s10, v4, v[6:7]
	s_add_i32 s23, s23, s22
	s_mul_i32 s22, s10, s3
	v_add3_u32 v5, v3, v5, v8
	v_mbcnt_lo_u32_b32 v3, -1, 0
	s_lshl_b64 s[22:23], s[22:23], 3
	v_mbcnt_hi_u32_b32 v3, -1, v3
	v_lshlrev_b64 v[4:5], 3, v[4:5]
	s_add_u32 s24, s18, 0xff
	s_movk_i32 s26, 0xff01
	s_movk_i32 s28, 0xff02
	;; [unrolled: 1-line block ×8, first 2 shown]
	v_lshlrev_b32_e32 v3, 2, v3
	v_lshl_add_u64 v[68:69], s[12:13], 0, v[4:5]
	v_lshl_add_u64 v[70:71], s[14:15], 0, v[4:5]
	s_addc_u32 s25, 0, 0
	v_mov_b64_e32 v[72:73], 0
	s_mov_b32 s27, -1
	s_mov_b32 s29, -1
	;; [unrolled: 1-line block ×8, first 2 shown]
	v_and_b32_e32 v79, 0x100, v3
	s_mov_b64 s[44:45], s[18:19]
.LBB138_3:                              ; =>This Inner Loop Header: Depth=1
	v_mov_b64_e32 v[4:5], s[8:9]
	v_cmp_ge_i64_e32 vcc, s[24:25], v[4:5]
	v_lshl_add_u64 v[74:75], v[36:37], 0, s[24:25]
	s_mov_b64 s[46:47], -1
	s_and_b64 vcc, exec, vcc
                                        ; implicit-def: $vgpr4_vgpr5_vgpr6_vgpr7_vgpr8_vgpr9_vgpr10_vgpr11_vgpr12_vgpr13_vgpr14_vgpr15_vgpr16_vgpr17_vgpr18_vgpr19
                                        ; implicit-def: $vgpr104_vgpr105
                                        ; implicit-def: $vgpr20_vgpr21_vgpr22_vgpr23_vgpr24_vgpr25_vgpr26_vgpr27_vgpr28_vgpr29_vgpr30_vgpr31_vgpr32_vgpr33_vgpr34_vgpr35
                                        ; implicit-def: $vgpr4
	s_cbranch_vccz .LBB138_25
; %bb.4:                                ;   in Loop: Header=BB138_3 Depth=1
	s_load_dword s46, s[20:21], 0xc
	v_mov_b64_e32 v[76:77], 0
	s_waitcnt lgkmcnt(0)
	s_and_b32 s46, s46, 0xffff
	v_mad_u32_u24 v3, v78, s46, v1
	v_and_b32_e32 v4, 63, v3
	v_cmp_gt_u32_e32 vcc, 8, v4
	s_and_saveexec_b64 s[46:47], vcc
	s_cbranch_execz .LBB138_8
; %bb.5:                                ;   in Loop: Header=BB138_3 Depth=1
	v_mov_b32_e32 v5, v2
	v_lshl_add_u64 v[4:5], v[74:75], 0, v[4:5]
	v_lshl_add_u64 v[4:5], v[4:5], 0, s[26:27]
	v_cmp_gt_i64_e32 vcc, s[8:9], v[4:5]
	v_mov_b64_e32 v[76:77], 0
	s_and_saveexec_b64 s[48:49], vcc
	s_cbranch_execz .LBB138_7
; %bb.6:                                ;   in Loop: Header=BB138_3 Depth=1
	v_lshl_add_u64 v[4:5], v[4:5], 3, s[16:17]
	global_load_dwordx2 v[76:77], v[4:5], off
.LBB138_7:                              ;   in Loop: Header=BB138_3 Depth=1
	s_or_b64 exec, exec, s[48:49]
.LBB138_8:                              ;   in Loop: Header=BB138_3 Depth=1
	s_or_b64 exec, exec, s[46:47]
	v_lshl_add_u64 v[4:5], v[74:75], 0, s[26:27]
	v_mov_b32_e32 v16, v2
	v_mov_b32_e32 v17, v2
	v_cmp_gt_i64_e32 vcc, s[8:9], v[4:5]
	v_mov_b32_e32 v3, v2
	v_mov_b32_e32 v4, v2
	;; [unrolled: 1-line block ×13, first 2 shown]
	v_mov_b64_e32 v[34:35], v[16:17]
	v_mov_b64_e32 v[32:33], v[14:15]
	;; [unrolled: 1-line block ×9, first 2 shown]
	s_and_b64 s[48:49], s[6:7], vcc
	v_mov_b64_e32 v[16:17], v[14:15]
	v_mov_b64_e32 v[14:15], v[12:13]
	;; [unrolled: 1-line block ×7, first 2 shown]
	s_and_saveexec_b64 s[46:47], s[48:49]
	s_cbranch_execz .LBB138_10
; %bb.9:                                ;   in Loop: Header=BB138_3 Depth=1
	v_lshl_add_u64 v[4:5], v[40:41], 0, v[38:39]
	v_lshl_add_u64 v[6:7], v[42:43], 0, v[38:39]
	global_load_dwordx2 v[4:5], v[4:5], off
	v_mov_b32_e32 v8, v2
	global_load_dwordx2 v[20:21], v[6:7], off
	v_mov_b32_e32 v6, v2
	v_mov_b32_e32 v7, v2
	v_mov_b32_e32 v9, v2
	v_mov_b32_e32 v10, v2
	v_mov_b32_e32 v11, v2
	v_mov_b32_e32 v12, v2
	v_mov_b32_e32 v13, v2
	v_mov_b32_e32 v14, v2
	v_mov_b32_e32 v15, v2
	v_mov_b32_e32 v16, v2
	v_mov_b32_e32 v17, v2
	v_mov_b32_e32 v18, v2
	v_mov_b32_e32 v19, v2
	v_mov_b32_e32 v22, v2
	v_mov_b32_e32 v23, v2
	v_mov_b32_e32 v24, v2
	v_mov_b32_e32 v25, v2
	v_mov_b32_e32 v26, v2
	v_mov_b32_e32 v27, v2
	v_mov_b32_e32 v28, v2
	v_mov_b32_e32 v29, v2
	v_mov_b32_e32 v30, v2
	v_mov_b32_e32 v31, v2
	v_mov_b32_e32 v32, v2
	v_mov_b32_e32 v33, v2
	v_mov_b32_e32 v34, v2
	v_mov_b32_e32 v35, v2
.LBB138_10:                             ;   in Loop: Header=BB138_3 Depth=1
	s_or_b64 exec, exec, s[46:47]
	v_lshl_add_u64 v[80:81], v[74:75], 0, s[28:29]
	v_cmp_gt_i64_e32 vcc, s[8:9], v[80:81]
	s_and_b64 s[48:49], s[6:7], vcc
	s_and_saveexec_b64 s[46:47], s[48:49]
	s_cbranch_execz .LBB138_12
; %bb.11:                               ;   in Loop: Header=BB138_3 Depth=1
	v_lshl_add_u64 v[6:7], v[68:69], 0, v[38:39]
	v_lshl_add_u64 v[22:23], v[70:71], 0, v[38:39]
	global_load_dwordx2 v[6:7], v[6:7], off
	s_nop 0
	global_load_dwordx2 v[22:23], v[22:23], off
.LBB138_12:                             ;   in Loop: Header=BB138_3 Depth=1
	s_or_b64 exec, exec, s[46:47]
	v_lshl_add_u64 v[80:81], v[74:75], 0, s[30:31]
	v_cmp_gt_i64_e32 vcc, s[8:9], v[80:81]
	s_and_b64 s[48:49], s[6:7], vcc
	s_and_saveexec_b64 s[46:47], s[48:49]
	s_cbranch_execz .LBB138_14
; %bb.13:                               ;   in Loop: Header=BB138_3 Depth=1
	v_lshl_add_u64 v[8:9], v[64:65], 0, v[38:39]
	v_lshl_add_u64 v[24:25], v[66:67], 0, v[38:39]
	global_load_dwordx2 v[8:9], v[8:9], off
	s_nop 0
	global_load_dwordx2 v[24:25], v[24:25], off
.LBB138_14:                             ;   in Loop: Header=BB138_3 Depth=1
	;; [unrolled: 13-line block ×7, first 2 shown]
	s_or_b64 exec, exec, s[46:47]
	s_waitcnt vmcnt(0)
	ds_bpermute_b32 v80, v79, v76
	ds_bpermute_b32 v81, v79, v77
	ds_bpermute_b32 v82, v79, v76 offset:4
	ds_bpermute_b32 v83, v79, v77 offset:4
	v_mul_f64 v[4:5], v[20:21], v[4:5]
	ds_bpermute_b32 v20, v79, v76 offset:16
	s_waitcnt lgkmcnt(3)
	v_fma_f64 v[104:105], v[4:5], v[80:81], v[72:73]
	v_mul_f64 v[4:5], v[22:23], v[6:7]
	s_waitcnt lgkmcnt(1)
	v_fmac_f64_e32 v[104:105], v[4:5], v[82:83]
	ds_bpermute_b32 v4, v79, v76 offset:8
	ds_bpermute_b32 v5, v79, v77 offset:8
	v_mul_f64 v[6:7], v[24:25], v[8:9]
	ds_bpermute_b32 v8, v79, v76 offset:12
	ds_bpermute_b32 v9, v79, v77 offset:12
	;; [unrolled: 1-line block ×3, first 2 shown]
	s_waitcnt lgkmcnt(3)
	v_fmac_f64_e32 v[104:105], v[6:7], v[4:5]
	v_mul_f64 v[4:5], v[26:27], v[10:11]
	ds_bpermute_b32 v6, v79, v76 offset:20
	ds_bpermute_b32 v7, v79, v77 offset:20
	s_waitcnt lgkmcnt(3)
	v_fmac_f64_e32 v[104:105], v[4:5], v[8:9]
	v_mul_f64 v[4:5], v[28:29], v[12:13]
	ds_bpermute_b32 v10, v79, v76 offset:24
	ds_bpermute_b32 v11, v79, v77 offset:24
	s_waitcnt lgkmcnt(4)
	v_fmac_f64_e32 v[104:105], v[4:5], v[20:21]
	ds_bpermute_b32 v4, v79, v76 offset:28
	ds_bpermute_b32 v5, v79, v77 offset:28
	v_mul_f64 v[8:9], v[30:31], v[14:15]
	s_waitcnt lgkmcnt(4)
	v_fmac_f64_e32 v[104:105], v[8:9], v[6:7]
	v_mul_f64 v[6:7], v[32:33], v[16:17]
	s_waitcnt lgkmcnt(2)
	v_fmac_f64_e32 v[104:105], v[6:7], v[10:11]
	s_mov_b64 s[46:47], 0
.LBB138_25:                             ;   in Loop: Header=BB138_3 Depth=1
	s_and_b64 vcc, exec, s[46:47]
	s_cbranch_vccz .LBB138_40
; %bb.26:                               ;   in Loop: Header=BB138_3 Depth=1
	s_load_dword s46, s[20:21], 0x0
	v_mov_b64_e32 v[76:77], 0
	s_waitcnt lgkmcnt(0)
	s_cmp_lt_u32 s2, s46
	s_cselect_b32 s46, 12, 18
	s_add_u32 s46, s20, s46
	s_addc_u32 s47, s21, 0
	global_load_ushort v3, v2, s[46:47]
	s_waitcnt vmcnt(0)
	v_mad_u32_u24 v3, v78, v3, v1
	v_and_b32_e32 v4, 63, v3
	v_cmp_gt_u32_e32 vcc, 8, v4
	s_and_saveexec_b64 s[46:47], vcc
	s_cbranch_execz .LBB138_30
; %bb.27:                               ;   in Loop: Header=BB138_3 Depth=1
	v_mov_b32_e32 v5, v2
	v_lshl_add_u64 v[4:5], v[74:75], 0, v[4:5]
	v_lshl_add_u64 v[4:5], v[4:5], 0, s[26:27]
	v_cmp_gt_i64_e32 vcc, s[8:9], v[4:5]
	v_mov_b64_e32 v[76:77], 0
	s_and_saveexec_b64 s[48:49], vcc
	s_cbranch_execz .LBB138_29
; %bb.28:                               ;   in Loop: Header=BB138_3 Depth=1
	v_lshl_add_u64 v[4:5], v[4:5], 3, s[16:17]
	global_load_dwordx2 v[76:77], v[4:5], off
.LBB138_29:                             ;   in Loop: Header=BB138_3 Depth=1
	s_or_b64 exec, exec, s[48:49]
.LBB138_30:                             ;   in Loop: Header=BB138_3 Depth=1
	s_or_b64 exec, exec, s[46:47]
	v_mov_b32_e32 v16, v2
	v_mov_b32_e32 v17, v2
	;; [unrolled: 1-line block ×15, first 2 shown]
	v_mov_b64_e32 v[34:35], v[16:17]
	v_mov_b64_e32 v[32:33], v[14:15]
	v_mov_b64_e32 v[30:31], v[12:13]
	v_mov_b64_e32 v[28:29], v[10:11]
	v_mov_b64_e32 v[26:27], v[8:9]
	v_mov_b64_e32 v[24:25], v[6:7]
	v_mov_b64_e32 v[22:23], v[4:5]
	v_mov_b64_e32 v[20:21], v[2:3]
	v_mov_b64_e32 v[18:19], v[16:17]
	v_mov_b64_e32 v[16:17], v[14:15]
	v_mov_b64_e32 v[14:15], v[12:13]
	v_mov_b64_e32 v[12:13], v[10:11]
	v_mov_b64_e32 v[10:11], v[8:9]
	v_mov_b64_e32 v[8:9], v[6:7]
	v_mov_b64_e32 v[6:7], v[4:5]
	v_mov_b64_e32 v[4:5], v[2:3]
	s_and_saveexec_b64 s[46:47], s[6:7]
	s_cbranch_execnz .LBB138_42
; %bb.31:                               ;   in Loop: Header=BB138_3 Depth=1
	s_or_b64 exec, exec, s[46:47]
	s_and_saveexec_b64 s[46:47], s[6:7]
	s_cbranch_execnz .LBB138_43
.LBB138_32:                             ;   in Loop: Header=BB138_3 Depth=1
	s_or_b64 exec, exec, s[46:47]
	s_and_saveexec_b64 s[46:47], s[6:7]
	s_cbranch_execnz .LBB138_44
.LBB138_33:                             ;   in Loop: Header=BB138_3 Depth=1
	s_or_b64 exec, exec, s[46:47]
	s_and_saveexec_b64 s[46:47], s[6:7]
	s_cbranch_execnz .LBB138_45
.LBB138_34:                             ;   in Loop: Header=BB138_3 Depth=1
	s_or_b64 exec, exec, s[46:47]
	s_and_saveexec_b64 s[46:47], s[6:7]
	s_cbranch_execnz .LBB138_46
.LBB138_35:                             ;   in Loop: Header=BB138_3 Depth=1
	s_or_b64 exec, exec, s[46:47]
	s_and_saveexec_b64 s[46:47], s[6:7]
	s_cbranch_execnz .LBB138_47
.LBB138_36:                             ;   in Loop: Header=BB138_3 Depth=1
	s_or_b64 exec, exec, s[46:47]
	s_and_saveexec_b64 s[46:47], s[6:7]
	s_cbranch_execnz .LBB138_48
.LBB138_37:                             ;   in Loop: Header=BB138_3 Depth=1
	s_or_b64 exec, exec, s[46:47]
	s_and_saveexec_b64 s[46:47], s[6:7]
	s_cbranch_execz .LBB138_39
.LBB138_38:                             ;   in Loop: Header=BB138_3 Depth=1
	v_lshl_add_u64 v[18:19], v[44:45], 0, v[38:39]
	v_lshl_add_u64 v[34:35], v[46:47], 0, v[38:39]
	global_load_dwordx2 v[18:19], v[18:19], off
	s_nop 0
	global_load_dwordx2 v[34:35], v[34:35], off
.LBB138_39:                             ;   in Loop: Header=BB138_3 Depth=1
	s_or_b64 exec, exec, s[46:47]
	s_waitcnt vmcnt(0)
	ds_bpermute_b32 v74, v79, v76
	ds_bpermute_b32 v75, v79, v77
	ds_bpermute_b32 v80, v79, v76 offset:4
	ds_bpermute_b32 v81, v79, v77 offset:4
	v_mul_f64 v[4:5], v[20:21], v[4:5]
	ds_bpermute_b32 v20, v79, v76 offset:16
	s_waitcnt lgkmcnt(3)
	v_fmac_f64_e32 v[72:73], v[4:5], v[74:75]
	v_mul_f64 v[4:5], v[22:23], v[6:7]
	s_waitcnt lgkmcnt(1)
	v_fmac_f64_e32 v[72:73], v[4:5], v[80:81]
	ds_bpermute_b32 v4, v79, v76 offset:8
	ds_bpermute_b32 v5, v79, v77 offset:8
	v_mul_f64 v[6:7], v[24:25], v[8:9]
	ds_bpermute_b32 v8, v79, v76 offset:12
	ds_bpermute_b32 v9, v79, v77 offset:12
	;; [unrolled: 1-line block ×3, first 2 shown]
	s_waitcnt lgkmcnt(3)
	v_fmac_f64_e32 v[72:73], v[6:7], v[4:5]
	ds_bpermute_b32 v6, v79, v76 offset:20
	ds_bpermute_b32 v7, v79, v77 offset:20
	v_mul_f64 v[4:5], v[26:27], v[10:11]
	ds_bpermute_b32 v10, v79, v76 offset:24
	ds_bpermute_b32 v11, v79, v77 offset:24
	s_waitcnt lgkmcnt(5)
	v_fmac_f64_e32 v[72:73], v[4:5], v[8:9]
	v_mul_f64 v[4:5], v[28:29], v[12:13]
	s_waitcnt lgkmcnt(4)
	v_fmac_f64_e32 v[72:73], v[4:5], v[20:21]
	ds_bpermute_b32 v4, v79, v76 offset:28
	ds_bpermute_b32 v5, v79, v77 offset:28
	v_mul_f64 v[8:9], v[30:31], v[14:15]
	s_waitcnt lgkmcnt(4)
	v_fmac_f64_e32 v[72:73], v[8:9], v[6:7]
	v_mul_f64 v[6:7], v[32:33], v[16:17]
	s_waitcnt lgkmcnt(2)
	v_fmac_f64_e32 v[72:73], v[6:7], v[10:11]
	v_mov_b64_e32 v[104:105], v[72:73]
.LBB138_40:                             ;   in Loop: Header=BB138_3 Depth=1
	v_mul_f64 v[6:7], v[18:19], v[34:35]
	s_add_u32 s44, s44, s3
	s_waitcnt lgkmcnt(0)
	v_fmac_f64_e32 v[104:105], v[6:7], v[4:5]
	s_addc_u32 s45, s45, 0
	v_mov_b64_e32 v[4:5], s[8:9]
	s_add_u32 s24, s24, s3
	v_cmp_lt_i64_e32 vcc, s[44:45], v[4:5]
	v_lshl_add_u64 v[40:41], v[40:41], 0, s[22:23]
	v_lshl_add_u64 v[42:43], v[42:43], 0, s[22:23]
	v_lshl_add_u64 v[44:45], v[44:45], 0, s[22:23]
	v_lshl_add_u64 v[46:47], v[46:47], 0, s[22:23]
	v_lshl_add_u64 v[48:49], v[48:49], 0, s[22:23]
	v_lshl_add_u64 v[50:51], v[50:51], 0, s[22:23]
	v_lshl_add_u64 v[52:53], v[52:53], 0, s[22:23]
	v_lshl_add_u64 v[54:55], v[54:55], 0, s[22:23]
	v_lshl_add_u64 v[56:57], v[56:57], 0, s[22:23]
	v_lshl_add_u64 v[58:59], v[58:59], 0, s[22:23]
	v_lshl_add_u64 v[60:61], v[60:61], 0, s[22:23]
	v_lshl_add_u64 v[62:63], v[62:63], 0, s[22:23]
	v_lshl_add_u64 v[64:65], v[64:65], 0, s[22:23]
	v_lshl_add_u64 v[66:67], v[66:67], 0, s[22:23]
	v_lshl_add_u64 v[68:69], v[68:69], 0, s[22:23]
	v_lshl_add_u64 v[70:71], v[70:71], 0, s[22:23]
	s_addc_u32 s25, s25, 0
	s_cbranch_vccz .LBB138_50
; %bb.41:                               ;   in Loop: Header=BB138_3 Depth=1
	v_mov_b64_e32 v[72:73], v[104:105]
	s_branch .LBB138_3
.LBB138_42:                             ;   in Loop: Header=BB138_3 Depth=1
	v_lshl_add_u64 v[4:5], v[40:41], 0, v[38:39]
	v_lshl_add_u64 v[6:7], v[42:43], 0, v[38:39]
	global_load_dwordx2 v[4:5], v[4:5], off
	v_mov_b32_e32 v8, v2
	global_load_dwordx2 v[20:21], v[6:7], off
	v_mov_b32_e32 v6, v2
	v_mov_b32_e32 v7, v2
	;; [unrolled: 1-line block ×27, first 2 shown]
	s_or_b64 exec, exec, s[46:47]
	s_and_saveexec_b64 s[46:47], s[6:7]
	s_cbranch_execz .LBB138_32
.LBB138_43:                             ;   in Loop: Header=BB138_3 Depth=1
	v_lshl_add_u64 v[6:7], v[68:69], 0, v[38:39]
	v_lshl_add_u64 v[22:23], v[70:71], 0, v[38:39]
	global_load_dwordx2 v[6:7], v[6:7], off
	s_nop 0
	global_load_dwordx2 v[22:23], v[22:23], off
	s_or_b64 exec, exec, s[46:47]
	s_and_saveexec_b64 s[46:47], s[6:7]
	s_cbranch_execz .LBB138_33
.LBB138_44:                             ;   in Loop: Header=BB138_3 Depth=1
	v_lshl_add_u64 v[8:9], v[64:65], 0, v[38:39]
	v_lshl_add_u64 v[24:25], v[66:67], 0, v[38:39]
	global_load_dwordx2 v[8:9], v[8:9], off
	s_nop 0
	global_load_dwordx2 v[24:25], v[24:25], off
	s_or_b64 exec, exec, s[46:47]
	s_and_saveexec_b64 s[46:47], s[6:7]
	s_cbranch_execz .LBB138_34
.LBB138_45:                             ;   in Loop: Header=BB138_3 Depth=1
	v_lshl_add_u64 v[10:11], v[60:61], 0, v[38:39]
	v_lshl_add_u64 v[26:27], v[62:63], 0, v[38:39]
	global_load_dwordx2 v[10:11], v[10:11], off
	s_nop 0
	global_load_dwordx2 v[26:27], v[26:27], off
	s_or_b64 exec, exec, s[46:47]
	s_and_saveexec_b64 s[46:47], s[6:7]
	s_cbranch_execz .LBB138_35
.LBB138_46:                             ;   in Loop: Header=BB138_3 Depth=1
	v_lshl_add_u64 v[12:13], v[56:57], 0, v[38:39]
	v_lshl_add_u64 v[28:29], v[58:59], 0, v[38:39]
	global_load_dwordx2 v[12:13], v[12:13], off
	s_nop 0
	global_load_dwordx2 v[28:29], v[28:29], off
	s_or_b64 exec, exec, s[46:47]
	s_and_saveexec_b64 s[46:47], s[6:7]
	s_cbranch_execz .LBB138_36
.LBB138_47:                             ;   in Loop: Header=BB138_3 Depth=1
	v_lshl_add_u64 v[14:15], v[52:53], 0, v[38:39]
	v_lshl_add_u64 v[30:31], v[54:55], 0, v[38:39]
	global_load_dwordx2 v[14:15], v[14:15], off
	s_nop 0
	global_load_dwordx2 v[30:31], v[30:31], off
	s_or_b64 exec, exec, s[46:47]
	s_and_saveexec_b64 s[46:47], s[6:7]
	s_cbranch_execz .LBB138_37
.LBB138_48:                             ;   in Loop: Header=BB138_3 Depth=1
	v_lshl_add_u64 v[16:17], v[48:49], 0, v[38:39]
	v_lshl_add_u64 v[32:33], v[50:51], 0, v[38:39]
	global_load_dwordx2 v[16:17], v[16:17], off
	s_nop 0
	global_load_dwordx2 v[32:33], v[32:33], off
	s_or_b64 exec, exec, s[46:47]
	s_and_saveexec_b64 s[46:47], s[6:7]
	s_cbranch_execnz .LBB138_38
	s_branch .LBB138_39
.LBB138_49:
                                        ; implicit-def: $vgpr104_vgpr105
	s_branch .LBB138_51
.LBB138_50:
	s_cbranch_execnz .LBB138_83
.LBB138_51:
	s_and_b64 vcc, exec, s[4:5]
	v_mov_b64_e32 v[104:105], 0
	s_cbranch_vccnz .LBB138_83
; %bb.52:
	v_mov_b32_e32 v2, 0
	v_bfe_u32 v1, v0, 10, 10
	v_lshlrev_b32_e32 v6, 6, v1
	v_mov_b32_e32 v7, v2
	v_lshl_add_u64 v[6:7], s[18:19], 3, v[6:7]
	v_lshl_add_u64 v[8:9], v[6:7], 0, 8
	v_mov_b64_e32 v[10:11], s[12:13]
	v_mov_b64_e32 v[22:23], s[14:15]
	v_lshlrev_b32_e32 v36, 3, v1
	v_mov_b32_e32 v37, v2
	v_mad_u64_u32 v[38:39], s[4:5], s10, v8, v[10:11]
	v_mul_lo_u32 v3, s10, v9
	v_mul_lo_u32 v9, s11, v8
	v_lshl_add_u64 v[12:13], v[6:7], 0, 16
	v_lshl_add_u64 v[14:15], v[6:7], 0, 24
	;; [unrolled: 1-line block ×5, first 2 shown]
	v_mad_u64_u32 v[48:49], s[4:5], s10, v8, v[22:23]
	v_lshl_add_u64 v[6:7], v[6:7], 0, 56
	v_lshl_add_u64 v[4:5], v[36:37], 0, s[18:19]
	v_add3_u32 v39, v9, v39, v3
	v_add3_u32 v49, v9, v49, v3
	v_mad_u64_u32 v[54:55], s[4:5], s10, v6, v[10:11]
	v_mul_lo_u32 v7, s10, v7
	v_mul_lo_u32 v9, s11, v6
	v_mad_u64_u32 v[64:65], s[4:5], s10, v6, v[22:23]
	v_mad_u64_u32 v[50:51], s[4:5], s10, v20, v[10:11]
	v_mul_lo_u32 v3, s10, v21
	v_mul_lo_u32 v8, s11, v20
	v_add3_u32 v55, v9, v55, v7
	v_mad_u64_u32 v[62:63], s[4:5], s10, v20, v[22:23]
	v_add3_u32 v65, v9, v65, v7
	v_lshl_add_u64 v[6:7], v[4:5], 0, 7
	v_add3_u32 v51, v8, v51, v3
	v_add3_u32 v63, v8, v63, v3
	v_mul_lo_u32 v3, s11, v6
	v_mul_lo_u32 v8, s10, v7
	v_mad_u64_u32 v[6:7], s[4:5], s10, v6, 0
	v_add3_u32 v7, v7, v8, v3
	v_lshl_add_u64 v[8:9], v[4:5], 0, 6
	v_mad_u64_u32 v[40:41], s[4:5], s10, v12, v[10:11]
	v_mad_u64_u32 v[42:43], s[4:5], s10, v14, v[10:11]
	;; [unrolled: 1-line block ×4, first 2 shown]
	v_mul_lo_u32 v3, s11, v8
	v_mul_lo_u32 v10, s10, v9
	v_mad_u64_u32 v[8:9], s[4:5], s10, v8, 0
	v_add3_u32 v9, v9, v10, v3
	v_lshl_add_u64 v[10:11], v[4:5], 0, 5
	v_mul_lo_u32 v13, s10, v13
	v_mul_lo_u32 v24, s11, v12
	v_mad_u64_u32 v[52:53], s[4:5], s10, v12, v[22:23]
	v_mul_lo_u32 v3, s11, v10
	v_mul_lo_u32 v12, s10, v11
	v_mad_u64_u32 v[10:11], s[4:5], s10, v10, 0
	v_add3_u32 v41, v24, v41, v13
	v_add3_u32 v53, v24, v53, v13
	v_add3_u32 v11, v11, v12, v3
	v_lshl_add_u64 v[12:13], v[4:5], 0, 4
	v_mul_lo_u32 v15, s10, v15
	v_mul_lo_u32 v25, s11, v14
	v_mad_u64_u32 v[56:57], s[4:5], s10, v14, v[22:23]
	v_mul_lo_u32 v3, s11, v12
	v_mul_lo_u32 v14, s10, v13
	v_mad_u64_u32 v[12:13], s[4:5], s10, v12, 0
	v_add3_u32 v43, v25, v43, v15
	v_add3_u32 v57, v25, v57, v15
	v_add3_u32 v13, v13, v14, v3
	v_lshl_add_u64 v[14:15], v[4:5], 0, 3
	v_mul_lo_u32 v17, s10, v17
	v_mul_lo_u32 v26, s11, v16
	v_mad_u64_u32 v[58:59], s[4:5], s10, v16, v[22:23]
	v_mul_lo_u32 v3, s11, v14
	v_mul_lo_u32 v16, s10, v15
	v_mad_u64_u32 v[14:15], s[4:5], s10, v14, 0
	v_add3_u32 v45, v26, v45, v17
	v_add3_u32 v59, v26, v59, v17
	v_add3_u32 v15, v15, v16, v3
	v_lshl_add_u64 v[16:17], v[4:5], 0, 2
	v_mul_lo_u32 v19, s10, v19
	v_mul_lo_u32 v27, s11, v18
	v_mad_u64_u32 v[60:61], s[4:5], s10, v18, v[22:23]
	v_mul_lo_u32 v3, s11, v16
	v_mul_lo_u32 v18, s10, v17
	v_mad_u64_u32 v[16:17], s[4:5], s10, v16, 0
	v_add3_u32 v47, v27, v47, v19
	v_add3_u32 v61, v27, v61, v19
	v_add3_u32 v17, v17, v18, v3
	v_mov_b64_e32 v[18:19], s[10:11]
	v_mad_u64_u32 v[18:19], s[4:5], s10, v4, v[18:19]
	v_mul_lo_u32 v3, s11, v4
	v_mul_lo_u32 v20, s10, v5
	v_mad_u64_u32 v[4:5], s[4:5], s10, v4, 0
	v_add3_u32 v5, v5, v20, v3
	s_load_dword s3, s[0:1], 0x44
	v_lshlrev_b64 v[4:5], 3, v[4:5]
	v_lshl_add_u64 v[68:69], s[12:13], 0, v[4:5]
	v_lshl_add_u64 v[70:71], s[14:15], 0, v[4:5]
	v_lshlrev_b64 v[4:5], 3, v[6:7]
	v_lshl_add_u64 v[72:73], s[12:13], 0, v[4:5]
	v_lshl_add_u64 v[74:75], s[14:15], 0, v[4:5]
	v_lshlrev_b64 v[4:5], 3, v[8:9]
	s_add_u32 s4, s0, 64
	v_lshl_add_u64 v[76:77], s[12:13], 0, v[4:5]
	v_lshl_add_u64 v[78:79], s[14:15], 0, v[4:5]
	v_lshlrev_b64 v[4:5], 3, v[10:11]
	s_addc_u32 s5, s1, 0
	s_waitcnt lgkmcnt(0)
	s_lshl_b32 s3, s3, 8
	v_lshl_add_u64 v[80:81], s[12:13], 0, v[4:5]
	v_lshl_add_u64 v[82:83], s[14:15], 0, v[4:5]
	v_lshlrev_b64 v[4:5], 3, v[12:13]
	s_mul_i32 s6, s11, s3
	s_mul_hi_u32 s7, s10, s3
	v_lshl_add_u64 v[84:85], s[12:13], 0, v[4:5]
	v_lshl_add_u64 v[86:87], s[14:15], 0, v[4:5]
	v_lshlrev_b64 v[4:5], 3, v[14:15]
	v_add3_u32 v19, v3, v19, v20
	s_add_i32 s7, s7, s6
	s_mul_i32 s6, s10, s3
	v_lshl_add_u64 v[88:89], s[12:13], 0, v[4:5]
	v_lshl_add_u64 v[90:91], s[14:15], 0, v[4:5]
	v_lshlrev_b64 v[4:5], 3, v[16:17]
	v_mbcnt_lo_u32_b32 v3, -1, 0
	v_and_b32_e32 v108, 0x3ff, v0
	s_lshl_b64 s[6:7], s[6:7], 3
	v_lshl_add_u64 v[92:93], s[12:13], 0, v[4:5]
	v_lshl_add_u64 v[94:95], s[14:15], 0, v[4:5]
	v_lshlrev_b64 v[4:5], 3, v[18:19]
	v_mbcnt_hi_u32_b32 v3, -1, v3
	v_add_u32_e32 v20, s33, v108
	v_mov_b32_e32 v21, v2
	s_add_u32 s20, s18, 0xff
	v_lshl_add_u64 v[96:97], s[12:13], 0, v[4:5]
	v_lshl_add_u64 v[98:99], s[14:15], 0, v[4:5]
	s_movk_i32 s12, 0xff01
	s_movk_i32 s14, 0xff02
	;; [unrolled: 1-line block ×8, first 2 shown]
	v_lshlrev_b32_e32 v3, 2, v3
	v_lshlrev_b64 v[66:67], 3, v[20:21]
	s_addc_u32 s21, 0, 0
	s_mov_b32 s13, -1
	s_mov_b32 s15, -1
	;; [unrolled: 1-line block ×8, first 2 shown]
	v_and_b32_e32 v109, 0x100, v3
	v_mov_b64_e32 v[100:101], 0
.LBB138_53:                             ; =>This Inner Loop Header: Depth=1
	v_mov_b64_e32 v[4:5], s[8:9]
	v_cmp_ge_i64_e32 vcc, s[20:21], v[4:5]
	v_lshl_add_u64 v[102:103], v[36:37], 0, s[20:21]
	s_mov_b64 s[36:37], -1
                                        ; implicit-def: $vgpr104_vgpr105
	s_cbranch_vccz .LBB138_75
; %bb.54:                               ;   in Loop: Header=BB138_53 Depth=1
	s_load_dword s33, s[4:5], 0xc
	v_mov_b64_e32 v[106:107], 0
	s_waitcnt lgkmcnt(0)
	s_and_b32 s33, s33, 0xffff
	v_mad_u32_u24 v3, v1, s33, v108
	v_and_b32_e32 v4, 63, v3
	v_cmp_gt_u32_e32 vcc, 8, v4
	s_and_saveexec_b64 s[36:37], vcc
	s_cbranch_execz .LBB138_58
; %bb.55:                               ;   in Loop: Header=BB138_53 Depth=1
	v_mov_b32_e32 v5, v2
	v_lshl_add_u64 v[4:5], v[102:103], 0, v[4:5]
	v_lshl_add_u64 v[4:5], v[4:5], 0, s[12:13]
	v_cmp_gt_i64_e32 vcc, s[8:9], v[4:5]
	v_mov_b64_e32 v[106:107], 0
	s_and_saveexec_b64 s[38:39], vcc
	s_cbranch_execz .LBB138_57
; %bb.56:                               ;   in Loop: Header=BB138_53 Depth=1
	v_lshl_add_u64 v[4:5], v[4:5], 3, s[16:17]
	global_load_dwordx2 v[106:107], v[4:5], off
.LBB138_57:                             ;   in Loop: Header=BB138_53 Depth=1
	s_or_b64 exec, exec, s[38:39]
.LBB138_58:                             ;   in Loop: Header=BB138_53 Depth=1
	s_or_b64 exec, exec, s[36:37]
	v_lshl_add_u64 v[4:5], v[102:103], 0, s[12:13]
	v_mov_b32_e32 v16, v2
	v_mov_b32_e32 v17, v2
	v_cmp_gt_i64_e32 vcc, s[8:9], v[4:5]
	v_mov_b32_e32 v3, v2
	v_mov_b32_e32 v4, v2
	;; [unrolled: 1-line block ×13, first 2 shown]
	v_mov_b64_e32 v[34:35], v[16:17]
	v_mov_b64_e32 v[32:33], v[14:15]
	;; [unrolled: 1-line block ×16, first 2 shown]
	s_and_saveexec_b64 s[36:37], vcc
	s_cbranch_execz .LBB138_60
; %bb.59:                               ;   in Loop: Header=BB138_53 Depth=1
	v_lshl_add_u64 v[4:5], v[68:69], 0, v[66:67]
	v_lshl_add_u64 v[6:7], v[70:71], 0, v[66:67]
	global_load_dwordx2 v[4:5], v[4:5], off
	v_mov_b32_e32 v8, v2
	global_load_dwordx2 v[20:21], v[6:7], off
	v_mov_b32_e32 v6, v2
	v_mov_b32_e32 v7, v2
	;; [unrolled: 1-line block ×27, first 2 shown]
.LBB138_60:                             ;   in Loop: Header=BB138_53 Depth=1
	s_or_b64 exec, exec, s[36:37]
	v_lshl_add_u64 v[104:105], v[102:103], 0, s[14:15]
	v_cmp_gt_i64_e32 vcc, s[8:9], v[104:105]
	s_and_saveexec_b64 s[36:37], vcc
	s_cbranch_execz .LBB138_62
; %bb.61:                               ;   in Loop: Header=BB138_53 Depth=1
	v_lshl_add_u64 v[6:7], v[96:97], 0, v[66:67]
	v_lshl_add_u64 v[22:23], v[98:99], 0, v[66:67]
	global_load_dwordx2 v[6:7], v[6:7], off
	s_nop 0
	global_load_dwordx2 v[22:23], v[22:23], off
.LBB138_62:                             ;   in Loop: Header=BB138_53 Depth=1
	s_or_b64 exec, exec, s[36:37]
	v_lshl_add_u64 v[104:105], v[102:103], 0, s[22:23]
	v_cmp_gt_i64_e32 vcc, s[8:9], v[104:105]
	s_and_saveexec_b64 s[36:37], vcc
	s_cbranch_execz .LBB138_64
; %bb.63:                               ;   in Loop: Header=BB138_53 Depth=1
	v_lshl_add_u64 v[8:9], v[92:93], 0, v[66:67]
	v_lshl_add_u64 v[24:25], v[94:95], 0, v[66:67]
	global_load_dwordx2 v[8:9], v[8:9], off
	s_nop 0
	global_load_dwordx2 v[24:25], v[24:25], off
.LBB138_64:                             ;   in Loop: Header=BB138_53 Depth=1
	;; [unrolled: 12-line block ×7, first 2 shown]
	s_or_b64 exec, exec, s[36:37]
	s_waitcnt vmcnt(0)
	ds_bpermute_b32 v104, v109, v106
	ds_bpermute_b32 v105, v109, v107
	ds_bpermute_b32 v110, v109, v106 offset:4
	ds_bpermute_b32 v111, v109, v107 offset:4
	v_mul_f64 v[4:5], v[20:21], v[4:5]
	ds_bpermute_b32 v20, v109, v106 offset:16
	s_waitcnt lgkmcnt(3)
	v_fma_f64 v[104:105], v[4:5], v[104:105], v[100:101]
	v_mul_f64 v[4:5], v[22:23], v[6:7]
	s_waitcnt lgkmcnt(1)
	v_fmac_f64_e32 v[104:105], v[4:5], v[110:111]
	ds_bpermute_b32 v4, v109, v106 offset:8
	ds_bpermute_b32 v5, v109, v107 offset:8
	v_mul_f64 v[6:7], v[24:25], v[8:9]
	ds_bpermute_b32 v8, v109, v106 offset:12
	ds_bpermute_b32 v9, v109, v107 offset:12
	;; [unrolled: 1-line block ×3, first 2 shown]
	s_waitcnt lgkmcnt(3)
	v_fmac_f64_e32 v[104:105], v[6:7], v[4:5]
	v_mul_f64 v[4:5], v[26:27], v[10:11]
	ds_bpermute_b32 v10, v109, v106 offset:28
	s_waitcnt lgkmcnt(2)
	v_fmac_f64_e32 v[104:105], v[4:5], v[8:9]
	v_mul_f64 v[4:5], v[28:29], v[12:13]
	s_waitcnt lgkmcnt(1)
	v_fmac_f64_e32 v[104:105], v[4:5], v[20:21]
	ds_bpermute_b32 v4, v109, v106 offset:20
	ds_bpermute_b32 v5, v109, v107 offset:20
	;; [unrolled: 1-line block ×5, first 2 shown]
	v_mul_f64 v[6:7], v[30:31], v[14:15]
	s_waitcnt lgkmcnt(3)
	v_fmac_f64_e32 v[104:105], v[6:7], v[4:5]
	v_mul_f64 v[4:5], v[32:33], v[16:17]
	s_waitcnt lgkmcnt(1)
	v_fmac_f64_e32 v[104:105], v[4:5], v[8:9]
	;; [unrolled: 3-line block ×3, first 2 shown]
	s_mov_b64 s[36:37], 0
.LBB138_75:                             ;   in Loop: Header=BB138_53 Depth=1
	s_and_b64 vcc, exec, s[36:37]
	s_cbranch_vccz .LBB138_81
; %bb.76:                               ;   in Loop: Header=BB138_53 Depth=1
	s_load_dword s33, s[4:5], 0x0
	v_mov_b64_e32 v[4:5], 0
	s_waitcnt lgkmcnt(0)
	s_cmp_lt_u32 s2, s33
	s_cselect_b32 s33, 12, 18
	s_add_u32 s36, s4, s33
	s_addc_u32 s37, s5, 0
	global_load_ushort v3, v2, s[36:37]
	s_waitcnt vmcnt(0)
	v_mad_u32_u24 v3, v1, v3, v108
	v_and_b32_e32 v6, 63, v3
	v_cmp_gt_u32_e32 vcc, 8, v6
	s_and_saveexec_b64 s[36:37], vcc
	s_cbranch_execz .LBB138_80
; %bb.77:                               ;   in Loop: Header=BB138_53 Depth=1
	v_mov_b32_e32 v7, v2
	v_lshl_add_u64 v[4:5], v[102:103], 0, v[6:7]
	v_lshl_add_u64 v[6:7], v[4:5], 0, s[12:13]
	v_cmp_gt_i64_e32 vcc, s[8:9], v[6:7]
	v_mov_b64_e32 v[4:5], 0
	s_and_saveexec_b64 s[38:39], vcc
	s_cbranch_execz .LBB138_79
; %bb.78:                               ;   in Loop: Header=BB138_53 Depth=1
	v_lshl_add_u64 v[4:5], v[6:7], 3, s[16:17]
	global_load_dwordx2 v[4:5], v[4:5], off
.LBB138_79:                             ;   in Loop: Header=BB138_53 Depth=1
	s_or_b64 exec, exec, s[38:39]
.LBB138_80:                             ;   in Loop: Header=BB138_53 Depth=1
	s_or_b64 exec, exec, s[36:37]
	v_lshl_add_u64 v[6:7], v[68:69], 0, v[66:67]
	v_lshl_add_u64 v[8:9], v[70:71], 0, v[66:67]
	global_load_dwordx2 v[6:7], v[6:7], off
	v_lshl_add_u64 v[10:11], v[38:39], 0, v[66:67]
	global_load_dwordx2 v[8:9], v[8:9], off
	;; [unrolled: 2-line block ×10, first 2 shown]
	v_lshl_add_u64 v[28:29], v[60:61], 0, v[66:67]
	v_lshl_add_u64 v[30:31], v[50:51], 0, v[66:67]
	;; [unrolled: 1-line block ×3, first 2 shown]
	global_load_dwordx2 v[26:27], v[26:27], off
	s_nop 0
	global_load_dwordx2 v[28:29], v[28:29], off
	s_nop 0
	;; [unrolled: 2-line block ×3, first 2 shown]
	global_load_dwordx2 v[32:33], v[32:33], off
	v_lshl_add_u64 v[34:35], v[54:55], 0, v[66:67]
	v_lshl_add_u64 v[102:103], v[64:65], 0, v[66:67]
	global_load_dwordx2 v[34:35], v[34:35], off
	s_nop 0
	global_load_dwordx2 v[102:103], v[102:103], off
	s_waitcnt vmcnt(16)
	ds_bpermute_b32 v104, v109, v4
	ds_bpermute_b32 v105, v109, v5
	ds_bpermute_b32 v106, v109, v4 offset:4
	ds_bpermute_b32 v107, v109, v5 offset:4
	ds_bpermute_b32 v110, v109, v4 offset:8
	ds_bpermute_b32 v111, v109, v5 offset:8
	ds_bpermute_b32 v112, v109, v4 offset:12
	ds_bpermute_b32 v113, v109, v5 offset:12
	ds_bpermute_b32 v114, v109, v4 offset:16
	ds_bpermute_b32 v115, v109, v5 offset:16
	ds_bpermute_b32 v116, v109, v4 offset:20
	ds_bpermute_b32 v117, v109, v5 offset:20
	ds_bpermute_b32 v118, v109, v4 offset:24
	ds_bpermute_b32 v119, v109, v5 offset:24
	ds_bpermute_b32 v4, v109, v4 offset:28
	ds_bpermute_b32 v5, v109, v5 offset:28
	s_waitcnt vmcnt(14)
	v_mul_f64 v[6:7], v[6:7], v[8:9]
	s_waitcnt lgkmcnt(14)
	v_fmac_f64_e32 v[100:101], v[6:7], v[104:105]
	s_waitcnt vmcnt(12)
	v_mul_f64 v[8:9], v[10:11], v[12:13]
	s_waitcnt lgkmcnt(12)
	v_fmac_f64_e32 v[100:101], v[8:9], v[106:107]
	;; [unrolled: 4-line block ×8, first 2 shown]
	v_mov_b64_e32 v[104:105], v[100:101]
.LBB138_81:                             ;   in Loop: Header=BB138_53 Depth=1
	s_add_u32 s18, s18, s3
	s_addc_u32 s19, s19, 0
	v_mov_b64_e32 v[4:5], s[8:9]
	s_add_u32 s20, s20, s3
	v_cmp_ge_i64_e32 vcc, s[18:19], v[4:5]
	v_lshl_add_u64 v[68:69], v[68:69], 0, s[6:7]
	v_lshl_add_u64 v[70:71], v[70:71], 0, s[6:7]
	s_addc_u32 s21, s21, 0
	v_lshl_add_u64 v[38:39], v[38:39], 0, s[6:7]
	v_lshl_add_u64 v[40:41], v[40:41], 0, s[6:7]
	v_lshl_add_u64 v[42:43], v[42:43], 0, s[6:7]
	v_lshl_add_u64 v[44:45], v[44:45], 0, s[6:7]
	v_lshl_add_u64 v[46:47], v[46:47], 0, s[6:7]
	v_lshl_add_u64 v[50:51], v[50:51], 0, s[6:7]
	v_lshl_add_u64 v[54:55], v[54:55], 0, s[6:7]
	v_lshl_add_u64 v[48:49], v[48:49], 0, s[6:7]
	v_lshl_add_u64 v[52:53], v[52:53], 0, s[6:7]
	v_lshl_add_u64 v[56:57], v[56:57], 0, s[6:7]
	v_lshl_add_u64 v[58:59], v[58:59], 0, s[6:7]
	v_lshl_add_u64 v[60:61], v[60:61], 0, s[6:7]
	v_lshl_add_u64 v[62:63], v[62:63], 0, s[6:7]
	v_lshl_add_u64 v[64:65], v[64:65], 0, s[6:7]
	v_lshl_add_u64 v[72:73], v[72:73], 0, s[6:7]
	v_lshl_add_u64 v[74:75], v[74:75], 0, s[6:7]
	v_lshl_add_u64 v[76:77], v[76:77], 0, s[6:7]
	v_lshl_add_u64 v[78:79], v[78:79], 0, s[6:7]
	v_lshl_add_u64 v[80:81], v[80:81], 0, s[6:7]
	v_lshl_add_u64 v[82:83], v[82:83], 0, s[6:7]
	v_lshl_add_u64 v[84:85], v[84:85], 0, s[6:7]
	v_lshl_add_u64 v[86:87], v[86:87], 0, s[6:7]
	v_lshl_add_u64 v[88:89], v[88:89], 0, s[6:7]
	v_lshl_add_u64 v[90:91], v[90:91], 0, s[6:7]
	v_lshl_add_u64 v[92:93], v[92:93], 0, s[6:7]
	v_lshl_add_u64 v[94:95], v[94:95], 0, s[6:7]
	v_lshl_add_u64 v[96:97], v[96:97], 0, s[6:7]
	v_lshl_add_u64 v[98:99], v[98:99], 0, s[6:7]
	s_cbranch_vccnz .LBB138_83
; %bb.82:                               ;   in Loop: Header=BB138_53 Depth=1
	v_mov_b64_e32 v[100:101], v[104:105]
	s_branch .LBB138_53
.LBB138_83:
	v_and_b32_e32 v4, 0x3ff, v0
	v_bfe_u32 v2, v0, 10, 10
	v_mad_u32_u24 v3, v2, 33, v4
	v_mov_b32_e32 v0, 0
	v_sub_u32_e32 v6, v3, v2
	s_movk_i32 s3, 0x800
	v_lshl_add_u32 v5, v3, 3, 0
	v_mov_b32_e32 v1, v0
	v_cmp_gt_u32_e32 vcc, s3, v6
	ds_write_b64 v5, v[104:105]
	ds_write_b64 v5, v[0:1] offset:8448
	s_waitcnt lgkmcnt(0)
	s_barrier
	s_and_saveexec_b64 s[4:5], vcc
	s_cbranch_execz .LBB138_93
; %bb.84:
	s_load_dwordx2 s[4:5], s[0:1], 0x30
	v_and_b32_e32 v1, 63, v6
	v_lshrrev_b32_e32 v0, 6, v6
	v_cmp_gt_u32_e32 vcc, 32, v1
	v_mul_u32_u24_e32 v1, 33, v1
                                        ; implicit-def: $vgpr2_vgpr3
	s_and_saveexec_b64 s[0:1], vcc
; %bb.85:
	v_lshlrev_b32_e32 v2, 3, v0
	v_lshlrev_b32_e32 v3, 3, v1
	v_add3_u32 v2, 0, v2, v3
	ds_read_b64 v[2:3], v2
; %bb.86:
	s_or_b64 exec, exec, s[0:1]
	v_mbcnt_lo_u32_b32 v5, -1, 0
	v_mbcnt_hi_u32_b32 v5, -1, v5
	v_and_b32_e32 v7, 64, v5
	v_add_u32_e32 v14, 64, v7
	v_xor_b32_e32 v7, 16, v5
	v_cmp_lt_i32_e64 s[0:1], v7, v14
	v_xor_b32_e32 v10, 8, v5
	s_mov_b32 s3, 0
	v_cndmask_b32_e64 v7, v5, v7, s[0:1]
	v_lshlrev_b32_e32 v7, 2, v7
	s_waitcnt lgkmcnt(0)
	ds_bpermute_b32 v8, v7, v2
	ds_bpermute_b32 v9, v7, v3
	v_cmp_lt_i32_e64 s[0:1], v10, v14
	s_lshl_b64 s[6:7], s[2:3], 5
	s_cmp_eq_u64 s[4:5], 0
	s_cselect_b64 s[8:9], -1, 0
	s_waitcnt lgkmcnt(0)
	v_add_f64 v[2:3], v[2:3], v[8:9]
	v_cndmask_b32_e64 v8, v5, v10, s[0:1]
	v_lshlrev_b32_e32 v8, 2, v8
	ds_bpermute_b32 v10, v8, v2
	ds_bpermute_b32 v11, v8, v3
	v_xor_b32_e32 v9, 4, v5
	v_cmp_lt_i32_e64 s[0:1], v9, v14
	s_waitcnt lgkmcnt(0)
	v_add_f64 v[2:3], v[2:3], v[10:11]
	v_cndmask_b32_e64 v9, v5, v9, s[0:1]
	v_lshlrev_b32_e32 v9, 2, v9
	ds_bpermute_b32 v10, v9, v2
	ds_bpermute_b32 v11, v9, v3
	s_waitcnt lgkmcnt(0)
	v_add_f64 v[2:3], v[2:3], v[10:11]
	v_xor_b32_e32 v10, 2, v5
	v_cmp_lt_i32_e64 s[0:1], v10, v14
	v_xor_b32_e32 v11, 1, v5
	s_nop 0
	v_cndmask_b32_e64 v10, v5, v10, s[0:1]
	v_lshlrev_b32_e32 v10, 2, v10
	ds_bpermute_b32 v12, v10, v2
	ds_bpermute_b32 v13, v10, v3
	v_cmp_lt_i32_e64 s[0:1], v11, v14
	s_waitcnt lgkmcnt(0)
	v_add_f64 v[2:3], v[2:3], v[12:13]
	v_cndmask_b32_e64 v5, v5, v11, s[0:1]
	v_lshlrev_b32_e32 v11, 2, v5
	ds_bpermute_b32 v12, v11, v2
	ds_bpermute_b32 v13, v11, v3
	v_cmp_ne_u32_e64 s[0:1], 0, v4
	v_or_b32_e32 v4, s6, v0
	v_mov_b32_e32 v5, s7
	v_cmp_le_i64_e64 s[2:3], s[10:11], v[4:5]
	s_or_b64 s[2:3], s[0:1], s[2:3]
	s_waitcnt lgkmcnt(0)
	v_add_f64 v[2:3], v[2:3], v[12:13]
	s_nor_b64 s[12:13], s[8:9], s[2:3]
	s_and_saveexec_b64 s[2:3], s[12:13]
	s_cbranch_execz .LBB138_88
; %bb.87:
	v_lshl_add_u64 v[4:5], v[4:5], 3, s[4:5]
	global_store_dwordx2 v[4:5], v[2:3], off
.LBB138_88:
	s_or_b64 exec, exec, s[2:3]
	s_movk_i32 s2, 0x400
	v_cmp_gt_u32_e64 s[2:3], s2, v6
	s_and_b64 exec, exec, s[2:3]
	s_cbranch_execz .LBB138_93
; %bb.89:
	s_and_saveexec_b64 s[2:3], vcc
; %bb.90:
	v_lshlrev_b32_e32 v2, 3, v0
	v_lshlrev_b32_e32 v1, 3, v1
	v_add3_u32 v1, 0, v2, v1
	ds_read_b64 v[2:3], v1 offset:128
; %bb.91:
	s_or_b64 exec, exec, s[2:3]
	s_waitcnt lgkmcnt(0)
	ds_bpermute_b32 v4, v7, v2
	ds_bpermute_b32 v5, v7, v3
	v_add_u32_e32 v1, 16, v0
	v_or_b32_e32 v6, s6, v1
	v_mov_b32_e32 v7, s7
	v_cmp_le_i64_e32 vcc, s[10:11], v[6:7]
	s_waitcnt lgkmcnt(0)
	v_add_f64 v[2:3], v[2:3], v[4:5]
	ds_bpermute_b32 v4, v8, v2
	ds_bpermute_b32 v5, v8, v3
	s_or_b64 s[0:1], s[0:1], vcc
	s_nor_b64 s[0:1], s[8:9], s[0:1]
	s_waitcnt lgkmcnt(0)
	v_add_f64 v[2:3], v[2:3], v[4:5]
	ds_bpermute_b32 v4, v9, v2
	ds_bpermute_b32 v5, v9, v3
	s_waitcnt lgkmcnt(0)
	v_add_f64 v[2:3], v[2:3], v[4:5]
	ds_bpermute_b32 v4, v10, v2
	ds_bpermute_b32 v5, v10, v3
	;; [unrolled: 4-line block ×3, first 2 shown]
	s_and_saveexec_b64 s[2:3], s[0:1]
	s_xor_b64 s[2:3], exec, s[2:3]
	s_cbranch_execz .LBB138_93
; %bb.92:
	v_mov_b32_e32 v1, 0
	v_lshl_add_u64 v[0:1], s[6:7], 0, v[0:1]
	s_waitcnt lgkmcnt(0)
	v_add_f64 v[2:3], v[2:3], v[4:5]
	v_lshl_add_u64 v[0:1], v[0:1], 3, s[4:5]
	global_store_dwordx2 v[0:1], v[2:3], off offset:128
.LBB138_93:
	s_endpgm
	.section	.rodata,"a",@progbits
	.p2align	6, 0x0
	.amdhsa_kernel _ZN2at6native12_GLOBAL__N_135GammaBetaBackwardCUDAKernelTemplateIddLj32ELj32ELj256ELb0ELb0ELb1EEEvllPKT_S5_PKT0_S8_PS3_S9_
		.amdhsa_group_segment_fixed_size 0
		.amdhsa_private_segment_fixed_size 0
		.amdhsa_kernarg_size 320
		.amdhsa_user_sgpr_count 2
		.amdhsa_user_sgpr_dispatch_ptr 0
		.amdhsa_user_sgpr_queue_ptr 0
		.amdhsa_user_sgpr_kernarg_segment_ptr 1
		.amdhsa_user_sgpr_dispatch_id 0
		.amdhsa_user_sgpr_kernarg_preload_length 0
		.amdhsa_user_sgpr_kernarg_preload_offset 0
		.amdhsa_user_sgpr_private_segment_size 0
		.amdhsa_uses_dynamic_stack 0
		.amdhsa_enable_private_segment 0
		.amdhsa_system_sgpr_workgroup_id_x 1
		.amdhsa_system_sgpr_workgroup_id_y 1
		.amdhsa_system_sgpr_workgroup_id_z 0
		.amdhsa_system_sgpr_workgroup_info 0
		.amdhsa_system_vgpr_workitem_id 1
		.amdhsa_next_free_vgpr 120
		.amdhsa_next_free_sgpr 50
		.amdhsa_accum_offset 120
		.amdhsa_reserve_vcc 1
		.amdhsa_float_round_mode_32 0
		.amdhsa_float_round_mode_16_64 0
		.amdhsa_float_denorm_mode_32 3
		.amdhsa_float_denorm_mode_16_64 3
		.amdhsa_dx10_clamp 1
		.amdhsa_ieee_mode 1
		.amdhsa_fp16_overflow 0
		.amdhsa_tg_split 0
		.amdhsa_exception_fp_ieee_invalid_op 0
		.amdhsa_exception_fp_denorm_src 0
		.amdhsa_exception_fp_ieee_div_zero 0
		.amdhsa_exception_fp_ieee_overflow 0
		.amdhsa_exception_fp_ieee_underflow 0
		.amdhsa_exception_fp_ieee_inexact 0
		.amdhsa_exception_int_div_zero 0
	.end_amdhsa_kernel
	.section	.text._ZN2at6native12_GLOBAL__N_135GammaBetaBackwardCUDAKernelTemplateIddLj32ELj32ELj256ELb0ELb0ELb1EEEvllPKT_S5_PKT0_S8_PS3_S9_,"axG",@progbits,_ZN2at6native12_GLOBAL__N_135GammaBetaBackwardCUDAKernelTemplateIddLj32ELj32ELj256ELb0ELb0ELb1EEEvllPKT_S5_PKT0_S8_PS3_S9_,comdat
.Lfunc_end138:
	.size	_ZN2at6native12_GLOBAL__N_135GammaBetaBackwardCUDAKernelTemplateIddLj32ELj32ELj256ELb0ELb0ELb1EEEvllPKT_S5_PKT0_S8_PS3_S9_, .Lfunc_end138-_ZN2at6native12_GLOBAL__N_135GammaBetaBackwardCUDAKernelTemplateIddLj32ELj32ELj256ELb0ELb0ELb1EEEvllPKT_S5_PKT0_S8_PS3_S9_
                                        ; -- End function
	.set _ZN2at6native12_GLOBAL__N_135GammaBetaBackwardCUDAKernelTemplateIddLj32ELj32ELj256ELb0ELb0ELb1EEEvllPKT_S5_PKT0_S8_PS3_S9_.num_vgpr, 120
	.set _ZN2at6native12_GLOBAL__N_135GammaBetaBackwardCUDAKernelTemplateIddLj32ELj32ELj256ELb0ELb0ELb1EEEvllPKT_S5_PKT0_S8_PS3_S9_.num_agpr, 0
	.set _ZN2at6native12_GLOBAL__N_135GammaBetaBackwardCUDAKernelTemplateIddLj32ELj32ELj256ELb0ELb0ELb1EEEvllPKT_S5_PKT0_S8_PS3_S9_.numbered_sgpr, 50
	.set _ZN2at6native12_GLOBAL__N_135GammaBetaBackwardCUDAKernelTemplateIddLj32ELj32ELj256ELb0ELb0ELb1EEEvllPKT_S5_PKT0_S8_PS3_S9_.num_named_barrier, 0
	.set _ZN2at6native12_GLOBAL__N_135GammaBetaBackwardCUDAKernelTemplateIddLj32ELj32ELj256ELb0ELb0ELb1EEEvllPKT_S5_PKT0_S8_PS3_S9_.private_seg_size, 0
	.set _ZN2at6native12_GLOBAL__N_135GammaBetaBackwardCUDAKernelTemplateIddLj32ELj32ELj256ELb0ELb0ELb1EEEvllPKT_S5_PKT0_S8_PS3_S9_.uses_vcc, 1
	.set _ZN2at6native12_GLOBAL__N_135GammaBetaBackwardCUDAKernelTemplateIddLj32ELj32ELj256ELb0ELb0ELb1EEEvllPKT_S5_PKT0_S8_PS3_S9_.uses_flat_scratch, 0
	.set _ZN2at6native12_GLOBAL__N_135GammaBetaBackwardCUDAKernelTemplateIddLj32ELj32ELj256ELb0ELb0ELb1EEEvllPKT_S5_PKT0_S8_PS3_S9_.has_dyn_sized_stack, 0
	.set _ZN2at6native12_GLOBAL__N_135GammaBetaBackwardCUDAKernelTemplateIddLj32ELj32ELj256ELb0ELb0ELb1EEEvllPKT_S5_PKT0_S8_PS3_S9_.has_recursion, 0
	.set _ZN2at6native12_GLOBAL__N_135GammaBetaBackwardCUDAKernelTemplateIddLj32ELj32ELj256ELb0ELb0ELb1EEEvllPKT_S5_PKT0_S8_PS3_S9_.has_indirect_call, 0
	.section	.AMDGPU.csdata,"",@progbits
; Kernel info:
; codeLenInByte = 7184
; TotalNumSgprs: 56
; NumVgprs: 120
; NumAgprs: 0
; TotalNumVgprs: 120
; ScratchSize: 0
; MemoryBound: 1
; FloatMode: 240
; IeeeMode: 1
; LDSByteSize: 0 bytes/workgroup (compile time only)
; SGPRBlocks: 6
; VGPRBlocks: 14
; NumSGPRsForWavesPerEU: 56
; NumVGPRsForWavesPerEU: 120
; AccumOffset: 120
; Occupancy: 4
; WaveLimiterHint : 0
; COMPUTE_PGM_RSRC2:SCRATCH_EN: 0
; COMPUTE_PGM_RSRC2:USER_SGPR: 2
; COMPUTE_PGM_RSRC2:TRAP_HANDLER: 0
; COMPUTE_PGM_RSRC2:TGID_X_EN: 1
; COMPUTE_PGM_RSRC2:TGID_Y_EN: 1
; COMPUTE_PGM_RSRC2:TGID_Z_EN: 0
; COMPUTE_PGM_RSRC2:TIDIG_COMP_CNT: 1
; COMPUTE_PGM_RSRC3_GFX90A:ACCUM_OFFSET: 29
; COMPUTE_PGM_RSRC3_GFX90A:TG_SPLIT: 0
	.section	.text._ZN2at6native12_GLOBAL__N_118cuComputeGradInputIffLb1EEEvPKT_S5_llPKT0_S8_S5_PS3_,"axG",@progbits,_ZN2at6native12_GLOBAL__N_118cuComputeGradInputIffLb1EEEvPKT_S5_llPKT0_S8_S5_PS3_,comdat
	.globl	_ZN2at6native12_GLOBAL__N_118cuComputeGradInputIffLb1EEEvPKT_S5_llPKT0_S8_S5_PS3_ ; -- Begin function _ZN2at6native12_GLOBAL__N_118cuComputeGradInputIffLb1EEEvPKT_S5_llPKT0_S8_S5_PS3_
	.p2align	8
	.type	_ZN2at6native12_GLOBAL__N_118cuComputeGradInputIffLb1EEEvPKT_S5_llPKT0_S8_S5_PS3_,@function
_ZN2at6native12_GLOBAL__N_118cuComputeGradInputIffLb1EEEvPKT_S5_llPKT0_S8_S5_PS3_: ; @_ZN2at6native12_GLOBAL__N_118cuComputeGradInputIffLb1EEEvPKT_S5_llPKT0_S8_S5_PS3_
; %bb.0:
	s_load_dwordx4 s[16:19], s[0:1], 0x10
	s_mov_b32 s14, s3
	s_ashr_i32 s15, s3, 31
	v_mov_b64_e32 v[2:3], s[14:15]
	s_waitcnt lgkmcnt(0)
	v_cmp_le_i64_e32 vcc, s[16:17], v[2:3]
	s_cbranch_vccnz .LBB139_49
; %bb.1:
	s_load_dword s2, s[0:1], 0x4c
	s_load_dwordx4 s[20:23], s[0:1], 0x30
	s_load_dword s33, s[0:1], 0x44
	s_load_dwordx4 s[24:27], s[0:1], 0x0
	s_load_dwordx2 s[28:29], s[0:1], 0x28
	s_waitcnt lgkmcnt(0)
	s_lshr_b32 s44, s2, 16
	s_and_b32 s45, s2, 0xffff
	s_cmp_lg_u64 s[20:21], 0
	s_cselect_b64 s[6:7], -1, 0
	s_cmp_gt_u32 s45, 1
	s_cselect_b64 s[34:35], -1, 0
	s_cmp_gt_u32 s44, 1
	s_cselect_b64 s[36:37], -1, 0
	s_xor_b32 s1, s18, s19
	s_flbit_i32 s0, s19
	s_ashr_i32 s1, s1, 31
	s_add_i32 s0, s0, -1
	s_add_i32 s1, s1, 32
	s_min_u32 s2, s0, s1
	s_lshl_b64 s[0:1], s[18:19], s2
	s_min_u32 s0, s0, 1
	s_or_b32 s0, s1, s0
	v_cvt_f32_i32_e32 v1, s0
	s_sub_i32 s0, 32, s2
	v_and_b32_e32 v12, 0x3ff, v0
	v_bfe_u32 v13, v0, 10, 10
	v_ldexp_f32 v2, v1, s0
	v_div_scale_f32 v1, s[0:1], v2, v2, 1.0
	v_rcp_f32_e32 v4, v1
	s_mul_i32 s30, s44, s45
	v_mad_u32_u24 v0, v13, s45, v12
	v_lshlrev_b32_e32 v3, 3, v0
	v_fma_f32 v5, -v1, v4, 1.0
	v_fmac_f32_e32 v4, v5, v4
	v_div_scale_f32 v5, vcc, 1.0, v2, 1.0
	v_mul_f32_e32 v7, v5, v4
	v_fma_f32 v8, -v1, v7, v5
	v_fmac_f32_e32 v7, v8, v4
	v_fma_f32 v1, -v1, v7, v5
	v_div_fmas_f32 v1, v1, v4, v7
	v_add_u32_e32 v4, s30, v0
	s_ashr_i32 s31, s30, 31
	v_ashrrev_i32_e32 v5, 31, v4
	v_mov_b32_e32 v7, s31
	v_subrev_co_u32_e32 v4, vcc, s30, v4
	v_add_u32_e32 v15, 0, v3
	v_mbcnt_lo_u32_b32 v3, -1, 0
	v_subb_co_u32_e32 v5, vcc, v5, v7, vcc
	v_cndmask_b32_e64 v7, 0, 1, s[6:7]
	v_cmp_gt_i64_e64 s[6:7], s[18:19], 0
	v_mbcnt_hi_u32_b32 v16, -1, v3
	v_lshlrev_b32_e32 v6, 3, v12
	v_div_fixup_f32 v14, v1, v2, 1.0
	v_mov_b32_e32 v1, 0
	v_cndmask_b32_e64 v8, 0, 1, s[6:7]
	v_and_b32_e32 v3, 64, v16
	v_cmp_eq_u32_e64 s[0:1], 0, v13
	v_cmp_ne_u32_e64 s[2:3], 0, v13
	v_cmp_gt_i64_e64 s[4:5], s[18:19], v[0:1]
	v_cmp_ne_u32_e64 s[6:7], 1, v7
	v_cmp_ne_u32_e64 s[8:9], 1, v8
	v_add_u32_e32 v17, 64, v3
	v_add_u32_e32 v18, 0, v6
	s_branch .LBB139_4
.LBB139_2:                              ;   in Loop: Header=BB139_4 Depth=1
	s_or_b64 exec, exec, s[12:13]
.LBB139_3:                              ;   in Loop: Header=BB139_4 Depth=1
	s_add_i32 s14, s33, s14
	s_ashr_i32 s15, s14, 31
	v_mov_b64_e32 v[6:7], s[14:15]
	v_cmp_le_i64_e32 vcc, s[16:17], v[6:7]
	s_barrier
	s_cbranch_vccnz .LBB139_49
.LBB139_4:                              ; =>This Loop Header: Depth=1
                                        ;     Child Loop BB139_8 Depth 2
                                        ;     Child Loop BB139_20 Depth 2
	;; [unrolled: 1-line block ×6, first 2 shown]
	s_mul_i32 s10, s14, s19
	s_mul_hi_u32 s11, s14, s18
	s_add_i32 s10, s11, s10
	s_mul_i32 s11, s15, s18
	s_add_i32 s11, s10, s11
	s_lshl_b64 s[12:13], s[14:15], 2
	s_add_u32 s12, s28, s12
	s_mul_i32 s10, s14, s18
	s_addc_u32 s13, s29, s13
	s_load_dword s15, s[12:13], 0x0
	s_lshl_b64 s[42:43], s[10:11], 2
	s_add_u32 s38, s26, s42
	s_addc_u32 s39, s27, s43
	s_add_u32 s40, s24, s42
	s_addc_u32 s41, s25, s43
	s_and_b64 vcc, exec, s[6:7]
	s_cbranch_vccnz .LBB139_14
; %bb.5:                                ;   in Loop: Header=BB139_4 Depth=1
	s_and_b64 vcc, exec, s[8:9]
	s_cbranch_vccnz .LBB139_15
; %bb.6:                                ;   in Loop: Header=BB139_4 Depth=1
	s_mov_b32 s12, 0
	v_mov_b32_e32 v7, 0
	s_branch .LBB139_8
.LBB139_7:                              ;   in Loop: Header=BB139_8 Depth=2
	s_or_b64 exec, exec, s[10:11]
	s_add_i32 s12, s12, s30
	s_ashr_i32 s10, s12, 31
	s_waitcnt vmcnt(0)
	v_mul_f32_e32 v3, v3, v10
	v_mov_b32_e32 v8, s12
	v_mov_b32_e32 v9, s10
	v_mul_f32_e32 v3, v6, v3
	v_cmp_le_i64_e32 vcc, s[18:19], v[8:9]
	s_waitcnt lgkmcnt(0)
	v_fmac_f32_e32 v7, s15, v3
	s_cbranch_vccnz .LBB139_16
.LBB139_8:                              ;   Parent Loop BB139_4 Depth=1
                                        ; =>  This Inner Loop Header: Depth=2
	v_add_u32_e32 v8, s12, v0
	v_ashrrev_i32_e32 v9, 31, v8
	v_cmp_gt_i64_e32 vcc, s[18:19], v[8:9]
	v_mov_b32_e32 v3, 0
	s_and_saveexec_b64 s[10:11], vcc
	s_cbranch_execz .LBB139_10
; %bb.9:                                ;   in Loop: Header=BB139_8 Depth=2
	v_lshl_add_u64 v[10:11], v[8:9], 2, s[20:21]
	global_load_dword v3, v[10:11], off
.LBB139_10:                             ;   in Loop: Header=BB139_8 Depth=2
	s_or_b64 exec, exec, s[10:11]
	v_mov_b32_e32 v10, 0
	v_mov_b32_e32 v6, 0
	s_and_saveexec_b64 s[10:11], vcc
	s_cbranch_execz .LBB139_12
; %bb.11:                               ;   in Loop: Header=BB139_8 Depth=2
	v_lshl_add_u64 v[20:21], v[8:9], 2, s[38:39]
	global_load_dword v6, v[20:21], off
.LBB139_12:                             ;   in Loop: Header=BB139_8 Depth=2
	s_or_b64 exec, exec, s[10:11]
	s_and_saveexec_b64 s[10:11], vcc
	s_cbranch_execz .LBB139_7
; %bb.13:                               ;   in Loop: Header=BB139_8 Depth=2
	v_lshl_add_u64 v[8:9], v[8:9], 2, s[40:41]
	global_load_dword v10, v[8:9], off
	s_branch .LBB139_7
.LBB139_14:                             ;   in Loop: Header=BB139_4 Depth=1
                                        ; implicit-def: $vgpr7
	s_branch .LBB139_17
.LBB139_15:                             ;   in Loop: Header=BB139_4 Depth=1
	v_mov_b32_e32 v7, 0
.LBB139_16:                             ;   in Loop: Header=BB139_4 Depth=1
	s_cbranch_execnz .LBB139_25
.LBB139_17:                             ;   in Loop: Header=BB139_4 Depth=1
	s_and_b64 vcc, exec, s[8:9]
	s_cbranch_vccnz .LBB139_24
; %bb.18:                               ;   in Loop: Header=BB139_4 Depth=1
	s_mov_b32 s12, 0
	v_mov_b32_e32 v7, 0
	s_branch .LBB139_20
.LBB139_19:                             ;   in Loop: Header=BB139_20 Depth=2
	s_or_b64 exec, exec, s[10:11]
	s_add_i32 s12, s12, s30
	s_ashr_i32 s10, s12, 31
	v_mov_b32_e32 v8, s12
	v_mov_b32_e32 v9, s10
	s_waitcnt vmcnt(0)
	v_mul_f32_e32 v3, v3, v6
	v_cmp_le_i64_e32 vcc, s[18:19], v[8:9]
	s_waitcnt lgkmcnt(0)
	v_fmac_f32_e32 v7, s15, v3
	s_cbranch_vccnz .LBB139_25
.LBB139_20:                             ;   Parent Loop BB139_4 Depth=1
                                        ; =>  This Inner Loop Header: Depth=2
	v_add_u32_e32 v8, s12, v0
	v_ashrrev_i32_e32 v9, 31, v8
	v_cmp_gt_i64_e32 vcc, s[18:19], v[8:9]
	v_mov_b32_e32 v3, 0
	s_and_saveexec_b64 s[10:11], vcc
	s_cbranch_execz .LBB139_22
; %bb.21:                               ;   in Loop: Header=BB139_20 Depth=2
	v_lshl_add_u64 v[10:11], v[8:9], 2, s[38:39]
	global_load_dword v3, v[10:11], off
.LBB139_22:                             ;   in Loop: Header=BB139_20 Depth=2
	s_or_b64 exec, exec, s[10:11]
	v_mov_b32_e32 v6, 0
	s_and_saveexec_b64 s[10:11], vcc
	s_cbranch_execz .LBB139_19
; %bb.23:                               ;   in Loop: Header=BB139_20 Depth=2
	v_lshl_add_u64 v[8:9], v[8:9], 2, s[40:41]
	global_load_dword v6, v[8:9], off
	s_branch .LBB139_19
.LBB139_24:                             ;   in Loop: Header=BB139_4 Depth=1
	v_mov_b32_e32 v7, 0
.LBB139_25:                             ;   in Loop: Header=BB139_4 Depth=1
	s_andn2_b64 vcc, exec, s[34:35]
	s_cbranch_vccnz .LBB139_28
; %bb.26:                               ;   in Loop: Header=BB139_4 Depth=1
	s_mov_b32 s10, s45
.LBB139_27:                             ;   Parent Loop BB139_4 Depth=1
                                        ; =>  This Inner Loop Header: Depth=2
	s_lshr_b32 s11, s10, 1
	v_xor_b32_e32 v3, s11, v16
	v_cmp_lt_i32_e32 vcc, v3, v17
	s_cmp_lt_u32 s10, 4
	s_mov_b32 s10, s11
	v_cndmask_b32_e32 v3, v16, v3, vcc
	v_lshlrev_b32_e32 v3, 2, v3
	ds_bpermute_b32 v3, v3, v7
	s_waitcnt lgkmcnt(0)
	v_add_f32_e32 v7, v7, v3
	s_cbranch_scc0 .LBB139_27
.LBB139_28:                             ;   in Loop: Header=BB139_4 Depth=1
	s_andn2_b64 vcc, exec, s[36:37]
	s_mov_b32 s46, s44
	s_cbranch_vccnz .LBB139_40
.LBB139_29:                             ;   Parent Loop BB139_4 Depth=1
                                        ; =>  This Inner Loop Header: Depth=2
	s_lshr_b32 s47, s46, 1
	s_and_b32 s12, s46, 0xfffe
	v_cmp_le_u32_e64 s[10:11], s47, v13
	v_cmp_gt_u32_e64 s[12:13], s12, v13
	v_cmp_gt_u32_e32 vcc, s47, v13
	s_and_b64 s[12:13], s[10:11], s[12:13]
	s_and_saveexec_b64 s[10:11], s[12:13]
; %bb.30:                               ;   in Loop: Header=BB139_29 Depth=2
	v_subrev_u32_e32 v3, s47, v13
	v_mad_u32_u24 v3, v3, s45, v12
	v_lshl_add_u32 v3, v3, 3, 0
	ds_write_b32 v3, v7 offset:4
; %bb.31:                               ;   in Loop: Header=BB139_29 Depth=2
	s_or_b64 exec, exec, s[10:11]
	s_waitcnt lgkmcnt(0)
	s_barrier
	s_and_saveexec_b64 s[10:11], vcc
	s_cbranch_execz .LBB139_33
; %bb.32:                               ;   in Loop: Header=BB139_29 Depth=2
	ds_read_b32 v3, v15 offset:4
	s_waitcnt lgkmcnt(0)
	v_add_f32_e32 v7, v7, v3
.LBB139_33:                             ;   in Loop: Header=BB139_29 Depth=2
	s_or_b64 exec, exec, s[10:11]
	s_cmp_lt_u32 s46, 4
	s_barrier
	s_cbranch_scc1 .LBB139_35
; %bb.34:                               ;   in Loop: Header=BB139_29 Depth=2
	s_mov_b32 s46, s47
	s_branch .LBB139_29
.LBB139_35:                             ;   in Loop: Header=BB139_4 Depth=1
	s_and_saveexec_b64 s[10:11], s[0:1]
; %bb.36:                               ;   in Loop: Header=BB139_4 Depth=1
	ds_write_b32 v18, v7 offset:4
; %bb.37:                               ;   in Loop: Header=BB139_4 Depth=1
	s_or_b64 exec, exec, s[10:11]
	s_waitcnt lgkmcnt(0)
	s_barrier
	s_and_saveexec_b64 s[10:11], s[2:3]
; %bb.38:                               ;   in Loop: Header=BB139_4 Depth=1
	ds_read_b32 v7, v18 offset:4
; %bb.39:                               ;   in Loop: Header=BB139_4 Depth=1
	s_or_b64 exec, exec, s[10:11]
.LBB139_40:                             ;   in Loop: Header=BB139_4 Depth=1
	s_add_u32 s10, s22, s42
	s_addc_u32 s11, s23, s43
	s_and_b64 vcc, exec, s[6:7]
	s_waitcnt lgkmcnt(0)
	v_mul_f32_e32 v19, s15, v14
	s_cbranch_vccnz .LBB139_45
; %bb.41:                               ;   in Loop: Header=BB139_4 Depth=1
	s_and_saveexec_b64 s[12:13], s[4:5]
	s_cbranch_execz .LBB139_44
; %bb.42:                               ;   in Loop: Header=BB139_4 Depth=1
	s_mov_b64 s[42:43], 0
	v_mov_b64_e32 v[8:9], v[4:5]
	v_mov_b64_e32 v[10:11], v[0:1]
.LBB139_43:                             ;   Parent Loop BB139_4 Depth=1
                                        ; =>  This Inner Loop Header: Depth=2
	v_lshlrev_b64 v[10:11], 2, v[10:11]
	v_lshl_add_u64 v[20:21], s[38:39], 0, v[10:11]
	v_lshl_add_u64 v[22:23], s[40:41], 0, v[10:11]
	;; [unrolled: 1-line block ×3, first 2 shown]
	global_load_dword v3, v[20:21], off
	global_load_dword v26, v[22:23], off
	;; [unrolled: 1-line block ×3, first 2 shown]
	v_mov_b32_e32 v27, s15
	v_lshl_add_u64 v[8:9], v[8:9], 0, s[30:31]
	v_cmp_le_i64_e32 vcc, s[18:19], v[8:9]
	v_lshl_add_u64 v[20:21], s[10:11], 0, v[10:11]
	v_ashrrev_i32_e32 v11, 31, v8
	v_mov_b32_e32 v10, v8
	s_or_b64 s[42:43], vcc, s[42:43]
	s_waitcnt vmcnt(1)
	v_pk_mul_f32 v[22:23], v[26:27], v[2:3]
	s_waitcnt vmcnt(0)
	v_pk_mul_f32 v[22:23], v[22:23], v[6:7]
	s_nop 0
	v_sub_f32_e32 v3, v22, v23
	v_mul_f32_e32 v3, v19, v3
	global_store_dword v[20:21], v3, off
	s_andn2_b64 exec, exec, s[42:43]
	s_cbranch_execnz .LBB139_43
.LBB139_44:                             ;   in Loop: Header=BB139_4 Depth=1
	s_or_b64 exec, exec, s[12:13]
	s_cbranch_execnz .LBB139_3
	s_branch .LBB139_46
.LBB139_45:                             ;   in Loop: Header=BB139_4 Depth=1
.LBB139_46:                             ;   in Loop: Header=BB139_4 Depth=1
	s_and_saveexec_b64 s[12:13], s[4:5]
	s_cbranch_execz .LBB139_2
; %bb.47:                               ;   in Loop: Header=BB139_4 Depth=1
	s_mov_b64 s[42:43], 0
	v_mov_b64_e32 v[8:9], v[4:5]
	v_mov_b64_e32 v[10:11], v[0:1]
.LBB139_48:                             ;   Parent Loop BB139_4 Depth=1
                                        ; =>  This Inner Loop Header: Depth=2
	v_lshlrev_b64 v[10:11], 2, v[10:11]
	v_lshl_add_u64 v[20:21], s[38:39], 0, v[10:11]
	v_lshl_add_u64 v[22:23], s[40:41], 0, v[10:11]
	global_load_dword v3, v[20:21], off
	global_load_dword v6, v[22:23], off
	v_lshl_add_u64 v[8:9], v[8:9], 0, s[30:31]
	v_cmp_le_i64_e32 vcc, s[18:19], v[8:9]
	v_lshl_add_u64 v[20:21], s[10:11], 0, v[10:11]
	v_ashrrev_i32_e32 v11, 31, v8
	v_mov_b32_e32 v10, v8
	s_or_b64 s[42:43], vcc, s[42:43]
	s_waitcnt vmcnt(1)
	v_mul_f32_e32 v3, s15, v3
	s_waitcnt vmcnt(0)
	v_pk_mul_f32 v[22:23], v[6:7], v[2:3]
	s_nop 0
	v_sub_f32_e32 v3, v22, v23
	v_mul_f32_e32 v3, v19, v3
	global_store_dword v[20:21], v3, off
	s_andn2_b64 exec, exec, s[42:43]
	s_cbranch_execnz .LBB139_48
	s_branch .LBB139_2
.LBB139_49:
	s_endpgm
	.section	.rodata,"a",@progbits
	.p2align	6, 0x0
	.amdhsa_kernel _ZN2at6native12_GLOBAL__N_118cuComputeGradInputIffLb1EEEvPKT_S5_llPKT0_S8_S5_PS3_
		.amdhsa_group_segment_fixed_size 0
		.amdhsa_private_segment_fixed_size 0
		.amdhsa_kernarg_size 320
		.amdhsa_user_sgpr_count 2
		.amdhsa_user_sgpr_dispatch_ptr 0
		.amdhsa_user_sgpr_queue_ptr 0
		.amdhsa_user_sgpr_kernarg_segment_ptr 1
		.amdhsa_user_sgpr_dispatch_id 0
		.amdhsa_user_sgpr_kernarg_preload_length 0
		.amdhsa_user_sgpr_kernarg_preload_offset 0
		.amdhsa_user_sgpr_private_segment_size 0
		.amdhsa_uses_dynamic_stack 0
		.amdhsa_enable_private_segment 0
		.amdhsa_system_sgpr_workgroup_id_x 1
		.amdhsa_system_sgpr_workgroup_id_y 1
		.amdhsa_system_sgpr_workgroup_id_z 0
		.amdhsa_system_sgpr_workgroup_info 0
		.amdhsa_system_vgpr_workitem_id 1
		.amdhsa_next_free_vgpr 28
		.amdhsa_next_free_sgpr 48
		.amdhsa_accum_offset 28
		.amdhsa_reserve_vcc 1
		.amdhsa_float_round_mode_32 0
		.amdhsa_float_round_mode_16_64 0
		.amdhsa_float_denorm_mode_32 3
		.amdhsa_float_denorm_mode_16_64 3
		.amdhsa_dx10_clamp 1
		.amdhsa_ieee_mode 1
		.amdhsa_fp16_overflow 0
		.amdhsa_tg_split 0
		.amdhsa_exception_fp_ieee_invalid_op 0
		.amdhsa_exception_fp_denorm_src 0
		.amdhsa_exception_fp_ieee_div_zero 0
		.amdhsa_exception_fp_ieee_overflow 0
		.amdhsa_exception_fp_ieee_underflow 0
		.amdhsa_exception_fp_ieee_inexact 0
		.amdhsa_exception_int_div_zero 0
	.end_amdhsa_kernel
	.section	.text._ZN2at6native12_GLOBAL__N_118cuComputeGradInputIffLb1EEEvPKT_S5_llPKT0_S8_S5_PS3_,"axG",@progbits,_ZN2at6native12_GLOBAL__N_118cuComputeGradInputIffLb1EEEvPKT_S5_llPKT0_S8_S5_PS3_,comdat
.Lfunc_end139:
	.size	_ZN2at6native12_GLOBAL__N_118cuComputeGradInputIffLb1EEEvPKT_S5_llPKT0_S8_S5_PS3_, .Lfunc_end139-_ZN2at6native12_GLOBAL__N_118cuComputeGradInputIffLb1EEEvPKT_S5_llPKT0_S8_S5_PS3_
                                        ; -- End function
	.set _ZN2at6native12_GLOBAL__N_118cuComputeGradInputIffLb1EEEvPKT_S5_llPKT0_S8_S5_PS3_.num_vgpr, 28
	.set _ZN2at6native12_GLOBAL__N_118cuComputeGradInputIffLb1EEEvPKT_S5_llPKT0_S8_S5_PS3_.num_agpr, 0
	.set _ZN2at6native12_GLOBAL__N_118cuComputeGradInputIffLb1EEEvPKT_S5_llPKT0_S8_S5_PS3_.numbered_sgpr, 48
	.set _ZN2at6native12_GLOBAL__N_118cuComputeGradInputIffLb1EEEvPKT_S5_llPKT0_S8_S5_PS3_.num_named_barrier, 0
	.set _ZN2at6native12_GLOBAL__N_118cuComputeGradInputIffLb1EEEvPKT_S5_llPKT0_S8_S5_PS3_.private_seg_size, 0
	.set _ZN2at6native12_GLOBAL__N_118cuComputeGradInputIffLb1EEEvPKT_S5_llPKT0_S8_S5_PS3_.uses_vcc, 1
	.set _ZN2at6native12_GLOBAL__N_118cuComputeGradInputIffLb1EEEvPKT_S5_llPKT0_S8_S5_PS3_.uses_flat_scratch, 0
	.set _ZN2at6native12_GLOBAL__N_118cuComputeGradInputIffLb1EEEvPKT_S5_llPKT0_S8_S5_PS3_.has_dyn_sized_stack, 0
	.set _ZN2at6native12_GLOBAL__N_118cuComputeGradInputIffLb1EEEvPKT_S5_llPKT0_S8_S5_PS3_.has_recursion, 0
	.set _ZN2at6native12_GLOBAL__N_118cuComputeGradInputIffLb1EEEvPKT_S5_llPKT0_S8_S5_PS3_.has_indirect_call, 0
	.section	.AMDGPU.csdata,"",@progbits
; Kernel info:
; codeLenInByte = 1420
; TotalNumSgprs: 54
; NumVgprs: 28
; NumAgprs: 0
; TotalNumVgprs: 28
; ScratchSize: 0
; MemoryBound: 0
; FloatMode: 240
; IeeeMode: 1
; LDSByteSize: 0 bytes/workgroup (compile time only)
; SGPRBlocks: 6
; VGPRBlocks: 3
; NumSGPRsForWavesPerEU: 54
; NumVGPRsForWavesPerEU: 28
; AccumOffset: 28
; Occupancy: 8
; WaveLimiterHint : 0
; COMPUTE_PGM_RSRC2:SCRATCH_EN: 0
; COMPUTE_PGM_RSRC2:USER_SGPR: 2
; COMPUTE_PGM_RSRC2:TRAP_HANDLER: 0
; COMPUTE_PGM_RSRC2:TGID_X_EN: 1
; COMPUTE_PGM_RSRC2:TGID_Y_EN: 1
; COMPUTE_PGM_RSRC2:TGID_Z_EN: 0
; COMPUTE_PGM_RSRC2:TIDIG_COMP_CNT: 1
; COMPUTE_PGM_RSRC3_GFX90A:ACCUM_OFFSET: 6
; COMPUTE_PGM_RSRC3_GFX90A:TG_SPLIT: 0
	.section	.text._ZN2at6native12_GLOBAL__N_128layer_norm_grad_input_kernelIffLb1EEEvPKT_S5_PKT0_S8_S5_PS3_i,"axG",@progbits,_ZN2at6native12_GLOBAL__N_128layer_norm_grad_input_kernelIffLb1EEEvPKT_S5_PKT0_S8_S5_PS3_i,comdat
	.globl	_ZN2at6native12_GLOBAL__N_128layer_norm_grad_input_kernelIffLb1EEEvPKT_S5_PKT0_S8_S5_PS3_i ; -- Begin function _ZN2at6native12_GLOBAL__N_128layer_norm_grad_input_kernelIffLb1EEEvPKT_S5_PKT0_S8_S5_PS3_i
	.p2align	8
	.type	_ZN2at6native12_GLOBAL__N_128layer_norm_grad_input_kernelIffLb1EEEvPKT_S5_PKT0_S8_S5_PS3_i,@function
_ZN2at6native12_GLOBAL__N_128layer_norm_grad_input_kernelIffLb1EEEvPKT_S5_PKT0_S8_S5_PS3_i: ; @_ZN2at6native12_GLOBAL__N_128layer_norm_grad_input_kernelIffLb1EEEvPKT_S5_PKT0_S8_S5_PS3_i
; %bb.0:
	s_load_dword s24, s[0:1], 0x30
	s_load_dwordx4 s[8:11], s[0:1], 0x0
	s_load_dwordx4 s[4:7], s[0:1], 0x18
	s_mov_b32 s3, 0
	v_lshlrev_b32_e32 v2, 2, v0
	s_waitcnt lgkmcnt(0)
	s_ashr_i32 s12, s24, 31
	s_mul_hi_u32 s13, s24, s2
	s_mul_i32 s12, s12, s2
	s_add_i32 s17, s13, s12
	s_mul_i32 s16, s24, s2
	s_lshl_b64 s[2:3], s[2:3], 2
	s_add_u32 s2, s4, s2
	s_addc_u32 s3, s5, s3
	s_load_dword s25, s[2:3], 0x0
	s_lshl_b64 s[14:15], s[16:17], 2
	s_add_u32 s4, s10, s14
	s_addc_u32 s5, s11, s15
	s_add_u32 s12, s8, s14
	v_or_b32_e32 v1, 3, v2
	s_addc_u32 s13, s9, s15
	v_cmp_gt_u32_e32 vcc, s24, v1
	v_mov_b32_e32 v1, 0
	s_and_saveexec_b64 s[18:19], vcc
	s_cbranch_execz .LBB140_12
; %bb.1:
	s_load_dword s2, s[0:1], 0x44
	s_cmp_lg_u64 s[6:7], 0
	s_cselect_b64 s[22:23], -1, 0
	v_cndmask_b32_e64 v1, 0, 1, s[22:23]
	s_mov_b64 s[20:21], 0
	s_waitcnt lgkmcnt(0)
	s_and_b32 s2, s2, 0xffff
	v_mov_b32_e32 v3, 0
	s_lshl_b32 s26, s2, 2
	v_cmp_ne_u32_e64 s[2:3], 1, v1
	v_mov_b32_e32 v1, 0
	s_branch .LBB140_3
.LBB140_2:                              ;   in Loop: Header=BB140_3 Depth=1
	global_load_dword v8, v[6:7], off offset:12
	global_load_dword v9, v[4:5], off offset:12
	s_waitcnt vmcnt(6)
	v_mul_f32_e32 v4, v11, v14
	s_waitcnt vmcnt(4)
	v_mul_f32_e32 v5, v10, v16
	v_mul_f32_e32 v4, v12, v4
	s_waitcnt vmcnt(2)
	v_mul_f32_e32 v6, v18, v19
	v_add_u32_e32 v2, s26, v2
	v_mul_f32_e32 v5, v15, v5
	v_fmac_f32_e32 v1, s25, v4
	v_mul_f32_e32 v6, v17, v6
	v_add_u32_e32 v7, 3, v2
	v_fmac_f32_e32 v1, s25, v5
	v_cmp_le_u32_e32 vcc, s24, v7
	v_fmac_f32_e32 v1, s25, v6
	s_or_b64 s[20:21], vcc, s[20:21]
	s_waitcnt vmcnt(1)
	v_mul_f32_e32 v4, v13, v8
	s_waitcnt vmcnt(0)
	v_mul_f32_e32 v4, v9, v4
	v_fmac_f32_e32 v1, s25, v4
	s_andn2_b64 exec, exec, s[20:21]
	s_cbranch_execz .LBB140_11
.LBB140_3:                              ; =>This Inner Loop Header: Depth=1
	v_mov_b32_e32 v10, 1.0
	s_and_b64 vcc, exec, s[22:23]
	v_lshl_add_u64 v[8:9], v[2:3], 2, s[6:7]
	v_mov_b32_e32 v11, 1.0
	s_cbranch_vccz .LBB140_5
; %bb.4:                                ;   in Loop: Header=BB140_3 Depth=1
	global_load_dword v11, v[8:9], off
.LBB140_5:                              ;   in Loop: Header=BB140_3 Depth=1
	v_lshlrev_b64 v[6:7], 2, v[2:3]
	v_lshl_add_u64 v[4:5], s[4:5], 0, v[6:7]
	v_lshl_add_u64 v[6:7], s[12:13], 0, v[6:7]
	global_load_dword v12, v[4:5], off
	global_load_dword v14, v[6:7], off
	s_and_b64 vcc, exec, s[2:3]
	s_cbranch_vccnz .LBB140_7
; %bb.6:                                ;   in Loop: Header=BB140_3 Depth=1
	global_load_dword v10, v[8:9], off offset:4
.LBB140_7:                              ;   in Loop: Header=BB140_3 Depth=1
	global_load_dword v15, v[4:5], off offset:4
	global_load_dword v16, v[6:7], off offset:4
	v_mov_b32_e32 v13, 1.0
	s_and_b64 vcc, exec, s[2:3]
	v_mov_b32_e32 v18, 1.0
	s_cbranch_vccnz .LBB140_9
; %bb.8:                                ;   in Loop: Header=BB140_3 Depth=1
	global_load_dword v18, v[8:9], off offset:8
.LBB140_9:                              ;   in Loop: Header=BB140_3 Depth=1
	global_load_dword v17, v[4:5], off offset:8
	global_load_dword v19, v[6:7], off offset:8
	s_and_b64 vcc, exec, s[2:3]
	s_cbranch_vccnz .LBB140_2
; %bb.10:                               ;   in Loop: Header=BB140_3 Depth=1
	global_load_dword v13, v[8:9], off offset:12
	s_branch .LBB140_2
.LBB140_11:
	s_or_b64 exec, exec, s[20:21]
.LBB140_12:
	s_or_b64 exec, exec, s[18:19]
	v_cmp_gt_u32_e32 vcc, s24, v2
	s_and_saveexec_b64 s[18:19], vcc
	s_cbranch_execz .LBB140_19
; %bb.13:
	s_cmp_lg_u64 s[6:7], 0
	v_mov_b32_e32 v3, 0
	v_lshlrev_b64 v[6:7], 2, v[2:3]
	s_cselect_b64 s[2:3], -1, 0
	v_lshl_add_u64 v[8:9], s[16:17], 2, v[6:7]
	v_cndmask_b32_e64 v3, 0, 1, s[2:3]
	s_mov_b64 s[20:21], 0
	v_lshl_add_u64 v[4:5], s[6:7], 0, v[6:7]
	v_lshl_add_u64 v[6:7], s[10:11], 0, v[8:9]
	;; [unrolled: 1-line block ×3, first 2 shown]
	v_cmp_ne_u32_e64 s[2:3], 1, v3
	s_branch .LBB140_16
.LBB140_14:                             ;   in Loop: Header=BB140_16 Depth=1
	global_load_dword v3, v[4:5], off
.LBB140_15:                             ;   in Loop: Header=BB140_16 Depth=1
	global_load_dword v10, v[8:9], off
	global_load_dword v11, v[6:7], off
	v_add_u32_e32 v2, 1, v2
	v_cmp_le_u32_e32 vcc, s24, v2
	v_lshl_add_u64 v[4:5], v[4:5], 0, 4
	v_lshl_add_u64 v[6:7], v[6:7], 0, 4
	s_or_b64 s[20:21], vcc, s[20:21]
	v_lshl_add_u64 v[8:9], v[8:9], 0, 4
	s_waitcnt vmcnt(1)
	v_mul_f32_e32 v3, v3, v10
	s_waitcnt vmcnt(0)
	v_mul_f32_e32 v3, v11, v3
	s_waitcnt lgkmcnt(0)
	v_fmac_f32_e32 v1, s25, v3
	s_andn2_b64 exec, exec, s[20:21]
	s_cbranch_execz .LBB140_18
.LBB140_16:                             ; =>This Inner Loop Header: Depth=1
	s_and_b64 vcc, exec, s[2:3]
	s_cbranch_vccz .LBB140_14
; %bb.17:                               ;   in Loop: Header=BB140_16 Depth=1
	v_mov_b32_e32 v3, 1.0
	s_branch .LBB140_15
.LBB140_18:
	s_or_b64 exec, exec, s[20:21]
.LBB140_19:
	s_or_b64 exec, exec, s[18:19]
	v_mbcnt_lo_u32_b32 v2, -1, 0
	v_mbcnt_hi_u32_b32 v6, -1, v2
	v_mov_b32_e32 v2, 0x80
	v_lshl_or_b32 v2, v6, 2, v2
	ds_bpermute_b32 v3, v2, v1
	v_and_b32_e32 v8, 63, v6
	v_cmp_gt_u32_e32 vcc, 48, v8
	s_waitcnt lgkmcnt(0)
	s_barrier
	v_cndmask_b32_e64 v4, 0, 16, vcc
	v_add_f32_e32 v5, v1, v3
	v_add_lshl_u32 v1, v4, v6, 2
	ds_bpermute_b32 v4, v1, v5
	v_cmp_gt_u32_e32 vcc, 56, v8
	s_waitcnt lgkmcnt(0)
	v_add_f32_e32 v5, v5, v4
	v_cndmask_b32_e64 v3, 0, 8, vcc
	v_add_lshl_u32 v3, v3, v6, 2
	ds_bpermute_b32 v7, v3, v5
	v_cmp_gt_u32_e32 vcc, 60, v8
	s_waitcnt lgkmcnt(0)
	v_add_f32_e32 v7, v5, v7
	v_cndmask_b32_e64 v4, 0, 4, vcc
	;; [unrolled: 6-line block ×3, first 2 shown]
	v_add_lshl_u32 v5, v5, v6, 2
	ds_bpermute_b32 v10, v5, v9
	v_cmp_ne_u32_e32 vcc, 63, v8
	v_and_b32_e32 v7, 63, v0
	s_waitcnt lgkmcnt(0)
	v_add_f32_e32 v8, v9, v10
	v_addc_co_u32_e32 v6, vcc, 0, v6, vcc
	v_lshlrev_b32_e32 v6, 2, v6
	ds_bpermute_b32 v9, v6, v8
	v_cmp_eq_u32_e32 vcc, 0, v7
	s_and_saveexec_b64 s[2:3], vcc
	s_cbranch_execz .LBB140_21
; %bb.20:
	v_lshrrev_b32_e32 v10, 4, v0
	v_add_u32_e32 v10, 0, v10
	s_waitcnt lgkmcnt(0)
	v_add_f32_e32 v8, v8, v9
	ds_write_b32 v10, v8
.LBB140_21:
	s_or_b64 exec, exec, s[2:3]
	s_waitcnt lgkmcnt(0)
	s_barrier
	s_load_dword s8, s[0:1], 0x44
	v_mov_b32_e32 v8, 0
	s_waitcnt lgkmcnt(0)
	s_bfe_u32 s2, s8, 0xa0006
	v_cmp_gt_u32_e32 vcc, s2, v0
	s_and_saveexec_b64 s[2:3], vcc
	s_cbranch_execnz .LBB140_32
; %bb.22:
	s_or_b64 exec, exec, s[2:3]
	v_cmp_gt_u32_e32 vcc, 64, v0
	s_and_saveexec_b64 s[2:3], vcc
	s_cbranch_execnz .LBB140_33
.LBB140_23:
	s_or_b64 exec, exec, s[2:3]
	v_cmp_eq_u32_e32 vcc, 0, v0
	s_and_saveexec_b64 s[2:3], vcc
	s_cbranch_execz .LBB140_25
.LBB140_24:
	v_mov_b32_e32 v1, 0
	s_waitcnt lgkmcnt(0)
	ds_write_b32 v1, v8 offset:4
.LBB140_25:
	s_or_b64 exec, exec, s[2:3]
	v_cmp_gt_i32_e32 vcc, s24, v0
	s_waitcnt lgkmcnt(0)
	s_barrier
	s_and_saveexec_b64 s[2:3], vcc
	s_cbranch_execz .LBB140_31
; %bb.26:
	v_cvt_f32_i32_e32 v2, s24
	s_load_dwordx2 s[0:1], s[0:1], 0x28
	s_and_b32 s10, 0xffff, s8
	s_mov_b64 s[8:9], 0
	v_div_scale_f32 v1, s[2:3], v2, v2, 1.0
	v_rcp_f32_e32 v3, v1
	v_div_scale_f32 v4, vcc, 1.0, v2, 1.0
	s_waitcnt lgkmcnt(0)
	s_add_u32 s2, s0, s14
	v_fma_f32 v5, -v1, v3, 1.0
	v_fmac_f32_e32 v3, v5, v3
	v_mul_f32_e32 v5, v4, v3
	v_fma_f32 v6, -v1, v5, v4
	v_fmac_f32_e32 v5, v6, v3
	v_fma_f32 v1, -v1, v5, v4
	v_div_fmas_f32 v1, v1, v3, v5
	v_div_fixup_f32 v1, v1, v2, 1.0
	v_mul_f32_e32 v8, s25, v1
	v_mov_b32_e32 v1, 0
	s_addc_u32 s3, s1, s15
	ds_read_b32 v5, v1 offset:4
	s_cmp_lg_u64 s[6:7], 0
	s_cselect_b64 s[0:1], -1, 0
	v_cndmask_b32_e64 v1, 0, 1, s[0:1]
	v_cmp_ne_u32_e64 s[0:1], 1, v1
	s_branch .LBB140_29
.LBB140_27:                             ;   in Loop: Header=BB140_29 Depth=1
	v_lshl_add_u64 v[6:7], v[0:1], 2, s[6:7]
	global_load_dword v6, v[6:7], off
.LBB140_28:                             ;   in Loop: Header=BB140_29 Depth=1
	v_mov_b32_e32 v7, s25
	s_waitcnt vmcnt(0)
	v_pk_mul_f32 v[6:7], v[6:7], v[2:3]
	s_waitcnt lgkmcnt(0)
	v_pk_mul_f32 v[6:7], v[4:5], v[6:7]
	s_nop 0
	v_sub_f32_e32 v3, v6, v7
	v_lshl_add_u64 v[6:7], v[0:1], 2, s[2:3]
	v_add_u32_e32 v0, s10, v0
	v_cmp_le_i32_e32 vcc, s24, v0
	v_mul_f32_e32 v3, v8, v3
	s_or_b64 s[8:9], vcc, s[8:9]
	global_store_dword v[6:7], v3, off
	s_andn2_b64 exec, exec, s[8:9]
	s_cbranch_execz .LBB140_31
.LBB140_29:                             ; =>This Inner Loop Header: Depth=1
	v_ashrrev_i32_e32 v1, 31, v0
	v_lshlrev_b64 v[6:7], 2, v[0:1]
	v_lshl_add_u64 v[10:11], s[4:5], 0, v[6:7]
	v_lshl_add_u64 v[6:7], s[12:13], 0, v[6:7]
	global_load_dword v3, v[10:11], off
	global_load_dword v4, v[6:7], off
	s_and_b64 vcc, exec, s[0:1]
	s_cbranch_vccz .LBB140_27
; %bb.30:                               ;   in Loop: Header=BB140_29 Depth=1
	v_mov_b32_e32 v6, 1.0
	s_branch .LBB140_28
.LBB140_31:
	s_endpgm
.LBB140_32:
	v_lshl_add_u32 v7, v7, 2, 0
	ds_read_b32 v8, v7
	s_or_b64 exec, exec, s[2:3]
	v_cmp_gt_u32_e32 vcc, 64, v0
	s_and_saveexec_b64 s[2:3], vcc
	s_cbranch_execz .LBB140_23
.LBB140_33:
	s_waitcnt lgkmcnt(0)
	ds_bpermute_b32 v2, v2, v8
	s_waitcnt lgkmcnt(0)
	v_add_f32_e32 v2, v8, v2
	ds_bpermute_b32 v1, v1, v2
	s_waitcnt lgkmcnt(0)
	v_add_f32_e32 v1, v2, v1
	;; [unrolled: 3-line block ×6, first 2 shown]
	s_or_b64 exec, exec, s[2:3]
	v_cmp_eq_u32_e32 vcc, 0, v0
	s_and_saveexec_b64 s[2:3], vcc
	s_cbranch_execnz .LBB140_24
	s_branch .LBB140_25
	.section	.rodata,"a",@progbits
	.p2align	6, 0x0
	.amdhsa_kernel _ZN2at6native12_GLOBAL__N_128layer_norm_grad_input_kernelIffLb1EEEvPKT_S5_PKT0_S8_S5_PS3_i
		.amdhsa_group_segment_fixed_size 0
		.amdhsa_private_segment_fixed_size 0
		.amdhsa_kernarg_size 312
		.amdhsa_user_sgpr_count 2
		.amdhsa_user_sgpr_dispatch_ptr 0
		.amdhsa_user_sgpr_queue_ptr 0
		.amdhsa_user_sgpr_kernarg_segment_ptr 1
		.amdhsa_user_sgpr_dispatch_id 0
		.amdhsa_user_sgpr_kernarg_preload_length 0
		.amdhsa_user_sgpr_kernarg_preload_offset 0
		.amdhsa_user_sgpr_private_segment_size 0
		.amdhsa_uses_dynamic_stack 0
		.amdhsa_enable_private_segment 0
		.amdhsa_system_sgpr_workgroup_id_x 1
		.amdhsa_system_sgpr_workgroup_id_y 0
		.amdhsa_system_sgpr_workgroup_id_z 0
		.amdhsa_system_sgpr_workgroup_info 0
		.amdhsa_system_vgpr_workitem_id 0
		.amdhsa_next_free_vgpr 20
		.amdhsa_next_free_sgpr 27
		.amdhsa_accum_offset 20
		.amdhsa_reserve_vcc 1
		.amdhsa_float_round_mode_32 0
		.amdhsa_float_round_mode_16_64 0
		.amdhsa_float_denorm_mode_32 3
		.amdhsa_float_denorm_mode_16_64 3
		.amdhsa_dx10_clamp 1
		.amdhsa_ieee_mode 1
		.amdhsa_fp16_overflow 0
		.amdhsa_tg_split 0
		.amdhsa_exception_fp_ieee_invalid_op 0
		.amdhsa_exception_fp_denorm_src 0
		.amdhsa_exception_fp_ieee_div_zero 0
		.amdhsa_exception_fp_ieee_overflow 0
		.amdhsa_exception_fp_ieee_underflow 0
		.amdhsa_exception_fp_ieee_inexact 0
		.amdhsa_exception_int_div_zero 0
	.end_amdhsa_kernel
	.section	.text._ZN2at6native12_GLOBAL__N_128layer_norm_grad_input_kernelIffLb1EEEvPKT_S5_PKT0_S8_S5_PS3_i,"axG",@progbits,_ZN2at6native12_GLOBAL__N_128layer_norm_grad_input_kernelIffLb1EEEvPKT_S5_PKT0_S8_S5_PS3_i,comdat
.Lfunc_end140:
	.size	_ZN2at6native12_GLOBAL__N_128layer_norm_grad_input_kernelIffLb1EEEvPKT_S5_PKT0_S8_S5_PS3_i, .Lfunc_end140-_ZN2at6native12_GLOBAL__N_128layer_norm_grad_input_kernelIffLb1EEEvPKT_S5_PKT0_S8_S5_PS3_i
                                        ; -- End function
	.set _ZN2at6native12_GLOBAL__N_128layer_norm_grad_input_kernelIffLb1EEEvPKT_S5_PKT0_S8_S5_PS3_i.num_vgpr, 20
	.set _ZN2at6native12_GLOBAL__N_128layer_norm_grad_input_kernelIffLb1EEEvPKT_S5_PKT0_S8_S5_PS3_i.num_agpr, 0
	.set _ZN2at6native12_GLOBAL__N_128layer_norm_grad_input_kernelIffLb1EEEvPKT_S5_PKT0_S8_S5_PS3_i.numbered_sgpr, 27
	.set _ZN2at6native12_GLOBAL__N_128layer_norm_grad_input_kernelIffLb1EEEvPKT_S5_PKT0_S8_S5_PS3_i.num_named_barrier, 0
	.set _ZN2at6native12_GLOBAL__N_128layer_norm_grad_input_kernelIffLb1EEEvPKT_S5_PKT0_S8_S5_PS3_i.private_seg_size, 0
	.set _ZN2at6native12_GLOBAL__N_128layer_norm_grad_input_kernelIffLb1EEEvPKT_S5_PKT0_S8_S5_PS3_i.uses_vcc, 1
	.set _ZN2at6native12_GLOBAL__N_128layer_norm_grad_input_kernelIffLb1EEEvPKT_S5_PKT0_S8_S5_PS3_i.uses_flat_scratch, 0
	.set _ZN2at6native12_GLOBAL__N_128layer_norm_grad_input_kernelIffLb1EEEvPKT_S5_PKT0_S8_S5_PS3_i.has_dyn_sized_stack, 0
	.set _ZN2at6native12_GLOBAL__N_128layer_norm_grad_input_kernelIffLb1EEEvPKT_S5_PKT0_S8_S5_PS3_i.has_recursion, 0
	.set _ZN2at6native12_GLOBAL__N_128layer_norm_grad_input_kernelIffLb1EEEvPKT_S5_PKT0_S8_S5_PS3_i.has_indirect_call, 0
	.section	.AMDGPU.csdata,"",@progbits
; Kernel info:
; codeLenInByte = 1504
; TotalNumSgprs: 33
; NumVgprs: 20
; NumAgprs: 0
; TotalNumVgprs: 20
; ScratchSize: 0
; MemoryBound: 0
; FloatMode: 240
; IeeeMode: 1
; LDSByteSize: 0 bytes/workgroup (compile time only)
; SGPRBlocks: 4
; VGPRBlocks: 2
; NumSGPRsForWavesPerEU: 33
; NumVGPRsForWavesPerEU: 20
; AccumOffset: 20
; Occupancy: 8
; WaveLimiterHint : 0
; COMPUTE_PGM_RSRC2:SCRATCH_EN: 0
; COMPUTE_PGM_RSRC2:USER_SGPR: 2
; COMPUTE_PGM_RSRC2:TRAP_HANDLER: 0
; COMPUTE_PGM_RSRC2:TGID_X_EN: 1
; COMPUTE_PGM_RSRC2:TGID_Y_EN: 0
; COMPUTE_PGM_RSRC2:TGID_Z_EN: 0
; COMPUTE_PGM_RSRC2:TIDIG_COMP_CNT: 0
; COMPUTE_PGM_RSRC3_GFX90A:ACCUM_OFFSET: 4
; COMPUTE_PGM_RSRC3_GFX90A:TG_SPLIT: 0
	.section	.text._ZN2at6native12_GLOBAL__N_133GammaBetaBackwardSimpleCUDAKernelIffLb1EEEvllPKT_S5_PKT0_S8_PS3_S9_,"axG",@progbits,_ZN2at6native12_GLOBAL__N_133GammaBetaBackwardSimpleCUDAKernelIffLb1EEEvllPKT_S5_PKT0_S8_PS3_S9_,comdat
	.globl	_ZN2at6native12_GLOBAL__N_133GammaBetaBackwardSimpleCUDAKernelIffLb1EEEvllPKT_S5_PKT0_S8_PS3_S9_ ; -- Begin function _ZN2at6native12_GLOBAL__N_133GammaBetaBackwardSimpleCUDAKernelIffLb1EEEvllPKT_S5_PKT0_S8_PS3_S9_
	.p2align	8
	.type	_ZN2at6native12_GLOBAL__N_133GammaBetaBackwardSimpleCUDAKernelIffLb1EEEvllPKT_S5_PKT0_S8_PS3_S9_,@function
_ZN2at6native12_GLOBAL__N_133GammaBetaBackwardSimpleCUDAKernelIffLb1EEEvllPKT_S5_PKT0_S8_PS3_S9_: ; @_ZN2at6native12_GLOBAL__N_133GammaBetaBackwardSimpleCUDAKernelIffLb1EEEvllPKT_S5_PKT0_S8_PS3_S9_
; %bb.0:
	s_load_dword s3, s[0:1], 0x4c
	s_load_dwordx8 s[4:11], s[0:1], 0x0
	v_mov_b32_e32 v1, 0
	v_mov_b32_e32 v2, s2
	s_waitcnt lgkmcnt(0)
	s_and_b32 s3, s3, 0xffff
	v_mad_u64_u32 v[2:3], s[2:3], s3, v2, v[0:1]
	v_cmp_gt_i64_e32 vcc, s[6:7], v[2:3]
	s_and_saveexec_b64 s[2:3], vcc
	s_cbranch_execz .LBB141_8
; %bb.1:
	s_load_dwordx4 s[12:15], s[0:1], 0x28
	v_cmp_lt_i64_e64 s[0:1], s[4:5], 1
	s_and_b64 vcc, exec, s[0:1]
	s_cbranch_vccnz .LBB141_6
; %bb.2:
	s_waitcnt lgkmcnt(0)
	s_cmp_lg_u64 s[14:15], 0
	s_cselect_b64 s[0:1], -1, 0
	v_cndmask_b32_e64 v0, 0, 1, s[0:1]
	v_lshlrev_b64 v[4:5], 2, v[2:3]
	s_lshl_b64 s[2:3], s[6:7], 2
	v_mov_b32_e32 v1, 0
	v_cmp_ne_u32_e64 s[0:1], 1, v0
	s_branch .LBB141_4
.LBB141_3:                              ;   in Loop: Header=BB141_4 Depth=1
	s_add_u32 s4, s4, -1
	s_addc_u32 s5, s5, -1
	s_add_u32 s12, s12, 4
	s_addc_u32 s13, s13, 0
	v_add_f32_e32 v1, v1, v0
	s_cmp_eq_u64 s[4:5], 0
	v_lshl_add_u64 v[4:5], v[4:5], 0, s[2:3]
	s_cbranch_scc1 .LBB141_6
.LBB141_4:                              ; =>This Inner Loop Header: Depth=1
	s_and_b64 vcc, exec, s[0:1]
	v_mov_b32_e32 v0, 0
	s_cbranch_vccnz .LBB141_3
; %bb.5:                                ;   in Loop: Header=BB141_4 Depth=1
	v_lshl_add_u64 v[6:7], s[8:9], 0, v[4:5]
	global_load_dword v0, v[6:7], off
	v_lshl_add_u64 v[6:7], s[10:11], 0, v[4:5]
	global_load_dword v6, v[6:7], off
	s_load_dword s6, s[12:13], 0x0
	s_waitcnt vmcnt(0)
	v_mul_f32_e32 v0, v0, v6
	s_waitcnt lgkmcnt(0)
	v_mul_f32_e32 v0, s6, v0
	s_branch .LBB141_3
.LBB141_6:
	s_waitcnt lgkmcnt(0)
	s_cmp_lg_u64 s[14:15], 0
	s_cbranch_scc0 .LBB141_8
; %bb.7:
	v_lshl_add_u64 v[2:3], v[2:3], 2, s[14:15]
	global_store_dword v[2:3], v1, off
.LBB141_8:
	s_endpgm
	.section	.rodata,"a",@progbits
	.p2align	6, 0x0
	.amdhsa_kernel _ZN2at6native12_GLOBAL__N_133GammaBetaBackwardSimpleCUDAKernelIffLb1EEEvllPKT_S5_PKT0_S8_PS3_S9_
		.amdhsa_group_segment_fixed_size 0
		.amdhsa_private_segment_fixed_size 0
		.amdhsa_kernarg_size 320
		.amdhsa_user_sgpr_count 2
		.amdhsa_user_sgpr_dispatch_ptr 0
		.amdhsa_user_sgpr_queue_ptr 0
		.amdhsa_user_sgpr_kernarg_segment_ptr 1
		.amdhsa_user_sgpr_dispatch_id 0
		.amdhsa_user_sgpr_kernarg_preload_length 0
		.amdhsa_user_sgpr_kernarg_preload_offset 0
		.amdhsa_user_sgpr_private_segment_size 0
		.amdhsa_uses_dynamic_stack 0
		.amdhsa_enable_private_segment 0
		.amdhsa_system_sgpr_workgroup_id_x 1
		.amdhsa_system_sgpr_workgroup_id_y 0
		.amdhsa_system_sgpr_workgroup_id_z 0
		.amdhsa_system_sgpr_workgroup_info 0
		.amdhsa_system_vgpr_workitem_id 0
		.amdhsa_next_free_vgpr 8
		.amdhsa_next_free_sgpr 16
		.amdhsa_accum_offset 8
		.amdhsa_reserve_vcc 1
		.amdhsa_float_round_mode_32 0
		.amdhsa_float_round_mode_16_64 0
		.amdhsa_float_denorm_mode_32 3
		.amdhsa_float_denorm_mode_16_64 3
		.amdhsa_dx10_clamp 1
		.amdhsa_ieee_mode 1
		.amdhsa_fp16_overflow 0
		.amdhsa_tg_split 0
		.amdhsa_exception_fp_ieee_invalid_op 0
		.amdhsa_exception_fp_denorm_src 0
		.amdhsa_exception_fp_ieee_div_zero 0
		.amdhsa_exception_fp_ieee_overflow 0
		.amdhsa_exception_fp_ieee_underflow 0
		.amdhsa_exception_fp_ieee_inexact 0
		.amdhsa_exception_int_div_zero 0
	.end_amdhsa_kernel
	.section	.text._ZN2at6native12_GLOBAL__N_133GammaBetaBackwardSimpleCUDAKernelIffLb1EEEvllPKT_S5_PKT0_S8_PS3_S9_,"axG",@progbits,_ZN2at6native12_GLOBAL__N_133GammaBetaBackwardSimpleCUDAKernelIffLb1EEEvllPKT_S5_PKT0_S8_PS3_S9_,comdat
.Lfunc_end141:
	.size	_ZN2at6native12_GLOBAL__N_133GammaBetaBackwardSimpleCUDAKernelIffLb1EEEvllPKT_S5_PKT0_S8_PS3_S9_, .Lfunc_end141-_ZN2at6native12_GLOBAL__N_133GammaBetaBackwardSimpleCUDAKernelIffLb1EEEvllPKT_S5_PKT0_S8_PS3_S9_
                                        ; -- End function
	.set _ZN2at6native12_GLOBAL__N_133GammaBetaBackwardSimpleCUDAKernelIffLb1EEEvllPKT_S5_PKT0_S8_PS3_S9_.num_vgpr, 8
	.set _ZN2at6native12_GLOBAL__N_133GammaBetaBackwardSimpleCUDAKernelIffLb1EEEvllPKT_S5_PKT0_S8_PS3_S9_.num_agpr, 0
	.set _ZN2at6native12_GLOBAL__N_133GammaBetaBackwardSimpleCUDAKernelIffLb1EEEvllPKT_S5_PKT0_S8_PS3_S9_.numbered_sgpr, 16
	.set _ZN2at6native12_GLOBAL__N_133GammaBetaBackwardSimpleCUDAKernelIffLb1EEEvllPKT_S5_PKT0_S8_PS3_S9_.num_named_barrier, 0
	.set _ZN2at6native12_GLOBAL__N_133GammaBetaBackwardSimpleCUDAKernelIffLb1EEEvllPKT_S5_PKT0_S8_PS3_S9_.private_seg_size, 0
	.set _ZN2at6native12_GLOBAL__N_133GammaBetaBackwardSimpleCUDAKernelIffLb1EEEvllPKT_S5_PKT0_S8_PS3_S9_.uses_vcc, 1
	.set _ZN2at6native12_GLOBAL__N_133GammaBetaBackwardSimpleCUDAKernelIffLb1EEEvllPKT_S5_PKT0_S8_PS3_S9_.uses_flat_scratch, 0
	.set _ZN2at6native12_GLOBAL__N_133GammaBetaBackwardSimpleCUDAKernelIffLb1EEEvllPKT_S5_PKT0_S8_PS3_S9_.has_dyn_sized_stack, 0
	.set _ZN2at6native12_GLOBAL__N_133GammaBetaBackwardSimpleCUDAKernelIffLb1EEEvllPKT_S5_PKT0_S8_PS3_S9_.has_recursion, 0
	.set _ZN2at6native12_GLOBAL__N_133GammaBetaBackwardSimpleCUDAKernelIffLb1EEEvllPKT_S5_PKT0_S8_PS3_S9_.has_indirect_call, 0
	.section	.AMDGPU.csdata,"",@progbits
; Kernel info:
; codeLenInByte = 268
; TotalNumSgprs: 22
; NumVgprs: 8
; NumAgprs: 0
; TotalNumVgprs: 8
; ScratchSize: 0
; MemoryBound: 0
; FloatMode: 240
; IeeeMode: 1
; LDSByteSize: 0 bytes/workgroup (compile time only)
; SGPRBlocks: 2
; VGPRBlocks: 0
; NumSGPRsForWavesPerEU: 22
; NumVGPRsForWavesPerEU: 8
; AccumOffset: 8
; Occupancy: 8
; WaveLimiterHint : 0
; COMPUTE_PGM_RSRC2:SCRATCH_EN: 0
; COMPUTE_PGM_RSRC2:USER_SGPR: 2
; COMPUTE_PGM_RSRC2:TRAP_HANDLER: 0
; COMPUTE_PGM_RSRC2:TGID_X_EN: 1
; COMPUTE_PGM_RSRC2:TGID_Y_EN: 0
; COMPUTE_PGM_RSRC2:TGID_Z_EN: 0
; COMPUTE_PGM_RSRC2:TIDIG_COMP_CNT: 0
; COMPUTE_PGM_RSRC3_GFX90A:ACCUM_OFFSET: 1
; COMPUTE_PGM_RSRC3_GFX90A:TG_SPLIT: 0
	.section	.text._ZN2at6native12_GLOBAL__N_135GammaBetaBackwardCUDAKernelTemplateIffLj64ELj1ELj32ELb1ELb1ELb1EEEvllPKT_S5_PKT0_S8_PS3_S9_,"axG",@progbits,_ZN2at6native12_GLOBAL__N_135GammaBetaBackwardCUDAKernelTemplateIffLj64ELj1ELj32ELb1ELb1ELb1EEEvllPKT_S5_PKT0_S8_PS3_S9_,comdat
	.globl	_ZN2at6native12_GLOBAL__N_135GammaBetaBackwardCUDAKernelTemplateIffLj64ELj1ELj32ELb1ELb1ELb1EEEvllPKT_S5_PKT0_S8_PS3_S9_ ; -- Begin function _ZN2at6native12_GLOBAL__N_135GammaBetaBackwardCUDAKernelTemplateIffLj64ELj1ELj32ELb1ELb1ELb1EEEvllPKT_S5_PKT0_S8_PS3_S9_
	.p2align	8
	.type	_ZN2at6native12_GLOBAL__N_135GammaBetaBackwardCUDAKernelTemplateIffLj64ELj1ELj32ELb1ELb1ELb1EEEvllPKT_S5_PKT0_S8_PS3_S9_,@function
_ZN2at6native12_GLOBAL__N_135GammaBetaBackwardCUDAKernelTemplateIffLj64ELj1ELj32ELb1ELb1ELb1EEEvllPKT_S5_PKT0_S8_PS3_S9_: ; @_ZN2at6native12_GLOBAL__N_135GammaBetaBackwardCUDAKernelTemplateIffLj64ELj1ELj32ELb1ELb1ELb1EEEvllPKT_S5_PKT0_S8_PS3_S9_
; %bb.0:
	s_load_dwordx4 s[8:11], s[0:1], 0x0
	s_load_dwordx2 s[16:17], s[0:1], 0x30
	s_lshl_b32 s18, s3, 5
	s_mov_b32 s19, 0
	v_mov_b64_e32 v[2:3], s[18:19]
	s_waitcnt lgkmcnt(0)
	v_cmp_le_i64_e32 vcc, s[8:9], v[2:3]
	s_mov_b32 s6, s3
	v_mov_b32_e32 v11, 0
	v_bfe_u32 v2, v0, 10, 10
	s_cbranch_vccnz .LBB142_7
; %bb.1:
	s_load_dword s3, s[0:1], 0x4c
	s_load_dword s7, s[0:1], 0x44
	s_load_dwordx4 s[12:15], s[0:1], 0x10
	s_load_dwordx2 s[22:23], s[0:1], 0x28
	v_and_b32_e32 v1, 0x3ff, v0
	s_waitcnt lgkmcnt(0)
	s_and_b32 s3, s3, 0xffff
	v_mad_u32_u24 v3, v2, s3, v1
	v_lshlrev_b32_e32 v10, 5, v2
	v_mov_b32_e32 v11, 0
	v_lshl_or_b32 v8, s2, 6, v1
	v_mbcnt_lo_u32_b32 v1, -1, 0
	v_and_b32_e32 v4, 63, v3
	v_mov_b32_e32 v5, v11
	v_mbcnt_hi_u32_b32 v1, -1, v1
	s_lshl_b32 s20, s7, 5
	v_lshl_add_u64 v[12:13], v[10:11], 0, s[18:19]
	v_cmp_gt_u32_e64 s[4:5], 32, v4
	v_mov_b32_e32 v9, v11
	v_lshlrev_b32_e32 v1, 2, v1
	v_lshl_add_u64 v[4:5], v[12:13], 0, v[4:5]
	v_mul_lo_u32 v10, s11, v12
	v_mul_lo_u32 v14, s10, v13
	v_mad_u64_u32 v[12:13], s[24:25], s10, v12, 0
	s_mul_i32 s3, s11, s20
	s_mul_hi_u32 s7, s10, s20
	v_and_b32_e32 v1, 0x100, v1
	s_mov_b32 s21, s19
	v_add3_u32 v13, v13, v14, v10
	v_lshlrev_b64 v[8:9], 2, v[8:9]
	s_add_i32 s25, s7, s3
	s_mul_i32 s24, s10, s20
	v_or_b32_e32 v3, 0x44, v1
	v_or_b32_e32 v38, 0x48, v1
	v_or_b32_e32 v39, 0x4c, v1
	v_or_b32_e32 v40, 0x50, v1
	v_or_b32_e32 v41, 0x54, v1
	v_or_b32_e32 v42, 0x58, v1
	v_or_b32_e32 v43, 0x5c, v1
	v_or_b32_e32 v44, 0x60, v1
	v_or_b32_e32 v45, 0x64, v1
	v_or_b32_e32 v46, 0x68, v1
	v_or_b32_e32 v47, 0x6c, v1
	v_or_b32_e32 v48, 0x70, v1
	v_or_b32_e32 v49, 0x74, v1
	v_or_b32_e32 v50, 0x78, v1
	v_or_b32_e32 v51, 0x7c, v1
	v_lshl_add_u64 v[6:7], v[4:5], 2, s[22:23]
	s_lshl_b64 s[22:23], s[20:21], 2
	v_lshl_add_u64 v[8:9], v[12:13], 2, v[8:9]
	s_lshl_b64 s[24:25], s[24:25], 2
	s_lshl_b64 s[26:27], s[10:11], 2
	v_mov_b64_e32 v[12:13], s[8:9]
	s_branch .LBB142_4
.LBB142_2:                              ;   in Loop: Header=BB142_4 Depth=1
	s_or_b64 exec, exec, s[30:31]
.LBB142_3:                              ;   in Loop: Header=BB142_4 Depth=1
	s_or_b64 exec, exec, s[28:29]
	v_lshl_add_u64 v[14:15], s[12:13], 0, v[8:9]
	v_lshl_add_u64 v[16:17], s[14:15], 0, v[8:9]
	global_load_dword v90, v[14:15], off
	global_load_dword v91, v[16:17], off
	v_lshl_add_u64 v[14:15], v[14:15], 0, s[26:27]
	v_lshl_add_u64 v[16:17], v[16:17], 0, s[26:27]
	global_load_dword v87, v[14:15], off
	global_load_dword v89, v[16:17], off
	;; [unrolled: 4-line block ×30, first 2 shown]
	v_lshl_add_u64 v[92:93], v[14:15], 0, s[26:27]
	global_load_dword v14, v[92:93], off
	v_lshl_add_u64 v[94:95], v[16:17], 0, s[26:27]
	v_lshl_add_u64 v[92:93], v[92:93], 0, s[26:27]
	global_load_dword v15, v[92:93], off
	v_lshl_add_u64 v[92:93], v[94:95], 0, s[26:27]
	global_load_dword v16, v[94:95], off
	global_load_dword v17, v[92:93], off
	s_waitcnt vmcnt(62)
	ds_bpermute_b32 v96, v1, v10
	v_or_b32_e32 v92, 4, v1
	v_mul_f32_e32 v90, v90, v91
	ds_bpermute_b32 v92, v92, v10
	s_waitcnt vmcnt(60)
	v_mul_f32_e32 v87, v87, v89
	s_waitcnt lgkmcnt(1)
	v_fmac_f32_e32 v11, v90, v96
	v_or_b32_e32 v90, 8, v1
	ds_bpermute_b32 v90, v90, v10
	s_waitcnt lgkmcnt(1)
	v_fmac_f32_e32 v11, v87, v92
	v_or_b32_e32 v87, 12, v1
	s_waitcnt vmcnt(58)
	v_mul_f32_e32 v85, v85, v88
	ds_bpermute_b32 v87, v87, v10
	s_waitcnt lgkmcnt(1)
	v_fmac_f32_e32 v11, v85, v90
	v_or_b32_e32 v85, 16, v1
	ds_bpermute_b32 v85, v85, v10
	s_waitcnt vmcnt(56)
	v_mul_f32_e32 v83, v83, v86
	s_waitcnt lgkmcnt(1)
	v_fmac_f32_e32 v11, v83, v87
	v_or_b32_e32 v83, 20, v1
	s_waitcnt vmcnt(54)
	v_mul_f32_e32 v82, v82, v84
	ds_bpermute_b32 v83, v83, v10
	s_waitcnt lgkmcnt(1)
	v_fmac_f32_e32 v11, v82, v85
	v_or_b32_e32 v82, 24, v1
	ds_bpermute_b32 v82, v82, v10
	s_waitcnt vmcnt(52)
	v_mul_f32_e32 v79, v79, v81
	;; [unrolled: 12-line block ×7, first 2 shown]
	s_waitcnt lgkmcnt(1)
	v_fmac_f32_e32 v11, v54, v59
	ds_bpermute_b32 v54, v3, v10
	s_waitcnt vmcnt(30)
	v_mul_f32_e32 v53, v53, v56
	s_waitcnt lgkmcnt(1)
	v_fmac_f32_e32 v11, v53, v57
	ds_bpermute_b32 v53, v38, v10
	s_waitcnt vmcnt(28)
	v_mul_f32_e32 v52, v52, v55
	s_waitcnt lgkmcnt(1)
	v_fmac_f32_e32 v11, v52, v54
	s_waitcnt vmcnt(26)
	v_mul_f32_e32 v52, v61, v65
	ds_bpermute_b32 v54, v39, v10
	s_waitcnt lgkmcnt(1)
	v_fmac_f32_e32 v11, v52, v53
	ds_bpermute_b32 v52, v40, v10
	ds_bpermute_b32 v53, v41, v10
	s_waitcnt vmcnt(20)
	v_pk_mul_f32 v[34:35], v[34:35], v[36:37]
	ds_bpermute_b32 v36, v42, v10
	ds_bpermute_b32 v37, v43, v10
	v_mul_f32_e32 v55, v66, v69
	s_waitcnt lgkmcnt(4)
	v_fmac_f32_e32 v11, v55, v54
	s_waitcnt lgkmcnt(2)
	v_pk_mul_f32 v[34:35], v[34:35], v[52:53]
	s_waitcnt vmcnt(16)
	v_pk_mul_f32 v[24:25], v[24:25], v[28:29]
	v_add_f32_e32 v11, v11, v34
	v_add_f32_e32 v11, v11, v35
	s_waitcnt lgkmcnt(0)
	v_pk_mul_f32 v[24:25], v[24:25], v[36:37]
	ds_bpermute_b32 v28, v44, v10
	ds_bpermute_b32 v29, v45, v10
	v_add_f32_e32 v11, v11, v24
	v_add_f32_e32 v11, v11, v25
	s_waitcnt vmcnt(12)
	v_pk_mul_f32 v[24:25], v[30:31], v[32:33]
	ds_bpermute_b32 v30, v46, v10
	ds_bpermute_b32 v31, v47, v10
	s_waitcnt lgkmcnt(2)
	v_pk_mul_f32 v[24:25], v[24:25], v[28:29]
	s_waitcnt vmcnt(8)
	v_pk_mul_f32 v[18:19], v[18:19], v[20:21]
	v_add_f32_e32 v11, v11, v24
	ds_bpermute_b32 v20, v48, v10
	ds_bpermute_b32 v21, v49, v10
	v_add_f32_e32 v11, v11, v25
	s_waitcnt lgkmcnt(2)
	v_pk_mul_f32 v[18:19], v[18:19], v[30:31]
	s_add_u32 s18, s18, s20
	v_add_f32_e32 v11, v11, v18
	v_add_f32_e32 v24, v11, v19
	s_waitcnt vmcnt(4)
	v_pk_mul_f32 v[18:19], v[22:23], v[26:27]
	ds_bpermute_b32 v22, v50, v10
	ds_bpermute_b32 v23, v51, v10
	s_waitcnt lgkmcnt(2)
	v_pk_mul_f32 v[10:11], v[18:19], v[20:21]
	s_addc_u32 s19, s19, 0
	v_add_f32_e32 v10, v24, v10
	v_add_f32_e32 v18, v10, v11
	s_waitcnt vmcnt(0)
	v_pk_mul_f32 v[10:11], v[14:15], v[16:17]
	v_cmp_lt_i64_e32 vcc, s[18:19], v[12:13]
	s_waitcnt lgkmcnt(0)
	v_pk_mul_f32 v[10:11], v[10:11], v[22:23]
	v_lshl_add_u64 v[6:7], v[6:7], 0, s[22:23]
	v_add_f32_e32 v10, v18, v10
	v_add_f32_e32 v11, v10, v11
	v_lshl_add_u64 v[4:5], v[4:5], 0, s[20:21]
	v_lshl_add_u64 v[8:9], v[8:9], 0, s[24:25]
	s_cbranch_vccz .LBB142_7
.LBB142_4:                              ; =>This Inner Loop Header: Depth=1
	v_mov_b32_e32 v10, 0
	s_and_saveexec_b64 s[28:29], s[4:5]
	s_cbranch_execz .LBB142_3
; %bb.5:                                ;   in Loop: Header=BB142_4 Depth=1
	v_cmp_gt_i64_e32 vcc, s[8:9], v[4:5]
	v_mov_b32_e32 v10, 0
	s_and_saveexec_b64 s[30:31], vcc
	s_cbranch_execz .LBB142_2
; %bb.6:                                ;   in Loop: Header=BB142_4 Depth=1
	global_load_dword v10, v[6:7], off
	s_branch .LBB142_2
.LBB142_7:
	s_cmp_eq_u64 s[16:17], 0
	s_cbranch_scc1 .LBB142_9
; %bb.8:
	s_load_dword s0, s[0:1], 0x4c
	v_mov_b32_e32 v3, 0
	v_mov_b32_e32 v1, s6
	s_mov_b32 s3, 0
	v_and_b32_e32 v0, 0x3ff, v0
	s_waitcnt lgkmcnt(0)
	s_lshr_b32 s0, s0, 16
	v_mad_u64_u32 v[4:5], s[0:1], s0, v1, v[2:3]
	v_mul_lo_u32 v1, v5, s10
	v_mul_lo_u32 v2, v4, s11
	v_mad_u64_u32 v[4:5], s[0:1], v4, s10, 0
	v_add3_u32 v5, v5, v2, v1
	v_lshl_add_u64 v[4:5], v[4:5], 2, s[16:17]
	s_lshl_b64 s[0:1], s[2:3], 8
	v_lshl_add_u64 v[4:5], v[4:5], 0, s[0:1]
	v_lshlrev_b32_e32 v2, 2, v0
	v_lshl_add_u64 v[0:1], v[4:5], 0, v[2:3]
	global_store_dword v[0:1], v11, off
.LBB142_9:
	s_endpgm
	.section	.rodata,"a",@progbits
	.p2align	6, 0x0
	.amdhsa_kernel _ZN2at6native12_GLOBAL__N_135GammaBetaBackwardCUDAKernelTemplateIffLj64ELj1ELj32ELb1ELb1ELb1EEEvllPKT_S5_PKT0_S8_PS3_S9_
		.amdhsa_group_segment_fixed_size 0
		.amdhsa_private_segment_fixed_size 0
		.amdhsa_kernarg_size 320
		.amdhsa_user_sgpr_count 2
		.amdhsa_user_sgpr_dispatch_ptr 0
		.amdhsa_user_sgpr_queue_ptr 0
		.amdhsa_user_sgpr_kernarg_segment_ptr 1
		.amdhsa_user_sgpr_dispatch_id 0
		.amdhsa_user_sgpr_kernarg_preload_length 0
		.amdhsa_user_sgpr_kernarg_preload_offset 0
		.amdhsa_user_sgpr_private_segment_size 0
		.amdhsa_uses_dynamic_stack 0
		.amdhsa_enable_private_segment 0
		.amdhsa_system_sgpr_workgroup_id_x 1
		.amdhsa_system_sgpr_workgroup_id_y 1
		.amdhsa_system_sgpr_workgroup_id_z 0
		.amdhsa_system_sgpr_workgroup_info 0
		.amdhsa_system_vgpr_workitem_id 1
		.amdhsa_next_free_vgpr 97
		.amdhsa_next_free_sgpr 32
		.amdhsa_accum_offset 100
		.amdhsa_reserve_vcc 1
		.amdhsa_float_round_mode_32 0
		.amdhsa_float_round_mode_16_64 0
		.amdhsa_float_denorm_mode_32 3
		.amdhsa_float_denorm_mode_16_64 3
		.amdhsa_dx10_clamp 1
		.amdhsa_ieee_mode 1
		.amdhsa_fp16_overflow 0
		.amdhsa_tg_split 0
		.amdhsa_exception_fp_ieee_invalid_op 0
		.amdhsa_exception_fp_denorm_src 0
		.amdhsa_exception_fp_ieee_div_zero 0
		.amdhsa_exception_fp_ieee_overflow 0
		.amdhsa_exception_fp_ieee_underflow 0
		.amdhsa_exception_fp_ieee_inexact 0
		.amdhsa_exception_int_div_zero 0
	.end_amdhsa_kernel
	.section	.text._ZN2at6native12_GLOBAL__N_135GammaBetaBackwardCUDAKernelTemplateIffLj64ELj1ELj32ELb1ELb1ELb1EEEvllPKT_S5_PKT0_S8_PS3_S9_,"axG",@progbits,_ZN2at6native12_GLOBAL__N_135GammaBetaBackwardCUDAKernelTemplateIffLj64ELj1ELj32ELb1ELb1ELb1EEEvllPKT_S5_PKT0_S8_PS3_S9_,comdat
.Lfunc_end142:
	.size	_ZN2at6native12_GLOBAL__N_135GammaBetaBackwardCUDAKernelTemplateIffLj64ELj1ELj32ELb1ELb1ELb1EEEvllPKT_S5_PKT0_S8_PS3_S9_, .Lfunc_end142-_ZN2at6native12_GLOBAL__N_135GammaBetaBackwardCUDAKernelTemplateIffLj64ELj1ELj32ELb1ELb1ELb1EEEvllPKT_S5_PKT0_S8_PS3_S9_
                                        ; -- End function
	.set _ZN2at6native12_GLOBAL__N_135GammaBetaBackwardCUDAKernelTemplateIffLj64ELj1ELj32ELb1ELb1ELb1EEEvllPKT_S5_PKT0_S8_PS3_S9_.num_vgpr, 97
	.set _ZN2at6native12_GLOBAL__N_135GammaBetaBackwardCUDAKernelTemplateIffLj64ELj1ELj32ELb1ELb1ELb1EEEvllPKT_S5_PKT0_S8_PS3_S9_.num_agpr, 0
	.set _ZN2at6native12_GLOBAL__N_135GammaBetaBackwardCUDAKernelTemplateIffLj64ELj1ELj32ELb1ELb1ELb1EEEvllPKT_S5_PKT0_S8_PS3_S9_.numbered_sgpr, 32
	.set _ZN2at6native12_GLOBAL__N_135GammaBetaBackwardCUDAKernelTemplateIffLj64ELj1ELj32ELb1ELb1ELb1EEEvllPKT_S5_PKT0_S8_PS3_S9_.num_named_barrier, 0
	.set _ZN2at6native12_GLOBAL__N_135GammaBetaBackwardCUDAKernelTemplateIffLj64ELj1ELj32ELb1ELb1ELb1EEEvllPKT_S5_PKT0_S8_PS3_S9_.private_seg_size, 0
	.set _ZN2at6native12_GLOBAL__N_135GammaBetaBackwardCUDAKernelTemplateIffLj64ELj1ELj32ELb1ELb1ELb1EEEvllPKT_S5_PKT0_S8_PS3_S9_.uses_vcc, 1
	.set _ZN2at6native12_GLOBAL__N_135GammaBetaBackwardCUDAKernelTemplateIffLj64ELj1ELj32ELb1ELb1ELb1EEEvllPKT_S5_PKT0_S8_PS3_S9_.uses_flat_scratch, 0
	.set _ZN2at6native12_GLOBAL__N_135GammaBetaBackwardCUDAKernelTemplateIffLj64ELj1ELj32ELb1ELb1ELb1EEEvllPKT_S5_PKT0_S8_PS3_S9_.has_dyn_sized_stack, 0
	.set _ZN2at6native12_GLOBAL__N_135GammaBetaBackwardCUDAKernelTemplateIffLj64ELj1ELj32ELb1ELb1ELb1EEEvllPKT_S5_PKT0_S8_PS3_S9_.has_recursion, 0
	.set _ZN2at6native12_GLOBAL__N_135GammaBetaBackwardCUDAKernelTemplateIffLj64ELj1ELj32ELb1ELb1ELb1EEEvllPKT_S5_PKT0_S8_PS3_S9_.has_indirect_call, 0
	.section	.AMDGPU.csdata,"",@progbits
; Kernel info:
; codeLenInByte = 2484
; TotalNumSgprs: 38
; NumVgprs: 97
; NumAgprs: 0
; TotalNumVgprs: 97
; ScratchSize: 0
; MemoryBound: 0
; FloatMode: 240
; IeeeMode: 1
; LDSByteSize: 0 bytes/workgroup (compile time only)
; SGPRBlocks: 4
; VGPRBlocks: 12
; NumSGPRsForWavesPerEU: 38
; NumVGPRsForWavesPerEU: 97
; AccumOffset: 100
; Occupancy: 4
; WaveLimiterHint : 0
; COMPUTE_PGM_RSRC2:SCRATCH_EN: 0
; COMPUTE_PGM_RSRC2:USER_SGPR: 2
; COMPUTE_PGM_RSRC2:TRAP_HANDLER: 0
; COMPUTE_PGM_RSRC2:TGID_X_EN: 1
; COMPUTE_PGM_RSRC2:TGID_Y_EN: 1
; COMPUTE_PGM_RSRC2:TGID_Z_EN: 0
; COMPUTE_PGM_RSRC2:TIDIG_COMP_CNT: 1
; COMPUTE_PGM_RSRC3_GFX90A:ACCUM_OFFSET: 24
; COMPUTE_PGM_RSRC3_GFX90A:TG_SPLIT: 0
	.section	.text._ZN2at6native12_GLOBAL__N_135GammaBetaBackwardCUDAKernelTemplateIffLj64ELj1ELj32ELb1ELb0ELb1EEEvllPKT_S5_PKT0_S8_PS3_S9_,"axG",@progbits,_ZN2at6native12_GLOBAL__N_135GammaBetaBackwardCUDAKernelTemplateIffLj64ELj1ELj32ELb1ELb0ELb1EEEvllPKT_S5_PKT0_S8_PS3_S9_,comdat
	.globl	_ZN2at6native12_GLOBAL__N_135GammaBetaBackwardCUDAKernelTemplateIffLj64ELj1ELj32ELb1ELb0ELb1EEEvllPKT_S5_PKT0_S8_PS3_S9_ ; -- Begin function _ZN2at6native12_GLOBAL__N_135GammaBetaBackwardCUDAKernelTemplateIffLj64ELj1ELj32ELb1ELb0ELb1EEEvllPKT_S5_PKT0_S8_PS3_S9_
	.p2align	8
	.type	_ZN2at6native12_GLOBAL__N_135GammaBetaBackwardCUDAKernelTemplateIffLj64ELj1ELj32ELb1ELb0ELb1EEEvllPKT_S5_PKT0_S8_PS3_S9_,@function
_ZN2at6native12_GLOBAL__N_135GammaBetaBackwardCUDAKernelTemplateIffLj64ELj1ELj32ELb1ELb0ELb1EEEvllPKT_S5_PKT0_S8_PS3_S9_: ; @_ZN2at6native12_GLOBAL__N_135GammaBetaBackwardCUDAKernelTemplateIffLj64ELj1ELj32ELb1ELb0ELb1EEEvllPKT_S5_PKT0_S8_PS3_S9_
; %bb.0:
	s_load_dwordx8 s[12:19], s[0:1], 0x0
	s_load_dwordx2 s[10:11], s[0:1], 0x28
	s_mov_b32 s8, s3
	s_lshl_b32 s3, s2, 6
	s_mov_b32 s21, 0
	s_lshl_b32 s20, s8, 5
	v_mov_b32_e32 v206, v0
	s_or_b32 s4, s3, 63
	v_mov_b64_e32 v[0:1], s[20:21]
	v_mov_b32_e32 v2, s4
	v_mov_b32_e32 v3, 0
	s_waitcnt lgkmcnt(0)
	v_cmp_gt_i64_e64 s[4:5], s[12:13], v[0:1]
	v_cmp_le_i64_e32 vcc, s[14:15], v[2:3]
	s_nop 0
	v_cndmask_b32_e64 v0, 0, 1, s[4:5]
	v_cmp_ne_u32_e64 s[4:5], 1, v0
	s_cbranch_vccz .LBB143_145
; %bb.1:
	s_and_b64 vcc, exec, s[4:5]
	s_cbranch_vccnz .LBB143_146
; %bb.2:
	v_mov_b32_e32 v2, 0
	v_bfe_u32 v181, v206, 10, 10
	v_and_b32_e32 v180, 0x3ff, v206
	v_lshlrev_b32_e32 v36, 5, v181
	v_mov_b32_e32 v37, v2
	v_add_u32_e32 v0, s3, v180
	v_mov_b32_e32 v1, v2
	v_lshl_add_u64 v[4:5], v[36:37], 0, s[20:21]
	v_cmp_gt_i64_e64 s[6:7], s[14:15], v[0:1]
	v_lshlrev_b64 v[38:39], 2, v[0:1]
	v_mul_lo_u32 v3, s15, v4
	v_mul_lo_u32 v8, s14, v5
	v_mad_u64_u32 v[0:1], s[26:27], s14, v4, 0
	v_add3_u32 v1, v1, v8, v3
	v_lshlrev_b64 v[0:1], 2, v[0:1]
	v_lshl_add_u64 v[40:41], s[16:17], 0, v[0:1]
	v_lshl_add_u64 v[42:43], s[18:19], 0, v[0:1]
	v_lshl_add_u64 v[0:1], v[4:5], 0, 31
	v_mul_lo_u32 v6, s15, v0
	v_mul_lo_u32 v7, s14, v1
	v_mad_u64_u32 v[0:1], s[30:31], s14, v0, 0
	v_add3_u32 v1, v1, v7, v6
	v_lshlrev_b64 v[0:1], 2, v[0:1]
	v_lshl_add_u64 v[44:45], s[16:17], 0, v[0:1]
	v_lshl_add_u64 v[46:47], s[18:19], 0, v[0:1]
	v_lshl_add_u64 v[0:1], v[4:5], 0, 30
	v_mul_lo_u32 v6, s15, v0
	v_mul_lo_u32 v7, s14, v1
	v_mad_u64_u32 v[0:1], s[30:31], s14, v0, 0
	v_add3_u32 v1, v1, v7, v6
	v_lshlrev_b64 v[0:1], 2, v[0:1]
	v_lshl_add_u64 v[48:49], s[16:17], 0, v[0:1]
	v_lshl_add_u64 v[50:51], s[18:19], 0, v[0:1]
	v_lshl_add_u64 v[0:1], v[4:5], 0, 29
	v_mul_lo_u32 v6, s15, v0
	v_mul_lo_u32 v7, s14, v1
	v_mad_u64_u32 v[0:1], s[30:31], s14, v0, 0
	v_add3_u32 v1, v1, v7, v6
	v_lshlrev_b64 v[0:1], 2, v[0:1]
	v_lshl_add_u64 v[52:53], s[16:17], 0, v[0:1]
	v_lshl_add_u64 v[54:55], s[18:19], 0, v[0:1]
	v_lshl_add_u64 v[0:1], v[4:5], 0, 28
	v_mul_lo_u32 v6, s15, v0
	v_mul_lo_u32 v7, s14, v1
	v_mad_u64_u32 v[0:1], s[30:31], s14, v0, 0
	v_add3_u32 v1, v1, v7, v6
	v_lshlrev_b64 v[0:1], 2, v[0:1]
	v_lshl_add_u64 v[56:57], s[16:17], 0, v[0:1]
	v_lshl_add_u64 v[58:59], s[18:19], 0, v[0:1]
	v_lshl_add_u64 v[0:1], v[4:5], 0, 27
	v_mul_lo_u32 v6, s15, v0
	v_mul_lo_u32 v7, s14, v1
	v_mad_u64_u32 v[0:1], s[30:31], s14, v0, 0
	v_add3_u32 v1, v1, v7, v6
	v_lshlrev_b64 v[0:1], 2, v[0:1]
	v_lshl_add_u64 v[60:61], s[16:17], 0, v[0:1]
	v_lshl_add_u64 v[62:63], s[18:19], 0, v[0:1]
	v_lshl_add_u64 v[0:1], v[4:5], 0, 26
	v_mul_lo_u32 v6, s15, v0
	v_mul_lo_u32 v7, s14, v1
	v_mad_u64_u32 v[0:1], s[30:31], s14, v0, 0
	v_add3_u32 v1, v1, v7, v6
	v_lshlrev_b64 v[0:1], 2, v[0:1]
	v_lshl_add_u64 v[64:65], s[16:17], 0, v[0:1]
	v_lshl_add_u64 v[66:67], s[18:19], 0, v[0:1]
	v_lshl_add_u64 v[0:1], v[4:5], 0, 25
	v_mul_lo_u32 v6, s15, v0
	v_mul_lo_u32 v7, s14, v1
	v_mad_u64_u32 v[0:1], s[30:31], s14, v0, 0
	v_add3_u32 v1, v1, v7, v6
	v_lshlrev_b64 v[0:1], 2, v[0:1]
	v_lshl_add_u64 v[68:69], s[16:17], 0, v[0:1]
	v_lshl_add_u64 v[70:71], s[18:19], 0, v[0:1]
	v_lshl_add_u64 v[0:1], v[4:5], 0, 24
	v_mul_lo_u32 v6, s15, v0
	v_mul_lo_u32 v7, s14, v1
	v_mad_u64_u32 v[0:1], s[30:31], s14, v0, 0
	v_add3_u32 v1, v1, v7, v6
	v_lshlrev_b64 v[0:1], 2, v[0:1]
	v_lshl_add_u64 v[72:73], s[16:17], 0, v[0:1]
	v_lshl_add_u64 v[74:75], s[18:19], 0, v[0:1]
	v_lshl_add_u64 v[0:1], v[4:5], 0, 23
	v_mul_lo_u32 v6, s15, v0
	v_mul_lo_u32 v7, s14, v1
	v_mad_u64_u32 v[0:1], s[30:31], s14, v0, 0
	v_add3_u32 v1, v1, v7, v6
	v_lshlrev_b64 v[0:1], 2, v[0:1]
	v_lshl_add_u64 v[76:77], s[16:17], 0, v[0:1]
	v_lshl_add_u64 v[78:79], s[18:19], 0, v[0:1]
	v_lshl_add_u64 v[0:1], v[4:5], 0, 22
	v_mul_lo_u32 v6, s15, v0
	v_mul_lo_u32 v7, s14, v1
	v_mad_u64_u32 v[0:1], s[30:31], s14, v0, 0
	v_add3_u32 v1, v1, v7, v6
	v_lshlrev_b64 v[6:7], 2, v[0:1]
	v_lshl_add_u64 v[0:1], s[16:17], 0, v[6:7]
	v_lshl_add_u64 v[80:81], s[18:19], 0, v[6:7]
	v_lshl_add_u64 v[6:7], v[4:5], 0, 21
	v_mul_lo_u32 v9, s15, v6
	v_mul_lo_u32 v10, s14, v7
	v_mad_u64_u32 v[6:7], s[30:31], s14, v6, 0
	v_add3_u32 v7, v7, v10, v9
	v_lshlrev_b64 v[6:7], 2, v[6:7]
	v_lshl_add_u64 v[82:83], s[16:17], 0, v[6:7]
	v_lshl_add_u64 v[84:85], s[18:19], 0, v[6:7]
	v_lshl_add_u64 v[6:7], v[4:5], 0, 20
	v_mul_lo_u32 v9, s15, v6
	v_mul_lo_u32 v10, s14, v7
	v_mad_u64_u32 v[6:7], s[30:31], s14, v6, 0
	v_add3_u32 v7, v7, v10, v9
	v_lshlrev_b64 v[6:7], 2, v[6:7]
	v_lshl_add_u64 v[86:87], s[16:17], 0, v[6:7]
	v_lshl_add_u64 v[88:89], s[18:19], 0, v[6:7]
	v_lshl_add_u64 v[6:7], v[4:5], 0, 19
	v_mul_lo_u32 v9, s15, v6
	v_mul_lo_u32 v10, s14, v7
	v_mad_u64_u32 v[6:7], s[30:31], s14, v6, 0
	v_add3_u32 v7, v7, v10, v9
	v_lshlrev_b64 v[6:7], 2, v[6:7]
	v_lshl_add_u64 v[90:91], s[16:17], 0, v[6:7]
	v_lshl_add_u64 v[92:93], s[18:19], 0, v[6:7]
	v_lshl_add_u64 v[6:7], v[4:5], 0, 18
	v_mul_lo_u32 v9, s15, v6
	v_mul_lo_u32 v10, s14, v7
	v_mad_u64_u32 v[6:7], s[30:31], s14, v6, 0
	v_add3_u32 v7, v7, v10, v9
	v_lshlrev_b64 v[6:7], 2, v[6:7]
	v_lshl_add_u64 v[94:95], s[16:17], 0, v[6:7]
	v_lshl_add_u64 v[96:97], s[18:19], 0, v[6:7]
	v_lshl_add_u64 v[6:7], v[4:5], 0, 17
	v_mul_lo_u32 v9, s15, v6
	v_mul_lo_u32 v10, s14, v7
	v_mad_u64_u32 v[6:7], s[30:31], s14, v6, 0
	v_add3_u32 v7, v7, v10, v9
	v_lshlrev_b64 v[6:7], 2, v[6:7]
	v_lshl_add_u64 v[98:99], s[16:17], 0, v[6:7]
	v_lshl_add_u64 v[100:101], s[18:19], 0, v[6:7]
	v_lshl_add_u64 v[6:7], v[4:5], 0, 16
	v_mul_lo_u32 v9, s15, v6
	v_mul_lo_u32 v10, s14, v7
	v_mad_u64_u32 v[6:7], s[30:31], s14, v6, 0
	v_add3_u32 v7, v7, v10, v9
	v_lshlrev_b64 v[6:7], 2, v[6:7]
	v_lshl_add_u64 v[102:103], s[16:17], 0, v[6:7]
	v_lshl_add_u64 v[104:105], s[18:19], 0, v[6:7]
	v_lshl_add_u64 v[6:7], v[4:5], 0, 15
	v_mul_lo_u32 v9, s15, v6
	v_mul_lo_u32 v10, s14, v7
	v_mad_u64_u32 v[6:7], s[30:31], s14, v6, 0
	v_add3_u32 v7, v7, v10, v9
	v_lshlrev_b64 v[6:7], 2, v[6:7]
	v_lshl_add_u64 v[106:107], s[16:17], 0, v[6:7]
	v_lshl_add_u64 v[108:109], s[18:19], 0, v[6:7]
	v_lshl_add_u64 v[6:7], v[4:5], 0, 14
	v_mul_lo_u32 v9, s15, v6
	v_mul_lo_u32 v10, s14, v7
	v_mad_u64_u32 v[6:7], s[30:31], s14, v6, 0
	v_add3_u32 v7, v7, v10, v9
	v_lshlrev_b64 v[6:7], 2, v[6:7]
	v_lshl_add_u64 v[110:111], s[16:17], 0, v[6:7]
	v_lshl_add_u64 v[112:113], s[18:19], 0, v[6:7]
	v_lshl_add_u64 v[6:7], v[4:5], 0, 13
	v_mul_lo_u32 v9, s15, v6
	v_mul_lo_u32 v10, s14, v7
	v_mad_u64_u32 v[6:7], s[30:31], s14, v6, 0
	v_add3_u32 v7, v7, v10, v9
	v_lshlrev_b64 v[6:7], 2, v[6:7]
	v_lshl_add_u64 v[114:115], s[16:17], 0, v[6:7]
	v_lshl_add_u64 v[116:117], s[18:19], 0, v[6:7]
	v_lshl_add_u64 v[6:7], v[4:5], 0, 12
	v_mul_lo_u32 v9, s15, v6
	v_mul_lo_u32 v10, s14, v7
	v_mad_u64_u32 v[6:7], s[30:31], s14, v6, 0
	v_add3_u32 v7, v7, v10, v9
	v_lshlrev_b64 v[6:7], 2, v[6:7]
	v_lshl_add_u64 v[118:119], s[16:17], 0, v[6:7]
	v_lshl_add_u64 v[120:121], s[18:19], 0, v[6:7]
	v_lshl_add_u64 v[6:7], v[4:5], 0, 11
	v_mul_lo_u32 v9, s15, v6
	v_mul_lo_u32 v10, s14, v7
	v_mad_u64_u32 v[6:7], s[30:31], s14, v6, 0
	v_add3_u32 v7, v7, v10, v9
	v_lshlrev_b64 v[6:7], 2, v[6:7]
	v_lshl_add_u64 v[122:123], s[16:17], 0, v[6:7]
	v_lshl_add_u64 v[124:125], s[18:19], 0, v[6:7]
	v_lshl_add_u64 v[6:7], v[4:5], 0, 10
	v_mul_lo_u32 v9, s15, v6
	v_mul_lo_u32 v10, s14, v7
	v_mad_u64_u32 v[6:7], s[30:31], s14, v6, 0
	v_add3_u32 v7, v7, v10, v9
	v_lshlrev_b64 v[6:7], 2, v[6:7]
	v_lshl_add_u64 v[126:127], s[16:17], 0, v[6:7]
	v_lshl_add_u64 v[128:129], s[18:19], 0, v[6:7]
	v_lshl_add_u64 v[6:7], v[4:5], 0, 9
	v_mul_lo_u32 v9, s15, v6
	v_mul_lo_u32 v10, s14, v7
	v_mad_u64_u32 v[6:7], s[30:31], s14, v6, 0
	v_add3_u32 v7, v7, v10, v9
	v_lshlrev_b64 v[6:7], 2, v[6:7]
	v_lshl_add_u64 v[130:131], s[16:17], 0, v[6:7]
	v_lshl_add_u64 v[132:133], s[18:19], 0, v[6:7]
	v_lshl_add_u64 v[6:7], v[4:5], 0, 8
	v_mul_lo_u32 v9, s15, v6
	v_mul_lo_u32 v10, s14, v7
	v_mad_u64_u32 v[6:7], s[30:31], s14, v6, 0
	v_add3_u32 v7, v7, v10, v9
	v_lshlrev_b64 v[6:7], 2, v[6:7]
	v_lshl_add_u64 v[134:135], s[16:17], 0, v[6:7]
	v_lshl_add_u64 v[136:137], s[18:19], 0, v[6:7]
	v_lshl_add_u64 v[6:7], v[4:5], 0, 7
	v_mul_lo_u32 v9, s15, v6
	v_mul_lo_u32 v10, s14, v7
	v_mad_u64_u32 v[6:7], s[30:31], s14, v6, 0
	v_add3_u32 v7, v7, v10, v9
	v_lshlrev_b64 v[6:7], 2, v[6:7]
	v_lshl_add_u64 v[138:139], s[16:17], 0, v[6:7]
	v_lshl_add_u64 v[140:141], s[18:19], 0, v[6:7]
	v_lshl_add_u64 v[6:7], v[4:5], 0, 6
	v_mul_lo_u32 v9, s15, v6
	v_mul_lo_u32 v10, s14, v7
	v_mad_u64_u32 v[6:7], s[30:31], s14, v6, 0
	v_add3_u32 v7, v7, v10, v9
	v_lshlrev_b64 v[6:7], 2, v[6:7]
	v_lshl_add_u64 v[142:143], s[16:17], 0, v[6:7]
	v_lshl_add_u64 v[144:145], s[18:19], 0, v[6:7]
	v_lshl_add_u64 v[6:7], v[4:5], 0, 5
	v_mul_lo_u32 v9, s15, v6
	v_mul_lo_u32 v10, s14, v7
	v_mad_u64_u32 v[6:7], s[30:31], s14, v6, 0
	v_add3_u32 v7, v7, v10, v9
	v_lshlrev_b64 v[6:7], 2, v[6:7]
	v_lshl_add_u64 v[146:147], s[16:17], 0, v[6:7]
	v_lshl_add_u64 v[148:149], s[18:19], 0, v[6:7]
	v_lshl_add_u64 v[6:7], v[4:5], 0, 4
	v_mul_lo_u32 v9, s15, v6
	v_mul_lo_u32 v10, s14, v7
	v_mad_u64_u32 v[6:7], s[30:31], s14, v6, 0
	v_add3_u32 v7, v7, v10, v9
	v_lshlrev_b64 v[6:7], 2, v[6:7]
	v_lshl_add_u64 v[150:151], s[16:17], 0, v[6:7]
	v_lshl_add_u64 v[152:153], s[18:19], 0, v[6:7]
	v_lshl_add_u64 v[6:7], v[4:5], 0, 3
	v_mul_lo_u32 v9, s15, v6
	v_mul_lo_u32 v10, s14, v7
	v_mad_u64_u32 v[6:7], s[30:31], s14, v6, 0
	v_add3_u32 v7, v7, v10, v9
	v_lshlrev_b64 v[6:7], 2, v[6:7]
	v_lshl_add_u64 v[154:155], s[16:17], 0, v[6:7]
	v_lshl_add_u64 v[156:157], s[18:19], 0, v[6:7]
	v_lshl_add_u64 v[6:7], v[4:5], 0, 2
	s_load_dword s9, s[0:1], 0x44
	v_mul_lo_u32 v5, s15, v6
	v_mul_lo_u32 v9, s14, v7
	v_mad_u64_u32 v[6:7], s[30:31], s14, v6, 0
	v_add3_u32 v7, v7, v9, v5
	v_lshlrev_b64 v[6:7], 2, v[6:7]
	v_lshl_add_u64 v[158:159], s[16:17], 0, v[6:7]
	v_lshl_add_u64 v[160:161], s[18:19], 0, v[6:7]
	v_mov_b64_e32 v[6:7], s[14:15]
	s_add_u32 s24, s0, 64
	v_mad_u64_u32 v[4:5], s[30:31], s14, v4, v[6:7]
	s_addc_u32 s25, s1, 0
	s_waitcnt lgkmcnt(0)
	s_lshl_b32 s22, s9, 5
	v_add3_u32 v5, v3, v5, v8
	v_mbcnt_lo_u32_b32 v3, -1, 0
	s_mul_i32 s9, s15, s22
	s_mul_hi_u32 s26, s14, s22
	v_mbcnt_hi_u32_b32 v3, -1, v3
	s_add_i32 s27, s26, s9
	s_mul_i32 s26, s14, s22
	v_lshlrev_b64 v[4:5], 2, v[4:5]
	v_lshlrev_b32_e32 v3, 2, v3
	s_mov_b32 s23, 0
	s_lshl_b64 s[26:27], s[26:27], 2
	s_mov_b64 s[28:29], 31
	v_lshl_add_u64 v[162:163], s[16:17], 0, v[4:5]
	v_lshl_add_u64 v[164:165], s[18:19], 0, v[4:5]
	v_and_b32_e32 v182, 0x100, v3
	s_mov_b64 s[30:31], s[20:21]
	v_mov_b32_e32 v183, 0
.LBB143_3:                              ; =>This Inner Loop Header: Depth=1
	s_add_u32 s34, s20, s28
	s_addc_u32 s35, 0, s29
	v_mov_b64_e32 v[4:5], s[12:13]
	v_cmp_ge_i64_e32 vcc, s[34:35], v[4:5]
	v_lshl_add_u64 v[166:167], s[20:21], 0, v[36:37]
	s_mov_b64 s[34:35], -1
	s_and_b64 vcc, exec, vcc
                                        ; implicit-def: $vgpr4_vgpr5_vgpr6_vgpr7_vgpr8_vgpr9_vgpr10_vgpr11_vgpr12_vgpr13_vgpr14_vgpr15_vgpr16_vgpr17_vgpr18_vgpr19_vgpr20_vgpr21_vgpr22_vgpr23_vgpr24_vgpr25_vgpr26_vgpr27_vgpr28_vgpr29_vgpr30_vgpr31_vgpr32_vgpr33_vgpr34_vgpr35
                                        ; implicit-def: $vgpr3
                                        ; implicit-def: $vgpr201
                                        ; implicit-def: $vgpr4
	s_cbranch_vccz .LBB143_73
; %bb.4:                                ;   in Loop: Header=BB143_3 Depth=1
	s_load_dword s9, s[24:25], 0xc
	v_mov_b32_e32 v185, 0
	v_mov_b32_e32 v184, 0
	s_waitcnt lgkmcnt(0)
	s_and_b32 s9, s9, 0xffff
	v_mad_u32_u24 v3, v181, s9, v180
	v_and_b32_e32 v4, 63, v3
	v_cmp_gt_u32_e32 vcc, 32, v4
	s_and_saveexec_b64 s[34:35], vcc
	s_cbranch_execz .LBB143_8
; %bb.5:                                ;   in Loop: Header=BB143_3 Depth=1
	v_mov_b32_e32 v5, v2
	v_lshl_add_u64 v[4:5], v[166:167], 0, v[4:5]
	v_cmp_gt_i64_e32 vcc, s[12:13], v[4:5]
	v_mov_b32_e32 v184, 0
	s_and_saveexec_b64 s[36:37], vcc
	s_cbranch_execz .LBB143_7
; %bb.6:                                ;   in Loop: Header=BB143_3 Depth=1
	v_lshl_add_u64 v[4:5], v[4:5], 2, s[10:11]
	global_load_dword v184, v[4:5], off
.LBB143_7:                              ;   in Loop: Header=BB143_3 Depth=1
	s_or_b64 exec, exec, s[36:37]
.LBB143_8:                              ;   in Loop: Header=BB143_3 Depth=1
	s_or_b64 exec, exec, s[34:35]
	v_mov_b32_e32 v4, v2
	v_mov_b32_e32 v5, v2
	;; [unrolled: 1-line block ×30, first 2 shown]
	v_cmp_gt_i64_e32 vcc, s[12:13], v[166:167]
	v_mov_b32_e32 v3, v2
	v_mov_b64_e32 v[34:35], v[32:33]
	s_and_b64 s[36:37], s[6:7], vcc
	v_mov_b64_e32 v[32:33], v[30:31]
	v_mov_b64_e32 v[30:31], v[28:29]
	;; [unrolled: 1-line block ×15, first 2 shown]
	s_and_saveexec_b64 s[34:35], s[36:37]
	s_cbranch_execz .LBB143_10
; %bb.9:                                ;   in Loop: Header=BB143_3 Depth=1
	v_lshl_add_u64 v[4:5], v[40:41], 0, v[38:39]
	v_lshl_add_u64 v[6:7], v[42:43], 0, v[38:39]
	global_load_dword v4, v[4:5], off
	v_mov_b32_e32 v5, v2
	global_load_dword v185, v[6:7], off
	v_mov_b32_e32 v6, v2
	v_mov_b32_e32 v7, v2
	;; [unrolled: 1-line block ×30, first 2 shown]
.LBB143_10:                             ;   in Loop: Header=BB143_3 Depth=1
	s_or_b64 exec, exec, s[34:35]
	v_lshl_add_u64 v[168:169], v[166:167], 0, 1
	v_cmp_gt_i64_e32 vcc, s[12:13], v[168:169]
	s_and_b64 s[36:37], s[6:7], vcc
	v_mov_b32_e32 v3, 0
	v_mov_b32_e32 v186, 0
	s_and_saveexec_b64 s[34:35], s[36:37]
	s_cbranch_execz .LBB143_12
; %bb.11:                               ;   in Loop: Header=BB143_3 Depth=1
	v_lshl_add_u64 v[168:169], v[162:163], 0, v[38:39]
	global_load_dword v5, v[168:169], off
	v_lshl_add_u64 v[168:169], v[164:165], 0, v[38:39]
	global_load_dword v186, v[168:169], off
.LBB143_12:                             ;   in Loop: Header=BB143_3 Depth=1
	s_or_b64 exec, exec, s[34:35]
	v_lshl_add_u64 v[168:169], v[166:167], 0, 2
	v_cmp_gt_i64_e32 vcc, s[12:13], v[168:169]
	s_and_b64 s[36:37], s[6:7], vcc
	s_and_saveexec_b64 s[34:35], s[36:37]
	s_cbranch_execz .LBB143_14
; %bb.13:                               ;   in Loop: Header=BB143_3 Depth=1
	v_lshl_add_u64 v[168:169], v[158:159], 0, v[38:39]
	global_load_dword v6, v[168:169], off
	v_lshl_add_u64 v[168:169], v[160:161], 0, v[38:39]
	global_load_dword v3, v[168:169], off
.LBB143_14:                             ;   in Loop: Header=BB143_3 Depth=1
	s_or_b64 exec, exec, s[34:35]
	v_lshl_add_u64 v[168:169], v[166:167], 0, 3
	v_cmp_gt_i64_e32 vcc, s[12:13], v[168:169]
	s_and_b64 s[36:37], s[6:7], vcc
	v_mov_b32_e32 v187, 0
	v_mov_b32_e32 v188, 0
	s_and_saveexec_b64 s[34:35], s[36:37]
	s_cbranch_execz .LBB143_16
; %bb.15:                               ;   in Loop: Header=BB143_3 Depth=1
	v_lshl_add_u64 v[168:169], v[154:155], 0, v[38:39]
	global_load_dword v7, v[168:169], off
	v_lshl_add_u64 v[168:169], v[156:157], 0, v[38:39]
	global_load_dword v188, v[168:169], off
.LBB143_16:                             ;   in Loop: Header=BB143_3 Depth=1
	s_or_b64 exec, exec, s[34:35]
	v_lshl_add_u64 v[168:169], v[166:167], 0, 4
	v_cmp_gt_i64_e32 vcc, s[12:13], v[168:169]
	s_and_b64 s[36:37], s[6:7], vcc
	s_and_saveexec_b64 s[34:35], s[36:37]
	s_cbranch_execz .LBB143_18
; %bb.17:                               ;   in Loop: Header=BB143_3 Depth=1
	v_lshl_add_u64 v[168:169], v[150:151], 0, v[38:39]
	global_load_dword v8, v[168:169], off
	v_lshl_add_u64 v[168:169], v[152:153], 0, v[38:39]
	global_load_dword v187, v[168:169], off
.LBB143_18:                             ;   in Loop: Header=BB143_3 Depth=1
	;; [unrolled: 26-line block ×15, first 2 shown]
	s_or_b64 exec, exec, s[34:35]
	v_lshl_add_u64 v[204:205], v[166:167], 0, 31
	v_cmp_gt_i64_e32 vcc, s[12:13], v[204:205]
	s_and_b64 s[36:37], s[6:7], vcc
	v_mov_b32_e32 v201, 0
	s_and_saveexec_b64 s[34:35], s[36:37]
	s_cbranch_execz .LBB143_72
; %bb.71:                               ;   in Loop: Header=BB143_3 Depth=1
	v_lshl_add_u64 v[204:205], v[44:45], 0, v[38:39]
	global_load_dword v35, v[204:205], off
	v_lshl_add_u64 v[204:205], v[46:47], 0, v[38:39]
	global_load_dword v201, v[204:205], off
.LBB143_72:                             ;   in Loop: Header=BB143_3 Depth=1
	s_or_b64 exec, exec, s[34:35]
	s_waitcnt vmcnt(0)
	ds_bpermute_b32 v204, v182, v184
	ds_bpermute_b32 v205, v182, v184 offset:4
	v_mul_f32_e32 v4, v185, v4
	ds_bpermute_b32 v185, v182, v184 offset:8
	v_mul_f32_e32 v5, v186, v5
	s_waitcnt lgkmcnt(2)
	v_fma_f32 v186, v4, v204, v183
	ds_bpermute_b32 v4, v182, v184 offset:12
	s_waitcnt lgkmcnt(2)
	v_fmac_f32_e32 v186, v5, v205
	v_mul_f32_e32 v3, v3, v6
	s_waitcnt lgkmcnt(1)
	v_fmac_f32_e32 v186, v3, v185
	ds_bpermute_b32 v3, v182, v184 offset:16
	v_mul_f32_e32 v5, v188, v7
	s_waitcnt lgkmcnt(1)
	v_fmac_f32_e32 v186, v5, v4
	ds_bpermute_b32 v4, v182, v184 offset:20
	;; [unrolled: 4-line block ×14, first 2 shown]
	v_mul_f32_e32 v5, v199, v20
	ds_bpermute_b32 v6, v182, v184 offset:72
	s_waitcnt lgkmcnt(2)
	v_fmac_f32_e32 v186, v5, v3
	v_mul_f32_e32 v3, v203, v21
	s_waitcnt lgkmcnt(1)
	v_fmac_f32_e32 v186, v3, v4
	ds_bpermute_b32 v4, v182, v184 offset:76
	ds_bpermute_b32 v5, v182, v184 offset:80
	v_mul_f32_e32 v3, v202, v22
	s_waitcnt lgkmcnt(2)
	v_fmac_f32_e32 v186, v3, v6
	v_mov_b32_e32 v6, v23
	v_mov_b32_e32 v7, v24
	v_pk_mul_f32 v[6:7], v[168:169], v[6:7]
	s_mov_b64 s[34:35], 0
	s_waitcnt lgkmcnt(0)
	v_pk_mul_f32 v[4:5], v[6:7], v[4:5]
	ds_bpermute_b32 v6, v182, v184 offset:84
	ds_bpermute_b32 v7, v182, v184 offset:88
	v_add_f32_e32 v3, v186, v4
	v_add_f32_e32 v3, v3, v5
	v_mov_b32_e32 v4, v25
	v_mov_b32_e32 v5, v26
	v_pk_mul_f32 v[4:5], v[170:171], v[4:5]
	s_waitcnt lgkmcnt(0)
	v_pk_mul_f32 v[4:5], v[4:5], v[6:7]
	ds_bpermute_b32 v6, v182, v184 offset:92
	ds_bpermute_b32 v7, v182, v184 offset:96
	v_add_f32_e32 v3, v3, v4
	v_add_f32_e32 v3, v3, v5
	v_mov_b32_e32 v4, v27
	v_mov_b32_e32 v5, v28
	v_pk_mul_f32 v[4:5], v[172:173], v[4:5]
	;; [unrolled: 9-line block ×5, first 2 shown]
	ds_bpermute_b32 v4, v182, v184 offset:124
	s_waitcnt lgkmcnt(1)
	v_pk_mul_f32 v[6:7], v[8:9], v[6:7]
	s_nop 0
	v_add_f32_e32 v3, v3, v6
	v_add_f32_e32 v3, v3, v7
.LBB143_73:                             ;   in Loop: Header=BB143_3 Depth=1
	s_and_b64 vcc, exec, s[34:35]
	s_cbranch_vccz .LBB143_141
; %bb.74:                               ;   in Loop: Header=BB143_3 Depth=1
	s_load_dword s9, s[24:25], 0x0
	v_mov_b32_e32 v179, 0
	v_mov_b32_e32 v178, 0
	s_waitcnt lgkmcnt(0)
	s_cmp_lt_u32 s2, s9
	s_cselect_b32 s9, 12, 18
	s_add_u32 s34, s24, s9
	s_addc_u32 s35, s25, 0
	global_load_ushort v3, v2, s[34:35]
	s_waitcnt vmcnt(0)
	v_mad_u32_u24 v3, v181, v3, v180
	v_and_b32_e32 v4, 63, v3
	v_cmp_gt_u32_e32 vcc, 32, v4
	s_and_saveexec_b64 s[34:35], vcc
	s_cbranch_execz .LBB143_78
; %bb.75:                               ;   in Loop: Header=BB143_3 Depth=1
	v_mov_b32_e32 v5, v2
	v_lshl_add_u64 v[4:5], v[166:167], 0, v[4:5]
	v_cmp_gt_i64_e32 vcc, s[12:13], v[4:5]
	v_mov_b32_e32 v178, 0
	s_and_saveexec_b64 s[36:37], vcc
	s_cbranch_execz .LBB143_77
; %bb.76:                               ;   in Loop: Header=BB143_3 Depth=1
	v_lshl_add_u64 v[4:5], v[4:5], 2, s[10:11]
	global_load_dword v178, v[4:5], off
.LBB143_77:                             ;   in Loop: Header=BB143_3 Depth=1
	s_or_b64 exec, exec, s[36:37]
.LBB143_78:                             ;   in Loop: Header=BB143_3 Depth=1
	s_or_b64 exec, exec, s[34:35]
	v_mov_b32_e32 v4, v2
	v_mov_b32_e32 v5, v2
	v_mov_b32_e32 v6, v2
	v_mov_b32_e32 v7, v2
	v_mov_b32_e32 v8, v2
	v_mov_b32_e32 v9, v2
	v_mov_b32_e32 v10, v2
	v_mov_b32_e32 v11, v2
	v_mov_b32_e32 v12, v2
	v_mov_b32_e32 v13, v2
	v_mov_b32_e32 v14, v2
	v_mov_b32_e32 v15, v2
	v_mov_b32_e32 v16, v2
	v_mov_b32_e32 v17, v2
	v_mov_b32_e32 v18, v2
	v_mov_b32_e32 v19, v2
	v_mov_b32_e32 v20, v2
	v_mov_b32_e32 v21, v2
	v_mov_b32_e32 v22, v2
	v_mov_b32_e32 v23, v2
	v_mov_b32_e32 v24, v2
	v_mov_b32_e32 v25, v2
	v_mov_b32_e32 v26, v2
	v_mov_b32_e32 v27, v2
	v_mov_b32_e32 v28, v2
	v_mov_b32_e32 v29, v2
	v_mov_b32_e32 v30, v2
	v_mov_b32_e32 v31, v2
	v_mov_b32_e32 v32, v2
	v_mov_b32_e32 v33, v2
	v_mov_b32_e32 v3, v2
	v_mov_b64_e32 v[34:35], v[32:33]
	v_mov_b64_e32 v[32:33], v[30:31]
	;; [unrolled: 1-line block ×16, first 2 shown]
	s_and_saveexec_b64 s[34:35], s[6:7]
	s_cbranch_execz .LBB143_80
; %bb.79:                               ;   in Loop: Header=BB143_3 Depth=1
	v_lshl_add_u64 v[4:5], v[40:41], 0, v[38:39]
	v_lshl_add_u64 v[6:7], v[42:43], 0, v[38:39]
	global_load_dword v4, v[4:5], off
	v_mov_b32_e32 v5, v2
	global_load_dword v179, v[6:7], off
	v_mov_b32_e32 v6, v2
	v_mov_b32_e32 v7, v2
	;; [unrolled: 1-line block ×30, first 2 shown]
.LBB143_80:                             ;   in Loop: Header=BB143_3 Depth=1
	s_or_b64 exec, exec, s[34:35]
	v_mov_b32_e32 v3, 0
	v_mov_b32_e32 v184, 0
	s_and_saveexec_b64 s[34:35], s[6:7]
	s_cbranch_execz .LBB143_82
; %bb.81:                               ;   in Loop: Header=BB143_3 Depth=1
	v_lshl_add_u64 v[166:167], v[162:163], 0, v[38:39]
	global_load_dword v5, v[166:167], off
	v_lshl_add_u64 v[166:167], v[164:165], 0, v[38:39]
	global_load_dword v184, v[166:167], off
.LBB143_82:                             ;   in Loop: Header=BB143_3 Depth=1
	s_or_b64 exec, exec, s[34:35]
	s_and_saveexec_b64 s[34:35], s[6:7]
	s_cbranch_execz .LBB143_84
; %bb.83:                               ;   in Loop: Header=BB143_3 Depth=1
	v_lshl_add_u64 v[166:167], v[158:159], 0, v[38:39]
	global_load_dword v6, v[166:167], off
	v_lshl_add_u64 v[166:167], v[160:161], 0, v[38:39]
	global_load_dword v3, v[166:167], off
.LBB143_84:                             ;   in Loop: Header=BB143_3 Depth=1
	s_or_b64 exec, exec, s[34:35]
	v_mov_b32_e32 v185, 0
	v_mov_b32_e32 v186, 0
	s_and_saveexec_b64 s[34:35], s[6:7]
	s_cbranch_execz .LBB143_86
; %bb.85:                               ;   in Loop: Header=BB143_3 Depth=1
	v_lshl_add_u64 v[166:167], v[154:155], 0, v[38:39]
	global_load_dword v7, v[166:167], off
	v_lshl_add_u64 v[166:167], v[156:157], 0, v[38:39]
	global_load_dword v186, v[166:167], off
.LBB143_86:                             ;   in Loop: Header=BB143_3 Depth=1
	s_or_b64 exec, exec, s[34:35]
	s_and_saveexec_b64 s[34:35], s[6:7]
	s_cbranch_execz .LBB143_88
; %bb.87:                               ;   in Loop: Header=BB143_3 Depth=1
	v_lshl_add_u64 v[166:167], v[150:151], 0, v[38:39]
	global_load_dword v8, v[166:167], off
	v_lshl_add_u64 v[166:167], v[152:153], 0, v[38:39]
	global_load_dword v185, v[166:167], off
.LBB143_88:                             ;   in Loop: Header=BB143_3 Depth=1
	;; [unrolled: 20-line block ×4, first 2 shown]
	s_or_b64 exec, exec, s[34:35]
	v_mov_b32_e32 v191, 0
	v_mov_b32_e32 v192, 0
	s_and_saveexec_b64 s[34:35], s[6:7]
	s_cbranch_execz .LBB143_98
; %bb.97:                               ;   in Loop: Header=BB143_3 Depth=1
	v_lshl_add_u64 v[166:167], v[130:131], 0, v[38:39]
	global_load_dword v13, v[166:167], off
	v_lshl_add_u64 v[166:167], v[132:133], 0, v[38:39]
	global_load_dword v192, v[166:167], off
.LBB143_98:                             ;   in Loop: Header=BB143_3 Depth=1
	s_or_b64 exec, exec, s[34:35]
	s_and_saveexec_b64 s[34:35], s[6:7]
	s_cbranch_execz .LBB143_100
; %bb.99:                               ;   in Loop: Header=BB143_3 Depth=1
	v_lshl_add_u64 v[166:167], v[126:127], 0, v[38:39]
	global_load_dword v14, v[166:167], off
	v_lshl_add_u64 v[166:167], v[128:129], 0, v[38:39]
	global_load_dword v191, v[166:167], off
.LBB143_100:                            ;   in Loop: Header=BB143_3 Depth=1
	s_or_b64 exec, exec, s[34:35]
	v_mov_b32_e32 v193, 0
	v_mov_b32_e32 v194, 0
	s_and_saveexec_b64 s[34:35], s[6:7]
	s_cbranch_execz .LBB143_102
; %bb.101:                              ;   in Loop: Header=BB143_3 Depth=1
	v_lshl_add_u64 v[166:167], v[122:123], 0, v[38:39]
	global_load_dword v15, v[166:167], off
	v_lshl_add_u64 v[166:167], v[124:125], 0, v[38:39]
	global_load_dword v194, v[166:167], off
.LBB143_102:                            ;   in Loop: Header=BB143_3 Depth=1
	s_or_b64 exec, exec, s[34:35]
	s_and_saveexec_b64 s[34:35], s[6:7]
	s_cbranch_execz .LBB143_104
; %bb.103:                              ;   in Loop: Header=BB143_3 Depth=1
	v_lshl_add_u64 v[166:167], v[118:119], 0, v[38:39]
	global_load_dword v16, v[166:167], off
	v_lshl_add_u64 v[166:167], v[120:121], 0, v[38:39]
	global_load_dword v193, v[166:167], off
.LBB143_104:                            ;   in Loop: Header=BB143_3 Depth=1
	s_or_b64 exec, exec, s[34:35]
	v_mov_b32_e32 v195, 0
	v_mov_b32_e32 v196, 0
	s_and_saveexec_b64 s[34:35], s[6:7]
	s_cbranch_execz .LBB143_106
; %bb.105:                              ;   in Loop: Header=BB143_3 Depth=1
	v_lshl_add_u64 v[166:167], v[114:115], 0, v[38:39]
	global_load_dword v17, v[166:167], off
	v_lshl_add_u64 v[166:167], v[116:117], 0, v[38:39]
	global_load_dword v196, v[166:167], off
.LBB143_106:                            ;   in Loop: Header=BB143_3 Depth=1
	s_or_b64 exec, exec, s[34:35]
	s_and_saveexec_b64 s[34:35], s[6:7]
	s_cbranch_execz .LBB143_108
; %bb.107:                              ;   in Loop: Header=BB143_3 Depth=1
	v_lshl_add_u64 v[166:167], v[110:111], 0, v[38:39]
	global_load_dword v18, v[166:167], off
	v_lshl_add_u64 v[166:167], v[112:113], 0, v[38:39]
	global_load_dword v195, v[166:167], off
.LBB143_108:                            ;   in Loop: Header=BB143_3 Depth=1
	;; [unrolled: 20-line block ×9, first 2 shown]
	s_or_b64 exec, exec, s[34:35]
	v_mov_b32_e32 v177, 0
	v_mov_b32_e32 v176, 0
	s_and_saveexec_b64 s[34:35], s[6:7]
	s_cbranch_execnz .LBB143_143
; %bb.137:                              ;   in Loop: Header=BB143_3 Depth=1
	s_or_b64 exec, exec, s[34:35]
	s_and_saveexec_b64 s[34:35], s[6:7]
	s_cbranch_execnz .LBB143_144
.LBB143_138:                            ;   in Loop: Header=BB143_3 Depth=1
	s_or_b64 exec, exec, s[34:35]
	v_mov_b32_e32 v201, 0
	s_and_saveexec_b64 s[34:35], s[6:7]
	s_cbranch_execz .LBB143_140
.LBB143_139:                            ;   in Loop: Header=BB143_3 Depth=1
	v_lshl_add_u64 v[202:203], v[44:45], 0, v[38:39]
	global_load_dword v35, v[202:203], off
	v_lshl_add_u64 v[202:203], v[46:47], 0, v[38:39]
	global_load_dword v201, v[202:203], off
.LBB143_140:                            ;   in Loop: Header=BB143_3 Depth=1
	s_or_b64 exec, exec, s[34:35]
	s_waitcnt vmcnt(0)
	ds_bpermute_b32 v202, v182, v178
	ds_bpermute_b32 v203, v182, v178 offset:4
	v_mul_f32_e32 v4, v179, v4
	ds_bpermute_b32 v179, v182, v178 offset:8
	v_mul_f32_e32 v5, v184, v5
	s_waitcnt lgkmcnt(2)
	v_fmac_f32_e32 v183, v4, v202
	ds_bpermute_b32 v4, v182, v178 offset:12
	s_waitcnt lgkmcnt(2)
	v_fmac_f32_e32 v183, v5, v203
	v_mul_f32_e32 v3, v3, v6
	s_waitcnt lgkmcnt(1)
	v_fmac_f32_e32 v183, v3, v179
	ds_bpermute_b32 v3, v182, v178 offset:16
	v_mul_f32_e32 v5, v186, v7
	s_waitcnt lgkmcnt(1)
	v_fmac_f32_e32 v183, v5, v4
	ds_bpermute_b32 v4, v182, v178 offset:20
	;; [unrolled: 4-line block ×14, first 2 shown]
	v_mul_f32_e32 v5, v197, v20
	ds_bpermute_b32 v6, v182, v178 offset:72
	s_waitcnt lgkmcnt(2)
	v_fmac_f32_e32 v183, v5, v3
	v_mul_f32_e32 v3, v200, v21
	s_waitcnt lgkmcnt(1)
	v_fmac_f32_e32 v183, v3, v4
	ds_bpermute_b32 v4, v182, v178 offset:76
	ds_bpermute_b32 v5, v182, v178 offset:80
	v_mul_f32_e32 v3, v199, v22
	s_waitcnt lgkmcnt(2)
	v_fmac_f32_e32 v183, v3, v6
	v_mov_b32_e32 v6, v23
	v_mov_b32_e32 v7, v24
	v_pk_mul_f32 v[6:7], v[166:167], v[6:7]
	v_mov_b32_e32 v8, v33
	s_waitcnt lgkmcnt(0)
	v_pk_mul_f32 v[4:5], v[6:7], v[4:5]
	ds_bpermute_b32 v6, v182, v178 offset:84
	ds_bpermute_b32 v7, v182, v178 offset:88
	v_add_f32_e32 v3, v183, v4
	v_add_f32_e32 v3, v3, v5
	v_mov_b32_e32 v4, v25
	v_mov_b32_e32 v5, v26
	v_pk_mul_f32 v[4:5], v[168:169], v[4:5]
	v_mov_b32_e32 v9, v34
	s_waitcnt lgkmcnt(0)
	v_pk_mul_f32 v[4:5], v[4:5], v[6:7]
	ds_bpermute_b32 v6, v182, v178 offset:92
	ds_bpermute_b32 v7, v182, v178 offset:96
	v_add_f32_e32 v3, v3, v4
	v_add_f32_e32 v3, v3, v5
	v_mov_b32_e32 v4, v27
	v_mov_b32_e32 v5, v28
	v_pk_mul_f32 v[4:5], v[170:171], v[4:5]
	v_pk_mul_f32 v[8:9], v[176:177], v[8:9]
	s_waitcnt lgkmcnt(0)
	v_pk_mul_f32 v[4:5], v[4:5], v[6:7]
	ds_bpermute_b32 v6, v182, v178 offset:100
	ds_bpermute_b32 v7, v182, v178 offset:104
	v_add_f32_e32 v3, v3, v4
	v_add_f32_e32 v3, v3, v5
	v_mov_b32_e32 v4, v29
	v_mov_b32_e32 v5, v30
	v_pk_mul_f32 v[4:5], v[172:173], v[4:5]
	s_waitcnt lgkmcnt(0)
	v_pk_mul_f32 v[4:5], v[4:5], v[6:7]
	ds_bpermute_b32 v6, v182, v178 offset:108
	ds_bpermute_b32 v7, v182, v178 offset:112
	v_add_f32_e32 v3, v3, v4
	v_add_f32_e32 v3, v3, v5
	v_mov_b32_e32 v4, v31
	v_mov_b32_e32 v5, v32
	v_pk_mul_f32 v[4:5], v[174:175], v[4:5]
	s_waitcnt lgkmcnt(0)
	v_pk_mul_f32 v[4:5], v[4:5], v[6:7]
	ds_bpermute_b32 v6, v182, v178 offset:116
	ds_bpermute_b32 v7, v182, v178 offset:120
	v_add_f32_e32 v3, v3, v4
	ds_bpermute_b32 v4, v182, v178 offset:124
	v_add_f32_e32 v3, v3, v5
	s_waitcnt lgkmcnt(1)
	v_pk_mul_f32 v[6:7], v[8:9], v[6:7]
	s_nop 0
	v_add_f32_e32 v3, v3, v6
	v_add_f32_e32 v3, v3, v7
.LBB143_141:                            ;   in Loop: Header=BB143_3 Depth=1
	v_mul_f32_e32 v5, v201, v35
	s_add_u32 s30, s30, s22
	s_waitcnt lgkmcnt(0)
	v_fmac_f32_e32 v3, v5, v4
	s_addc_u32 s31, s31, 0
	v_mov_b64_e32 v[4:5], s[12:13]
	s_add_u32 s28, s28, s22
	v_cmp_lt_i64_e32 vcc, s[30:31], v[4:5]
	v_lshl_add_u64 v[40:41], v[40:41], 0, s[26:27]
	v_lshl_add_u64 v[42:43], v[42:43], 0, s[26:27]
	;; [unrolled: 1-line block ×65, first 2 shown]
	s_addc_u32 s29, 0, s29
	s_cbranch_vccz .LBB143_146
; %bb.142:                              ;   in Loop: Header=BB143_3 Depth=1
	v_mov_b32_e32 v183, v3
	s_branch .LBB143_3
.LBB143_143:                            ;   in Loop: Header=BB143_3 Depth=1
	v_lshl_add_u64 v[202:203], v[52:53], 0, v[38:39]
	global_load_dword v33, v[202:203], off
	v_lshl_add_u64 v[202:203], v[54:55], 0, v[38:39]
	global_load_dword v176, v[202:203], off
	s_or_b64 exec, exec, s[34:35]
	s_and_saveexec_b64 s[34:35], s[6:7]
	s_cbranch_execz .LBB143_138
.LBB143_144:                            ;   in Loop: Header=BB143_3 Depth=1
	v_lshl_add_u64 v[202:203], v[48:49], 0, v[38:39]
	global_load_dword v34, v[202:203], off
	v_lshl_add_u64 v[202:203], v[50:51], 0, v[38:39]
	global_load_dword v177, v[202:203], off
	s_or_b64 exec, exec, s[34:35]
	v_mov_b32_e32 v201, 0
	s_and_saveexec_b64 s[34:35], s[6:7]
	s_cbranch_execnz .LBB143_139
	s_branch .LBB143_140
.LBB143_145:
                                        ; implicit-def: $vgpr3
	s_load_dwordx2 s[6:7], s[0:1], 0x30
	s_branch .LBB143_147
.LBB143_146:
	s_load_dwordx2 s[6:7], s[0:1], 0x30
	s_cbranch_execnz .LBB143_228
.LBB143_147:
	s_and_b64 vcc, exec, s[4:5]
	v_mov_b32_e32 v3, 0
	s_cbranch_vccnz .LBB143_228
; %bb.148:
	v_mov_b32_e32 v2, 0
	v_bfe_u32 v18, v206, 10, 10
	v_lshlrev_b32_e32 v0, 7, v18
	v_mov_b32_e32 v1, v2
	v_lshl_add_u64 v[0:1], s[20:21], 2, v[0:1]
	v_lshl_add_u64 v[8:9], v[0:1], 0, 4
	v_mov_b64_e32 v[4:5], s[16:17]
	v_mov_b64_e32 v[6:7], s[18:19]
	v_mad_u64_u32 v[90:91], s[4:5], s14, v8, v[4:5]
	v_mul_lo_u32 v3, s14, v9
	v_mul_lo_u32 v9, s15, v8
	v_lshl_add_u64 v[10:11], v[0:1], 0, 8
	v_lshl_add_u64 v[14:15], v[0:1], 0, 16
	v_mad_u64_u32 v[96:97], s[4:5], s14, v8, v[6:7]
	v_add3_u32 v91, v9, v91, v3
	v_mad_u64_u32 v[92:93], s[4:5], s14, v10, v[4:5]
	v_mul_lo_u32 v11, s14, v11
	v_mul_lo_u32 v16, s15, v10
	v_add3_u32 v97, v9, v97, v3
	v_mad_u64_u32 v[98:99], s[4:5], s14, v14, v[4:5]
	v_mad_u64_u32 v[100:101], s[4:5], s14, v10, v[6:7]
	v_mul_lo_u32 v3, s14, v15
	v_mul_lo_u32 v10, s15, v14
	v_lshl_add_u64 v[8:9], v[0:1], 0, 20
	v_mad_u64_u32 v[104:105], s[4:5], s14, v14, v[6:7]
	v_add3_u32 v93, v16, v93, v11
	v_add3_u32 v101, v16, v101, v11
	;; [unrolled: 1-line block ×4, first 2 shown]
	v_mul_lo_u32 v3, s14, v9
	v_mul_lo_u32 v9, s15, v8
	v_mad_u64_u32 v[10:11], s[4:5], s14, v8, v[4:5]
	v_add3_u32 v11, v9, v11, v3
	v_accvgpr_write_b32 a19, v11
	v_accvgpr_write_b32 a18, v10
	v_mad_u64_u32 v[10:11], s[4:5], s14, v8, v[6:7]
	v_add3_u32 v11, v9, v11, v3
	v_accvgpr_write_b32 a21, v11
	v_lshl_add_u64 v[8:9], v[0:1], 0, 24
	v_accvgpr_write_b32 a20, v10
	v_mul_lo_u32 v3, s14, v9
	v_mul_lo_u32 v9, s15, v8
	v_mad_u64_u32 v[10:11], s[4:5], s14, v8, v[4:5]
	v_add3_u32 v11, v9, v11, v3
	v_accvgpr_write_b32 a23, v11
	v_accvgpr_write_b32 a22, v10
	v_mad_u64_u32 v[10:11], s[4:5], s14, v8, v[6:7]
	v_add3_u32 v11, v9, v11, v3
	v_accvgpr_write_b32 a25, v11
	v_lshl_add_u64 v[8:9], v[0:1], 0, 28
	v_accvgpr_write_b32 a24, v10
	;; [unrolled: 11-line block ×11, first 2 shown]
	v_mul_lo_u32 v3, s14, v9
	v_mul_lo_u32 v9, s15, v8
	v_mad_u64_u32 v[10:11], s[4:5], s14, v8, v[4:5]
	v_add3_u32 v11, v9, v11, v3
	v_lshl_add_u64 v[12:13], v[0:1], 0, 12
	v_accvgpr_write_b32 a63, v11
	v_mad_u64_u32 v[94:95], s[4:5], s14, v12, v[4:5]
	v_mad_u64_u32 v[102:103], s[4:5], s14, v12, v[6:7]
	v_accvgpr_write_b32 a62, v10
	v_mad_u64_u32 v[10:11], s[4:5], s14, v8, v[6:7]
	v_add3_u32 v11, v9, v11, v3
	s_mov_b64 s[4:5], 0x44
	v_accvgpr_write_b32 a65, v11
	v_lshl_add_u64 v[8:9], v[0:1], 0, s[4:5]
	v_accvgpr_write_b32 a64, v10
	v_mul_lo_u32 v3, s14, v9
	v_mul_lo_u32 v9, s15, v8
	v_mad_u64_u32 v[10:11], s[4:5], s14, v8, v[4:5]
	v_add3_u32 v11, v9, v11, v3
	v_accvgpr_write_b32 a67, v11
	v_accvgpr_write_b32 a66, v10
	v_mad_u64_u32 v[10:11], s[4:5], s14, v8, v[6:7]
	v_add3_u32 v11, v9, v11, v3
	s_mov_b64 s[4:5], 0x48
	v_accvgpr_write_b32 a69, v11
	v_lshl_add_u64 v[8:9], v[0:1], 0, s[4:5]
	v_accvgpr_write_b32 a68, v10
	v_mad_u64_u32 v[10:11], s[4:5], s14, v8, v[4:5]
	v_mad_u64_u32 v[106:107], s[4:5], s14, v8, v[6:7]
	v_mul_lo_u32 v3, s14, v9
	v_mul_lo_u32 v9, s15, v8
	s_mov_b64 s[4:5], 0x4c
	v_add3_u32 v11, v9, v11, v3
	v_add3_u32 v107, v9, v107, v3
	v_lshl_add_u64 v[8:9], v[0:1], 0, s[4:5]
	v_mad_u64_u32 v[108:109], s[4:5], s14, v8, v[4:5]
	v_mad_u64_u32 v[110:111], s[4:5], s14, v8, v[6:7]
	v_mul_lo_u32 v3, s14, v9
	v_mul_lo_u32 v9, s15, v8
	s_mov_b64 s[4:5], 0x50
	v_add3_u32 v109, v9, v109, v3
	v_add3_u32 v111, v9, v111, v3
	v_lshl_add_u64 v[8:9], v[0:1], 0, s[4:5]
	;; [unrolled: 8-line block ×12, first 2 shown]
	v_mad_u64_u32 v[152:153], s[4:5], s14, v8, v[4:5]
	v_mad_u64_u32 v[154:155], s[4:5], s14, v8, v[6:7]
	s_mov_b64 s[4:5], 0x7c
	s_nop 0
	v_lshl_add_u64 v[0:1], v[0:1], 0, s[4:5]
	v_lshlrev_b32_e32 v160, 5, v18
	v_mov_b32_e32 v161, v2
	v_mad_u64_u32 v[156:157], s[4:5], s14, v0, v[4:5]
	v_mad_u64_u32 v[158:159], s[4:5], s14, v0, v[6:7]
	v_mul_lo_u32 v1, s14, v1
	v_mul_lo_u32 v0, s15, v0
	v_lshl_add_u64 v[6:7], v[160:161], 0, s[20:21]
	v_mul_lo_u32 v3, s14, v9
	v_mul_lo_u32 v9, s15, v8
	v_add3_u32 v157, v0, v157, v1
	v_add3_u32 v159, v0, v159, v1
	v_lshl_add_u64 v[0:1], v[6:7], 0, 31
	v_add3_u32 v153, v9, v153, v3
	v_add3_u32 v155, v9, v155, v3
	v_mul_lo_u32 v3, s15, v0
	v_mul_lo_u32 v4, s14, v1
	v_mad_u64_u32 v[0:1], s[4:5], s14, v0, 0
	v_add3_u32 v1, v1, v4, v3
	v_lshl_add_u64 v[4:5], v[6:7], 0, 30
	v_mul_lo_u32 v3, s15, v4
	v_mul_lo_u32 v8, s14, v5
	v_mad_u64_u32 v[4:5], s[4:5], s14, v4, 0
	v_accvgpr_write_b32 a71, v11
	v_add3_u32 v5, v5, v8, v3
	v_lshl_add_u64 v[8:9], v[6:7], 0, 29
	v_accvgpr_write_b32 a70, v10
	v_mul_lo_u32 v3, s15, v8
	v_mul_lo_u32 v10, s14, v9
	v_mad_u64_u32 v[8:9], s[4:5], s14, v8, 0
	v_add3_u32 v9, v9, v10, v3
	v_lshl_add_u64 v[10:11], v[6:7], 0, 28
	v_mul_lo_u32 v13, s14, v13
	v_mul_lo_u32 v17, s15, v12
	;; [unrolled: 1-line block ×4, first 2 shown]
	v_mad_u64_u32 v[10:11], s[4:5], s14, v10, 0
	v_add3_u32 v95, v17, v95, v13
	v_add3_u32 v103, v17, v103, v13
	;; [unrolled: 1-line block ×3, first 2 shown]
	v_lshl_add_u64 v[12:13], v[6:7], 0, 27
	v_mul_lo_u32 v3, s15, v12
	v_mul_lo_u32 v14, s14, v13
	v_mad_u64_u32 v[12:13], s[4:5], s14, v12, 0
	v_add3_u32 v13, v13, v14, v3
	v_lshl_add_u64 v[14:15], v[6:7], 0, 26
	v_mul_lo_u32 v3, s15, v14
	v_mul_lo_u32 v16, s14, v15
	v_mad_u64_u32 v[14:15], s[4:5], s14, v14, 0
	v_add3_u32 v15, v15, v16, v3
	v_lshl_add_u64 v[16:17], v[6:7], 0, 25
	v_accvgpr_write_b32 a1, v18
	v_mul_lo_u32 v3, s15, v16
	v_mul_lo_u32 v18, s14, v17
	v_mad_u64_u32 v[16:17], s[4:5], s14, v16, 0
	v_add3_u32 v17, v17, v18, v3
	v_lshl_add_u64 v[18:19], v[6:7], 0, 24
	v_mul_lo_u32 v3, s15, v18
	v_mul_lo_u32 v20, s14, v19
	v_mad_u64_u32 v[18:19], s[4:5], s14, v18, 0
	v_add3_u32 v19, v19, v20, v3
	v_lshl_add_u64 v[20:21], v[6:7], 0, 23
	;; [unrolled: 5-line block ×20, first 2 shown]
	v_lshlrev_b64 v[0:1], 2, v[0:1]
	v_mul_lo_u32 v3, s15, v56
	v_mul_lo_u32 v58, s14, v57
	v_mad_u64_u32 v[56:57], s[4:5], s14, v56, 0
	v_lshl_add_u64 v[168:169], s[16:17], 0, v[0:1]
	v_lshl_add_u64 v[170:171], s[18:19], 0, v[0:1]
	v_lshlrev_b64 v[0:1], 2, v[4:5]
	v_add3_u32 v57, v57, v58, v3
	v_lshl_add_u64 v[58:59], v[6:7], 0, 4
	v_lshl_add_u64 v[172:173], s[16:17], 0, v[0:1]
	v_lshl_add_u64 v[174:175], s[18:19], 0, v[0:1]
	v_lshlrev_b64 v[0:1], 2, v[8:9]
	v_mul_lo_u32 v3, s15, v58
	v_mul_lo_u32 v60, s14, v59
	v_mad_u64_u32 v[58:59], s[4:5], s14, v58, 0
	v_lshl_add_u64 v[176:177], s[16:17], 0, v[0:1]
	v_lshl_add_u64 v[178:179], s[18:19], 0, v[0:1]
	v_lshlrev_b64 v[0:1], 2, v[10:11]
	v_add3_u32 v59, v59, v60, v3
	v_lshl_add_u64 v[60:61], v[6:7], 0, 3
	v_lshl_add_u64 v[180:181], s[16:17], 0, v[0:1]
	v_lshl_add_u64 v[182:183], s[18:19], 0, v[0:1]
	;; [unrolled: 11-line block ×3, first 2 shown]
	v_lshlrev_b64 v[0:1], 2, v[16:17]
	v_mul_lo_u32 v3, s15, v62
	v_mul_lo_u32 v64, s14, v63
	v_mad_u64_u32 v[62:63], s[4:5], s14, v62, 0
	v_lshl_add_u64 v[192:193], s[16:17], 0, v[0:1]
	v_lshl_add_u64 v[194:195], s[18:19], 0, v[0:1]
	v_lshlrev_b64 v[0:1], 2, v[18:19]
	v_add3_u32 v63, v63, v64, v3
	v_mov_b64_e32 v[64:65], s[14:15]
	v_lshl_add_u64 v[196:197], s[16:17], 0, v[0:1]
	v_lshl_add_u64 v[198:199], s[18:19], 0, v[0:1]
	v_lshlrev_b64 v[0:1], 2, v[20:21]
	v_mad_u64_u32 v[66:67], s[4:5], s14, v6, v[64:65]
	v_mul_lo_u32 v3, s15, v6
	v_mul_lo_u32 v64, s14, v7
	v_mad_u64_u32 v[6:7], s[4:5], s14, v6, 0
	v_lshl_add_u64 v[200:201], s[16:17], 0, v[0:1]
	v_lshl_add_u64 v[202:203], s[18:19], 0, v[0:1]
	v_lshlrev_b64 v[0:1], 2, v[22:23]
	v_add3_u32 v7, v7, v64, v3
	v_add3_u32 v67, v3, v67, v64
	v_accvgpr_write_b32 a0, v206
	v_and_b32_e32 v3, 0x3ff, v206
	v_lshl_add_u64 v[204:205], s[16:17], 0, v[0:1]
	v_lshl_add_u64 v[206:207], s[18:19], 0, v[0:1]
	v_lshlrev_b64 v[0:1], 2, v[24:25]
	v_lshl_add_u64 v[208:209], s[16:17], 0, v[0:1]
	v_lshl_add_u64 v[210:211], s[18:19], 0, v[0:1]
	v_lshlrev_b64 v[0:1], 2, v[26:27]
	;; [unrolled: 3-line block ×9, first 2 shown]
	s_load_dword s4, s[0:1], 0x44
	v_lshl_add_u64 v[240:241], s[16:17], 0, v[0:1]
	v_lshl_add_u64 v[242:243], s[18:19], 0, v[0:1]
	v_lshlrev_b64 v[0:1], 2, v[42:43]
	v_lshlrev_b64 v[4:5], 2, v[50:51]
	v_lshl_add_u64 v[244:245], s[16:17], 0, v[0:1]
	v_lshl_add_u64 v[246:247], s[18:19], 0, v[0:1]
	v_lshlrev_b64 v[0:1], 2, v[44:45]
	v_lshl_add_u64 v[38:39], s[16:17], 0, v[4:5]
	v_lshl_add_u64 v[40:41], s[18:19], 0, v[4:5]
	;; [unrolled: 3-line block ×6, first 2 shown]
	v_lshlrev_b64 v[4:5], 2, v[56:57]
	s_add_u32 s22, s0, 64
	v_lshl_add_u64 v[50:51], s[16:17], 0, v[4:5]
	v_lshl_add_u64 v[52:53], s[18:19], 0, v[4:5]
	v_lshlrev_b64 v[4:5], 2, v[58:59]
	v_accvgpr_write_b32 a72, v3
	v_add_u32_e32 v64, s3, v3
	s_addc_u32 s23, s1, 0
	s_waitcnt lgkmcnt(0)
	s_lshl_b32 s4, s4, 5
	v_lshl_add_u64 v[54:55], s[16:17], 0, v[4:5]
	v_lshl_add_u64 v[56:57], s[18:19], 0, v[4:5]
	v_lshlrev_b64 v[4:5], 2, v[60:61]
	v_mbcnt_lo_u32_b32 v3, -1, 0
	v_mov_b32_e32 v65, v2
	s_mul_i32 s3, s15, s4
	s_mul_hi_u32 s9, s14, s4
	v_lshl_add_u64 v[58:59], s[16:17], 0, v[4:5]
	v_lshl_add_u64 v[60:61], s[18:19], 0, v[4:5]
	v_lshlrev_b64 v[4:5], 2, v[62:63]
	v_mbcnt_hi_u32_b32 v3, -1, v3
	v_lshlrev_b64 v[162:163], 2, v[64:65]
	v_lshlrev_b64 v[6:7], 2, v[6:7]
	s_add_i32 s25, s9, s3
	s_mul_i32 s24, s14, s4
	v_lshl_add_u64 v[62:63], s[16:17], 0, v[4:5]
	v_lshl_add_u64 v[64:65], s[18:19], 0, v[4:5]
	v_lshlrev_b64 v[4:5], 2, v[66:67]
	v_lshlrev_b32_e32 v3, 2, v3
	s_mov_b32 s5, 0
	s_lshl_b64 s[24:25], s[24:25], 2
	v_lshl_add_u64 v[164:165], s[16:17], 0, v[6:7]
	v_lshl_add_u64 v[166:167], s[18:19], 0, v[6:7]
	s_mov_b64 s[26:27], 31
	v_lshl_add_u64 v[36:37], s[16:17], 0, v[0:1]
	v_lshl_add_u64 v[0:1], s[18:19], 0, v[0:1]
	;; [unrolled: 1-line block ×4, first 2 shown]
	v_and_b32_e32 v84, 0x100, v3
	s_mov_b64 s[16:17], s[20:21]
	v_mov_b32_e32 v85, 0
.LBB143_149:                            ; =>This Inner Loop Header: Depth=1
	s_add_u32 s18, s20, s26
	s_addc_u32 s19, 0, s27
	v_mov_b64_e32 v[4:5], s[12:13]
	v_cmp_ge_i64_e32 vcc, s[18:19], v[4:5]
	v_lshl_add_u64 v[70:71], s[20:21], 0, v[160:161]
	s_mov_b64 s[18:19], -1
                                        ; implicit-def: $vgpr3
	s_cbranch_vccz .LBB143_219
; %bb.150:                              ;   in Loop: Header=BB143_149 Depth=1
	s_load_dword s3, s[22:23], 0xc
	v_accvgpr_read_b32 v3, a1
	v_accvgpr_read_b32 v4, a72
	v_accvgpr_write_b32 a2, 0
	v_mov_b32_e32 v86, 0
	s_waitcnt lgkmcnt(0)
	s_and_b32 s3, s3, 0xffff
	v_mad_u32_u24 v3, v3, s3, v4
	v_and_b32_e32 v4, 63, v3
	v_cmp_gt_u32_e32 vcc, 32, v4
	s_and_saveexec_b64 s[18:19], vcc
	s_cbranch_execz .LBB143_154
; %bb.151:                              ;   in Loop: Header=BB143_149 Depth=1
	v_mov_b32_e32 v5, v2
	v_lshl_add_u64 v[4:5], v[70:71], 0, v[4:5]
	v_cmp_gt_i64_e32 vcc, s[12:13], v[4:5]
	v_mov_b32_e32 v86, 0
	s_and_saveexec_b64 s[28:29], vcc
	s_cbranch_execz .LBB143_153
; %bb.152:                              ;   in Loop: Header=BB143_149 Depth=1
	v_lshl_add_u64 v[4:5], v[4:5], 2, s[10:11]
	global_load_dword v86, v[4:5], off
.LBB143_153:                            ;   in Loop: Header=BB143_149 Depth=1
	s_or_b64 exec, exec, s[28:29]
.LBB143_154:                            ;   in Loop: Header=BB143_149 Depth=1
	s_or_b64 exec, exec, s[18:19]
	v_mov_b32_e32 v4, v2
	v_mov_b32_e32 v5, v2
	;; [unrolled: 1-line block ×31, first 2 shown]
	v_mov_b64_e32 v[34:35], v[32:33]
	v_cmp_gt_i64_e32 vcc, s[12:13], v[70:71]
	v_mov_b64_e32 v[32:33], v[30:31]
	v_mov_b64_e32 v[30:31], v[28:29]
	;; [unrolled: 1-line block ×15, first 2 shown]
	s_and_saveexec_b64 s[18:19], vcc
	s_cbranch_execz .LBB143_156
; %bb.155:                              ;   in Loop: Header=BB143_149 Depth=1
	v_lshl_add_u64 v[4:5], v[164:165], 0, v[162:163]
	v_lshl_add_u64 v[6:7], v[166:167], 0, v[162:163]
	global_load_dword v4, v[4:5], off
	v_mov_b32_e32 v5, v2
	global_load_dword a2, v[6:7], off
	v_mov_b32_e32 v6, v2
	v_mov_b32_e32 v7, v2
	;; [unrolled: 1-line block ×30, first 2 shown]
.LBB143_156:                            ;   in Loop: Header=BB143_149 Depth=1
	s_or_b64 exec, exec, s[18:19]
	v_lshl_add_u64 v[72:73], v[70:71], 0, 1
	v_cmp_gt_i64_e32 vcc, s[12:13], v[72:73]
	v_accvgpr_write_b32 a3, 0
	v_accvgpr_write_b32 a4, 0
	s_and_saveexec_b64 s[18:19], vcc
	s_cbranch_execz .LBB143_158
; %bb.157:                              ;   in Loop: Header=BB143_149 Depth=1
	v_lshl_add_u64 v[72:73], v[66:67], 0, v[162:163]
	global_load_dword v5, v[72:73], off
	v_lshl_add_u64 v[72:73], v[68:69], 0, v[162:163]
	global_load_dword a4, v[72:73], off
.LBB143_158:                            ;   in Loop: Header=BB143_149 Depth=1
	s_or_b64 exec, exec, s[18:19]
	v_lshl_add_u64 v[72:73], v[70:71], 0, 2
	v_cmp_gt_i64_e32 vcc, s[12:13], v[72:73]
	s_and_saveexec_b64 s[18:19], vcc
	s_cbranch_execz .LBB143_160
; %bb.159:                              ;   in Loop: Header=BB143_149 Depth=1
	v_lshl_add_u64 v[72:73], v[62:63], 0, v[162:163]
	global_load_dword v6, v[72:73], off
	v_lshl_add_u64 v[72:73], v[64:65], 0, v[162:163]
	global_load_dword a3, v[72:73], off
.LBB143_160:                            ;   in Loop: Header=BB143_149 Depth=1
	s_or_b64 exec, exec, s[18:19]
	v_lshl_add_u64 v[72:73], v[70:71], 0, 3
	v_cmp_gt_i64_e32 vcc, s[12:13], v[72:73]
	v_accvgpr_write_b32 a5, 0
	v_accvgpr_write_b32 a7, 0
	s_and_saveexec_b64 s[18:19], vcc
	s_cbranch_execz .LBB143_162
; %bb.161:                              ;   in Loop: Header=BB143_149 Depth=1
	v_lshl_add_u64 v[72:73], v[58:59], 0, v[162:163]
	global_load_dword v7, v[72:73], off
	v_lshl_add_u64 v[72:73], v[60:61], 0, v[162:163]
	global_load_dword a7, v[72:73], off
.LBB143_162:                            ;   in Loop: Header=BB143_149 Depth=1
	s_or_b64 exec, exec, s[18:19]
	v_lshl_add_u64 v[72:73], v[70:71], 0, 4
	v_cmp_gt_i64_e32 vcc, s[12:13], v[72:73]
	s_and_saveexec_b64 s[18:19], vcc
	s_cbranch_execz .LBB143_164
; %bb.163:                              ;   in Loop: Header=BB143_149 Depth=1
	v_lshl_add_u64 v[72:73], v[54:55], 0, v[162:163]
	global_load_dword v8, v[72:73], off
	v_lshl_add_u64 v[72:73], v[56:57], 0, v[162:163]
	global_load_dword a5, v[72:73], off
.LBB143_164:                            ;   in Loop: Header=BB143_149 Depth=1
	;; [unrolled: 24-line block ×8, first 2 shown]
	s_or_b64 exec, exec, s[18:19]
	v_lshl_add_u64 v[72:73], v[70:71], 0, 17
	v_cmp_gt_i64_e32 vcc, s[12:13], v[72:73]
	v_accvgpr_write_b32 a73, 0
	v_mov_b32_e32 v87, 0
	s_and_saveexec_b64 s[18:19], vcc
	s_cbranch_execz .LBB143_190
; %bb.189:                              ;   in Loop: Header=BB143_149 Depth=1
	v_lshl_add_u64 v[72:73], v[224:225], 0, v[162:163]
	global_load_dword v21, v[72:73], off
	v_lshl_add_u64 v[72:73], v[226:227], 0, v[162:163]
	global_load_dword v87, v[72:73], off
.LBB143_190:                            ;   in Loop: Header=BB143_149 Depth=1
	s_or_b64 exec, exec, s[18:19]
	v_lshl_add_u64 v[72:73], v[70:71], 0, 18
	v_cmp_gt_i64_e32 vcc, s[12:13], v[72:73]
	s_and_saveexec_b64 s[18:19], vcc
	s_cbranch_execz .LBB143_192
; %bb.191:                              ;   in Loop: Header=BB143_149 Depth=1
	v_lshl_add_u64 v[72:73], v[220:221], 0, v[162:163]
	global_load_dword v22, v[72:73], off
	v_lshl_add_u64 v[72:73], v[222:223], 0, v[162:163]
	global_load_dword a73, v[72:73], off
.LBB143_192:                            ;   in Loop: Header=BB143_149 Depth=1
	s_or_b64 exec, exec, s[18:19]
	v_lshl_add_u64 v[72:73], v[70:71], 0, 19
	v_cmp_gt_i64_e32 vcc, s[12:13], v[72:73]
	v_mov_b32_e32 v72, 0
	v_mov_b32_e32 v3, 0
	s_and_saveexec_b64 s[18:19], vcc
	s_cbranch_execz .LBB143_194
; %bb.193:                              ;   in Loop: Header=BB143_149 Depth=1
	v_lshl_add_u64 v[74:75], v[216:217], 0, v[162:163]
	global_load_dword v23, v[74:75], off
	v_lshl_add_u64 v[74:75], v[218:219], 0, v[162:163]
	global_load_dword v3, v[74:75], off
.LBB143_194:                            ;   in Loop: Header=BB143_149 Depth=1
	s_or_b64 exec, exec, s[18:19]
	v_lshl_add_u64 v[74:75], v[70:71], 0, 20
	v_cmp_gt_i64_e32 vcc, s[12:13], v[74:75]
	s_and_saveexec_b64 s[18:19], vcc
	s_cbranch_execz .LBB143_196
; %bb.195:                              ;   in Loop: Header=BB143_149 Depth=1
	v_lshl_add_u64 v[72:73], v[212:213], 0, v[162:163]
	global_load_dword v24, v[72:73], off
	v_lshl_add_u64 v[72:73], v[214:215], 0, v[162:163]
	global_load_dword v72, v[72:73], off
.LBB143_196:                            ;   in Loop: Header=BB143_149 Depth=1
	s_or_b64 exec, exec, s[18:19]
	v_lshl_add_u64 v[74:75], v[70:71], 0, 21
	v_cmp_gt_i64_e32 vcc, s[12:13], v[74:75]
	v_mov_b32_e32 v74, 0
	;; [unrolled: 24-line block ×7, first 2 shown]
	s_and_saveexec_b64 s[18:19], vcc
	s_cbranch_execz .LBB143_218
; %bb.217:                              ;   in Loop: Header=BB143_149 Depth=1
	v_lshl_add_u64 v[88:89], v[168:169], 0, v[162:163]
	global_load_dword v35, v[88:89], off
	v_lshl_add_u64 v[88:89], v[170:171], 0, v[162:163]
	global_load_dword v83, v[88:89], off
.LBB143_218:                            ;   in Loop: Header=BB143_149 Depth=1
	s_or_b64 exec, exec, s[18:19]
	s_waitcnt vmcnt(0)
	ds_bpermute_b32 v88, v84, v86
	v_accvgpr_read_b32 v89, a2
	v_mul_f32_e32 v4, v89, v4
	v_accvgpr_read_b32 v89, a4
	v_mul_f32_e32 v5, v89, v5
	s_waitcnt lgkmcnt(0)
	v_fma_f32 v88, v4, v88, v85
	ds_bpermute_b32 v4, v84, v86 offset:4
	v_mul_f32_e32 v3, v3, v23
	s_mov_b64 s[18:19], 0
	s_waitcnt lgkmcnt(0)
	v_fmac_f32_e32 v88, v5, v4
	ds_bpermute_b32 v4, v84, v86 offset:8
	v_accvgpr_read_b32 v5, a3
	v_mul_f32_e32 v5, v5, v6
	s_waitcnt lgkmcnt(0)
	v_fmac_f32_e32 v88, v5, v4
	ds_bpermute_b32 v4, v84, v86 offset:12
	v_accvgpr_read_b32 v5, a7
	v_mul_f32_e32 v5, v5, v7
	v_pk_mul_f32 v[6:7], v[72:73], v[24:25]
	s_waitcnt lgkmcnt(0)
	v_fmac_f32_e32 v88, v5, v4
	ds_bpermute_b32 v4, v84, v86 offset:16
	v_accvgpr_read_b32 v5, a5
	v_mul_f32_e32 v5, v5, v8
	s_waitcnt lgkmcnt(0)
	v_fmac_f32_e32 v88, v5, v4
	ds_bpermute_b32 v4, v84, v86 offset:20
	v_accvgpr_read_b32 v5, a9
	v_mul_f32_e32 v5, v5, v9
	;; [unrolled: 5-line block ×13, first 2 shown]
	s_waitcnt lgkmcnt(0)
	v_fmac_f32_e32 v88, v5, v4
	ds_bpermute_b32 v4, v84, v86 offset:68
	v_mul_f32_e32 v5, v87, v21
	s_waitcnt lgkmcnt(0)
	v_fmac_f32_e32 v88, v5, v4
	ds_bpermute_b32 v4, v84, v86 offset:72
	v_accvgpr_read_b32 v5, a73
	v_mul_f32_e32 v5, v5, v22
	s_waitcnt lgkmcnt(0)
	v_fmac_f32_e32 v88, v5, v4
	ds_bpermute_b32 v4, v84, v86 offset:76
	ds_bpermute_b32 v5, v84, v86 offset:84
	s_waitcnt lgkmcnt(1)
	v_fmac_f32_e32 v88, v3, v4
	ds_bpermute_b32 v4, v84, v86 offset:80
	s_waitcnt lgkmcnt(0)
	v_pk_mul_f32 v[4:5], v[6:7], v[4:5]
	s_nop 0
	v_add_f32_e32 v3, v88, v4
	v_add_f32_e32 v3, v3, v5
	ds_bpermute_b32 v4, v84, v86 offset:88
	ds_bpermute_b32 v5, v84, v86 offset:92
	v_pk_mul_f32 v[6:7], v[74:75], v[26:27]
	s_waitcnt lgkmcnt(0)
	v_pk_mul_f32 v[4:5], v[6:7], v[4:5]
	s_nop 0
	v_add_f32_e32 v3, v3, v4
	v_add_f32_e32 v3, v3, v5
	ds_bpermute_b32 v4, v84, v86 offset:96
	ds_bpermute_b32 v5, v84, v86 offset:100
	v_pk_mul_f32 v[6:7], v[76:77], v[28:29]
	;; [unrolled: 8-line block ×5, first 2 shown]
	s_waitcnt lgkmcnt(0)
	v_pk_mul_f32 v[4:5], v[6:7], v[4:5]
	s_nop 0
	v_add_f32_e32 v3, v3, v4
	v_add_f32_e32 v3, v3, v5
.LBB143_219:                            ;   in Loop: Header=BB143_149 Depth=1
	s_and_b64 vcc, exec, s[18:19]
	s_cbranch_vccz .LBB143_225
; %bb.220:                              ;   in Loop: Header=BB143_149 Depth=1
	s_load_dword s3, s[22:23], 0x0
	v_accvgpr_read_b32 v4, a1
	v_accvgpr_read_b32 v5, a72
	s_waitcnt lgkmcnt(0)
	s_cmp_lt_u32 s2, s3
	s_cselect_b32 s3, 12, 18
	s_add_u32 s18, s22, s3
	s_addc_u32 s19, s23, 0
	global_load_ushort v3, v2, s[18:19]
	s_waitcnt vmcnt(0)
	v_mad_u32_u24 v3, v4, v3, v5
	v_and_b32_e32 v4, 63, v3
	v_cmp_gt_u32_e32 vcc, 32, v4
	v_mov_b32_e32 v3, 0
	s_and_saveexec_b64 s[18:19], vcc
	s_cbranch_execz .LBB143_224
; %bb.221:                              ;   in Loop: Header=BB143_149 Depth=1
	v_mov_b32_e32 v5, v2
	v_lshl_add_u64 v[4:5], v[70:71], 0, v[4:5]
	v_cmp_gt_i64_e32 vcc, s[12:13], v[4:5]
	v_mov_b32_e32 v3, 0
	s_and_saveexec_b64 s[28:29], vcc
	s_cbranch_execz .LBB143_223
; %bb.222:                              ;   in Loop: Header=BB143_149 Depth=1
	v_lshl_add_u64 v[4:5], v[4:5], 2, s[10:11]
	global_load_dword v3, v[4:5], off
.LBB143_223:                            ;   in Loop: Header=BB143_149 Depth=1
	s_or_b64 exec, exec, s[28:29]
.LBB143_224:                            ;   in Loop: Header=BB143_149 Depth=1
	s_or_b64 exec, exec, s[18:19]
	v_lshl_add_u64 v[4:5], v[164:165], 0, v[162:163]
	global_load_dword v30, v[4:5], off
	v_lshl_add_u64 v[4:5], v[166:167], 0, v[162:163]
	global_load_dword v31, v[4:5], off
	;; [unrolled: 2-line block ×10, first 2 shown]
	v_accvgpr_read_b32 v4, a18
	v_accvgpr_read_b32 v5, a19
	v_lshl_add_u64 v[4:5], v[4:5], 0, v[162:163]
	global_load_dword v74, v[4:5], off
	v_accvgpr_read_b32 v4, a20
	v_accvgpr_read_b32 v5, a21
	v_lshl_add_u64 v[4:5], v[4:5], 0, v[162:163]
	global_load_dword v75, v[4:5], off
	;; [unrolled: 4-line block ×14, first 2 shown]
	v_accvgpr_read_b32 v4, a46
	v_accvgpr_read_b32 v5, a47
	v_lshl_add_u64 v[4:5], v[4:5], 0, v[162:163]
	v_accvgpr_write_b32 a2, v90
	v_accvgpr_write_b32 a3, v91
	global_load_dword v90, v[4:5], off
	v_accvgpr_read_b32 v4, a48
	v_accvgpr_read_b32 v5, a49
	v_lshl_add_u64 v[4:5], v[4:5], 0, v[162:163]
	global_load_dword v91, v[4:5], off
	v_accvgpr_read_b32 v4, a50
	v_accvgpr_read_b32 v5, a51
	v_lshl_add_u64 v[4:5], v[4:5], 0, v[162:163]
	v_accvgpr_write_b32 a4, v92
	v_accvgpr_write_b32 a5, v93
	global_load_dword v92, v[4:5], off
	v_accvgpr_read_b32 v4, a52
	v_accvgpr_read_b32 v5, a53
	v_lshl_add_u64 v[4:5], v[4:5], 0, v[162:163]
	global_load_dword v93, v[4:5], off
	;; [unrolled: 10-line block ×6, first 2 shown]
	v_accvgpr_read_b32 v4, a70
	v_accvgpr_read_b32 v5, a71
	v_lshl_add_u64 v[4:5], v[4:5], 0, v[162:163]
	v_accvgpr_write_b32 a14, v102
	v_accvgpr_write_b32 a15, v103
	global_load_dword v102, v[4:5], off
	v_lshl_add_u64 v[4:5], v[106:107], 0, v[162:163]
	global_load_dword v103, v[4:5], off
	v_lshl_add_u64 v[4:5], v[108:109], 0, v[162:163]
	v_accvgpr_write_b32 a16, v104
	v_accvgpr_write_b32 a17, v105
	global_load_dword v104, v[4:5], off
	v_lshl_add_u64 v[4:5], v[110:111], 0, v[162:163]
	global_load_dword v105, v[4:5], off
	v_lshl_add_u64 v[4:5], v[112:113], 0, v[162:163]
	;; [unrolled: 2-line block ×22, first 2 shown]
	v_lshl_add_u64 v[28:29], v[156:157], 0, v[162:163]
	global_load_dword v4, v[4:5], off
	v_lshl_add_u64 v[6:7], v[154:155], 0, v[162:163]
	global_load_dword v5, v[28:29], off
	;; [unrolled: 2-line block ×3, first 2 shown]
	s_waitcnt vmcnt(19)
	v_pk_mul_f32 v[24:25], v[24:25], v[26:27]
	global_load_dword v7, v[28:29], off
	ds_bpermute_b32 v28, v84, v3
	v_mul_f32_e32 v29, v30, v31
	s_waitcnt lgkmcnt(0)
	v_fmac_f32_e32 v85, v29, v28
	ds_bpermute_b32 v28, v84, v3 offset:4
	v_mul_f32_e32 v29, v32, v33
	s_waitcnt vmcnt(16)
	v_pk_mul_f32 v[20:21], v[20:21], v[22:23]
	s_waitcnt lgkmcnt(0)
	v_fmac_f32_e32 v85, v29, v28
	ds_bpermute_b32 v28, v84, v3 offset:8
	v_mul_f32_e32 v29, v34, v35
	s_waitcnt vmcnt(12)
	v_pk_mul_f32 v[16:17], v[16:17], v[18:19]
	;; [unrolled: 6-line block ×3, first 2 shown]
	s_waitcnt lgkmcnt(0)
	v_fmac_f32_e32 v85, v29, v28
	ds_bpermute_b32 v28, v84, v3 offset:16
	v_mul_f32_e32 v29, v72, v73
	s_waitcnt lgkmcnt(0)
	v_fmac_f32_e32 v85, v29, v28
	ds_bpermute_b32 v28, v84, v3 offset:20
	v_mul_f32_e32 v29, v74, v75
	s_waitcnt vmcnt(4)
	v_pk_mul_f32 v[8:9], v[8:9], v[10:11]
	s_waitcnt lgkmcnt(0)
	v_fmac_f32_e32 v85, v29, v28
	ds_bpermute_b32 v28, v84, v3 offset:24
	v_mul_f32_e32 v29, v76, v77
	s_waitcnt lgkmcnt(0)
	v_fmac_f32_e32 v85, v29, v28
	ds_bpermute_b32 v28, v84, v3 offset:28
	v_mul_f32_e32 v29, v78, v79
	;; [unrolled: 4-line block ×7, first 2 shown]
	v_accvgpr_read_b32 v91, a3
	v_accvgpr_read_b32 v90, a2
	s_waitcnt lgkmcnt(0)
	v_fmac_f32_e32 v85, v29, v28
	ds_bpermute_b32 v28, v84, v3 offset:52
	v_mul_f32_e32 v29, v92, v93
	s_waitcnt vmcnt(0)
	v_pk_mul_f32 v[4:5], v[4:5], v[6:7]
	v_accvgpr_read_b32 v93, a5
	v_accvgpr_read_b32 v92, a4
	s_waitcnt lgkmcnt(0)
	v_fmac_f32_e32 v85, v29, v28
	ds_bpermute_b32 v28, v84, v3 offset:56
	v_mul_f32_e32 v29, v94, v95
	v_accvgpr_read_b32 v95, a7
	v_accvgpr_read_b32 v94, a6
	s_waitcnt lgkmcnt(0)
	v_fmac_f32_e32 v85, v29, v28
	ds_bpermute_b32 v28, v84, v3 offset:60
	v_mul_f32_e32 v29, v96, v97
	;; [unrolled: 6-line block ×6, first 2 shown]
	v_accvgpr_read_b32 v105, a17
	v_accvgpr_read_b32 v104, a16
	s_waitcnt lgkmcnt(0)
	v_fmac_f32_e32 v85, v29, v28
	ds_bpermute_b32 v28, v84, v3 offset:80
	ds_bpermute_b32 v29, v84, v3 offset:84
	s_waitcnt lgkmcnt(0)
	v_pk_mul_f32 v[24:25], v[24:25], v[28:29]
	s_nop 0
	v_add_f32_e32 v24, v85, v24
	v_add_f32_e32 v26, v24, v25
	ds_bpermute_b32 v24, v84, v3 offset:88
	ds_bpermute_b32 v25, v84, v3 offset:92
	s_waitcnt lgkmcnt(0)
	v_pk_mul_f32 v[20:21], v[20:21], v[24:25]
	s_nop 0
	v_add_f32_e32 v20, v26, v20
	v_add_f32_e32 v22, v20, v21
	;; [unrolled: 7-line block ×6, first 2 shown]
.LBB143_225:                            ;   in Loop: Header=BB143_149 Depth=1
	s_add_u32 s16, s16, s4
	s_addc_u32 s17, s17, 0
	v_mov_b64_e32 v[4:5], s[12:13]
	v_cmp_ge_i64_e32 vcc, s[16:17], v[4:5]
	v_accvgpr_read_b32 v4, a18
	v_accvgpr_read_b32 v5, a19
	v_lshl_add_u64 v[4:5], v[4:5], 0, s[24:25]
	v_accvgpr_write_b32 a19, v5
	v_accvgpr_write_b32 a18, v4
	v_accvgpr_read_b32 v4, a22
	v_accvgpr_read_b32 v5, a23
	v_lshl_add_u64 v[4:5], v[4:5], 0, s[24:25]
	v_accvgpr_write_b32 a23, v5
	v_accvgpr_write_b32 a22, v4
	;; [unrolled: 5-line block ×26, first 2 shown]
	v_accvgpr_read_b32 v4, a68
	v_accvgpr_read_b32 v5, a69
	s_add_u32 s26, s26, s4
	v_lshl_add_u64 v[164:165], v[164:165], 0, s[24:25]
	v_lshl_add_u64 v[166:167], v[166:167], 0, s[24:25]
	;; [unrolled: 1-line block ×101, first 2 shown]
	s_addc_u32 s27, 0, s27
	s_cbranch_vccnz .LBB143_227
; %bb.226:                              ;   in Loop: Header=BB143_149 Depth=1
	v_accvgpr_write_b32 a69, v5
	v_accvgpr_write_b32 a68, v4
	v_mov_b32_e32 v85, v3
	s_branch .LBB143_149
.LBB143_227:
	v_accvgpr_read_b32 v206, a0
.LBB143_228:
	s_mov_b32 s3, 0
	s_lshl_b64 s[2:3], s[2:3], 6
	v_and_b32_e32 v0, 0x3ff, v206
	v_or_b32_e32 v0, s2, v0
	v_mov_b32_e32 v1, s3
	s_waitcnt lgkmcnt(0)
	s_cmp_lg_u64 s[6:7], 0
	v_cmp_gt_i64_e32 vcc, s[14:15], v[0:1]
	s_cselect_b64 s[2:3], -1, 0
	s_and_b64 s[2:3], vcc, s[2:3]
	s_and_saveexec_b64 s[4:5], s[2:3]
	s_cbranch_execz .LBB143_230
; %bb.229:
	s_load_dword s0, s[0:1], 0x4c
	v_bfe_u32 v4, v206, 10, 10
	v_mov_b32_e32 v5, 0
	v_mov_b32_e32 v2, s8
	s_waitcnt lgkmcnt(0)
	s_lshr_b32 s0, s0, 16
	v_mad_u64_u32 v[4:5], s[0:1], s0, v2, v[4:5]
	v_mul_lo_u32 v2, v5, s14
	v_mul_lo_u32 v6, v4, s15
	v_mad_u64_u32 v[4:5], s[0:1], v4, s14, 0
	v_add3_u32 v5, v5, v6, v2
	v_lshl_add_u64 v[4:5], v[4:5], 2, s[6:7]
	v_lshl_add_u64 v[0:1], v[0:1], 2, v[4:5]
	global_store_dword v[0:1], v3, off
.LBB143_230:
	s_endpgm
	.section	.rodata,"a",@progbits
	.p2align	6, 0x0
	.amdhsa_kernel _ZN2at6native12_GLOBAL__N_135GammaBetaBackwardCUDAKernelTemplateIffLj64ELj1ELj32ELb1ELb0ELb1EEEvllPKT_S5_PKT0_S8_PS3_S9_
		.amdhsa_group_segment_fixed_size 0
		.amdhsa_private_segment_fixed_size 0
		.amdhsa_kernarg_size 320
		.amdhsa_user_sgpr_count 2
		.amdhsa_user_sgpr_dispatch_ptr 0
		.amdhsa_user_sgpr_queue_ptr 0
		.amdhsa_user_sgpr_kernarg_segment_ptr 1
		.amdhsa_user_sgpr_dispatch_id 0
		.amdhsa_user_sgpr_kernarg_preload_length 0
		.amdhsa_user_sgpr_kernarg_preload_offset 0
		.amdhsa_user_sgpr_private_segment_size 0
		.amdhsa_uses_dynamic_stack 0
		.amdhsa_enable_private_segment 0
		.amdhsa_system_sgpr_workgroup_id_x 1
		.amdhsa_system_sgpr_workgroup_id_y 1
		.amdhsa_system_sgpr_workgroup_id_z 0
		.amdhsa_system_sgpr_workgroup_info 0
		.amdhsa_system_vgpr_workitem_id 1
		.amdhsa_next_free_vgpr 331
		.amdhsa_next_free_sgpr 38
		.amdhsa_accum_offset 256
		.amdhsa_reserve_vcc 1
		.amdhsa_float_round_mode_32 0
		.amdhsa_float_round_mode_16_64 0
		.amdhsa_float_denorm_mode_32 3
		.amdhsa_float_denorm_mode_16_64 3
		.amdhsa_dx10_clamp 1
		.amdhsa_ieee_mode 1
		.amdhsa_fp16_overflow 0
		.amdhsa_tg_split 0
		.amdhsa_exception_fp_ieee_invalid_op 0
		.amdhsa_exception_fp_denorm_src 0
		.amdhsa_exception_fp_ieee_div_zero 0
		.amdhsa_exception_fp_ieee_overflow 0
		.amdhsa_exception_fp_ieee_underflow 0
		.amdhsa_exception_fp_ieee_inexact 0
		.amdhsa_exception_int_div_zero 0
	.end_amdhsa_kernel
	.section	.text._ZN2at6native12_GLOBAL__N_135GammaBetaBackwardCUDAKernelTemplateIffLj64ELj1ELj32ELb1ELb0ELb1EEEvllPKT_S5_PKT0_S8_PS3_S9_,"axG",@progbits,_ZN2at6native12_GLOBAL__N_135GammaBetaBackwardCUDAKernelTemplateIffLj64ELj1ELj32ELb1ELb0ELb1EEEvllPKT_S5_PKT0_S8_PS3_S9_,comdat
.Lfunc_end143:
	.size	_ZN2at6native12_GLOBAL__N_135GammaBetaBackwardCUDAKernelTemplateIffLj64ELj1ELj32ELb1ELb0ELb1EEEvllPKT_S5_PKT0_S8_PS3_S9_, .Lfunc_end143-_ZN2at6native12_GLOBAL__N_135GammaBetaBackwardCUDAKernelTemplateIffLj64ELj1ELj32ELb1ELb0ELb1EEEvllPKT_S5_PKT0_S8_PS3_S9_
                                        ; -- End function
	.set _ZN2at6native12_GLOBAL__N_135GammaBetaBackwardCUDAKernelTemplateIffLj64ELj1ELj32ELb1ELb0ELb1EEEvllPKT_S5_PKT0_S8_PS3_S9_.num_vgpr, 256
	.set _ZN2at6native12_GLOBAL__N_135GammaBetaBackwardCUDAKernelTemplateIffLj64ELj1ELj32ELb1ELb0ELb1EEEvllPKT_S5_PKT0_S8_PS3_S9_.num_agpr, 75
	.set _ZN2at6native12_GLOBAL__N_135GammaBetaBackwardCUDAKernelTemplateIffLj64ELj1ELj32ELb1ELb0ELb1EEEvllPKT_S5_PKT0_S8_PS3_S9_.numbered_sgpr, 38
	.set _ZN2at6native12_GLOBAL__N_135GammaBetaBackwardCUDAKernelTemplateIffLj64ELj1ELj32ELb1ELb0ELb1EEEvllPKT_S5_PKT0_S8_PS3_S9_.num_named_barrier, 0
	.set _ZN2at6native12_GLOBAL__N_135GammaBetaBackwardCUDAKernelTemplateIffLj64ELj1ELj32ELb1ELb0ELb1EEEvllPKT_S5_PKT0_S8_PS3_S9_.private_seg_size, 0
	.set _ZN2at6native12_GLOBAL__N_135GammaBetaBackwardCUDAKernelTemplateIffLj64ELj1ELj32ELb1ELb0ELb1EEEvllPKT_S5_PKT0_S8_PS3_S9_.uses_vcc, 1
	.set _ZN2at6native12_GLOBAL__N_135GammaBetaBackwardCUDAKernelTemplateIffLj64ELj1ELj32ELb1ELb0ELb1EEEvllPKT_S5_PKT0_S8_PS3_S9_.uses_flat_scratch, 0
	.set _ZN2at6native12_GLOBAL__N_135GammaBetaBackwardCUDAKernelTemplateIffLj64ELj1ELj32ELb1ELb0ELb1EEEvllPKT_S5_PKT0_S8_PS3_S9_.has_dyn_sized_stack, 0
	.set _ZN2at6native12_GLOBAL__N_135GammaBetaBackwardCUDAKernelTemplateIffLj64ELj1ELj32ELb1ELb0ELb1EEEvllPKT_S5_PKT0_S8_PS3_S9_.has_recursion, 0
	.set _ZN2at6native12_GLOBAL__N_135GammaBetaBackwardCUDAKernelTemplateIffLj64ELj1ELj32ELb1ELb0ELb1EEEvllPKT_S5_PKT0_S8_PS3_S9_.has_indirect_call, 0
	.section	.AMDGPU.csdata,"",@progbits
; Kernel info:
; codeLenInByte = 21224
; TotalNumSgprs: 44
; NumVgprs: 256
; NumAgprs: 75
; TotalNumVgprs: 331
; ScratchSize: 0
; MemoryBound: 0
; FloatMode: 240
; IeeeMode: 1
; LDSByteSize: 0 bytes/workgroup (compile time only)
; SGPRBlocks: 5
; VGPRBlocks: 41
; NumSGPRsForWavesPerEU: 44
; NumVGPRsForWavesPerEU: 331
; AccumOffset: 256
; Occupancy: 1
; WaveLimiterHint : 0
; COMPUTE_PGM_RSRC2:SCRATCH_EN: 0
; COMPUTE_PGM_RSRC2:USER_SGPR: 2
; COMPUTE_PGM_RSRC2:TRAP_HANDLER: 0
; COMPUTE_PGM_RSRC2:TGID_X_EN: 1
; COMPUTE_PGM_RSRC2:TGID_Y_EN: 1
; COMPUTE_PGM_RSRC2:TGID_Z_EN: 0
; COMPUTE_PGM_RSRC2:TIDIG_COMP_CNT: 1
; COMPUTE_PGM_RSRC3_GFX90A:ACCUM_OFFSET: 63
; COMPUTE_PGM_RSRC3_GFX90A:TG_SPLIT: 0
	.section	.text._ZN2at6native12_GLOBAL__N_135GammaBetaBackwardCUDAKernelTemplateIffLj64ELj1ELj8ELb1ELb1ELb1EEEvllPKT_S5_PKT0_S8_PS3_S9_,"axG",@progbits,_ZN2at6native12_GLOBAL__N_135GammaBetaBackwardCUDAKernelTemplateIffLj64ELj1ELj8ELb1ELb1ELb1EEEvllPKT_S5_PKT0_S8_PS3_S9_,comdat
	.globl	_ZN2at6native12_GLOBAL__N_135GammaBetaBackwardCUDAKernelTemplateIffLj64ELj1ELj8ELb1ELb1ELb1EEEvllPKT_S5_PKT0_S8_PS3_S9_ ; -- Begin function _ZN2at6native12_GLOBAL__N_135GammaBetaBackwardCUDAKernelTemplateIffLj64ELj1ELj8ELb1ELb1ELb1EEEvllPKT_S5_PKT0_S8_PS3_S9_
	.p2align	8
	.type	_ZN2at6native12_GLOBAL__N_135GammaBetaBackwardCUDAKernelTemplateIffLj64ELj1ELj8ELb1ELb1ELb1EEEvllPKT_S5_PKT0_S8_PS3_S9_,@function
_ZN2at6native12_GLOBAL__N_135GammaBetaBackwardCUDAKernelTemplateIffLj64ELj1ELj8ELb1ELb1ELb1EEEvllPKT_S5_PKT0_S8_PS3_S9_: ; @_ZN2at6native12_GLOBAL__N_135GammaBetaBackwardCUDAKernelTemplateIffLj64ELj1ELj8ELb1ELb1ELb1EEEvllPKT_S5_PKT0_S8_PS3_S9_
; %bb.0:
	s_load_dwordx4 s[8:11], s[0:1], 0x0
	s_load_dwordx2 s[16:17], s[0:1], 0x30
	s_lshl_b32 s18, s3, 3
	s_mov_b32 s19, 0
	v_mov_b64_e32 v[2:3], s[18:19]
	s_waitcnt lgkmcnt(0)
	v_cmp_le_i64_e32 vcc, s[8:9], v[2:3]
	s_mov_b32 s6, s3
	v_mov_b32_e32 v5, 0
	v_bfe_u32 v2, v0, 10, 10
	s_cbranch_vccnz .LBB144_7
; %bb.1:
	s_load_dword s3, s[0:1], 0x4c
	s_load_dword s7, s[0:1], 0x44
	s_load_dwordx4 s[12:15], s[0:1], 0x10
	s_load_dwordx2 s[22:23], s[0:1], 0x28
	v_and_b32_e32 v1, 0x3ff, v0
	s_waitcnt lgkmcnt(0)
	s_and_b32 s3, s3, 0xffff
	v_mad_u32_u24 v3, v2, s3, v1
	v_lshlrev_b32_e32 v4, 3, v2
	v_mov_b32_e32 v5, 0
	v_lshl_or_b32 v10, s2, 6, v1
	v_mbcnt_lo_u32_b32 v1, -1, 0
	v_and_b32_e32 v6, 63, v3
	v_mov_b32_e32 v7, v5
	v_mbcnt_hi_u32_b32 v1, -1, v1
	s_lshl_b32 s20, s7, 3
	v_lshl_add_u64 v[12:13], v[4:5], 0, s[18:19]
	v_cmp_gt_u32_e64 s[4:5], 8, v6
	v_mov_b32_e32 v11, v5
	v_lshlrev_b32_e32 v1, 2, v1
	v_lshl_add_u64 v[6:7], v[12:13], 0, v[6:7]
	v_mul_lo_u32 v4, s11, v12
	v_mul_lo_u32 v20, s10, v13
	v_mad_u64_u32 v[12:13], s[24:25], s10, v12, 0
	s_mul_i32 s3, s11, s20
	s_mul_hi_u32 s7, s10, s20
	v_and_b32_e32 v1, 0x100, v1
	s_mov_b32 s21, s19
	v_add3_u32 v13, v13, v20, v4
	v_lshlrev_b64 v[10:11], 2, v[10:11]
	s_add_i32 s25, s7, s3
	s_mul_i32 s24, s10, s20
	v_or_b32_e32 v3, 4, v1
	v_or_b32_e32 v14, 8, v1
	;; [unrolled: 1-line block ×7, first 2 shown]
	v_lshl_add_u64 v[8:9], v[6:7], 2, s[22:23]
	s_lshl_b64 s[22:23], s[20:21], 2
	v_lshl_add_u64 v[10:11], v[12:13], 2, v[10:11]
	s_lshl_b64 s[24:25], s[24:25], 2
	s_lshl_b64 s[26:27], s[10:11], 2
	v_mov_b64_e32 v[12:13], s[8:9]
	s_branch .LBB144_4
.LBB144_2:                              ;   in Loop: Header=BB144_4 Depth=1
	s_or_b64 exec, exec, s[30:31]
.LBB144_3:                              ;   in Loop: Header=BB144_4 Depth=1
	s_or_b64 exec, exec, s[28:29]
	v_lshl_add_u64 v[20:21], s[12:13], 0, v[10:11]
	global_load_dword v22, v[20:21], off
	v_lshl_add_u64 v[24:25], s[14:15], 0, v[10:11]
	v_lshl_add_u64 v[20:21], v[20:21], 0, s[26:27]
	global_load_dword v26, v[24:25], off
	global_load_dword v23, v[20:21], off
	v_lshl_add_u64 v[24:25], v[24:25], 0, s[26:27]
	v_lshl_add_u64 v[20:21], v[20:21], 0, s[26:27]
	global_load_dword v27, v[24:25], off
	global_load_dword v28, v[20:21], off
	v_lshl_add_u64 v[24:25], v[24:25], 0, s[26:27]
	v_lshl_add_u64 v[20:21], v[20:21], 0, s[26:27]
	global_load_dword v30, v[24:25], off
	global_load_dword v29, v[20:21], off
	v_lshl_add_u64 v[24:25], v[24:25], 0, s[26:27]
	v_lshl_add_u64 v[20:21], v[20:21], 0, s[26:27]
	global_load_dword v31, v[24:25], off
	global_load_dword v32, v[20:21], off
	v_lshl_add_u64 v[24:25], v[24:25], 0, s[26:27]
	v_lshl_add_u64 v[20:21], v[20:21], 0, s[26:27]
	global_load_dword v34, v[24:25], off
	global_load_dword v33, v[20:21], off
	v_lshl_add_u64 v[24:25], v[24:25], 0, s[26:27]
	v_lshl_add_u64 v[20:21], v[20:21], 0, s[26:27]
	global_load_dword v35, v[24:25], off
	global_load_dword v36, v[20:21], off
	v_lshl_add_u64 v[24:25], v[24:25], 0, s[26:27]
	v_lshl_add_u64 v[20:21], v[20:21], 0, s[26:27]
	global_load_dword v37, v[20:21], off
	v_lshl_add_u64 v[20:21], v[24:25], 0, s[26:27]
	global_load_dword v38, v[24:25], off
	global_load_dword v39, v[20:21], off
	s_waitcnt vmcnt(16)
	ds_bpermute_b32 v20, v1, v4
	ds_bpermute_b32 v21, v3, v4
	;; [unrolled: 1-line block ×8, first 2 shown]
	s_add_u32 s18, s18, s20
	s_addc_u32 s19, s19, 0
	v_cmp_lt_i64_e32 vcc, s[18:19], v[12:13]
	v_lshl_add_u64 v[8:9], v[8:9], 0, s[22:23]
	v_lshl_add_u64 v[6:7], v[6:7], 0, s[20:21]
	v_lshl_add_u64 v[10:11], v[10:11], 0, s[24:25]
	s_and_b64 vcc, exec, vcc
	s_waitcnt vmcnt(12)
	v_pk_mul_f32 v[22:23], v[22:23], v[26:27]
	s_waitcnt lgkmcnt(6)
	v_pk_mul_f32 v[20:21], v[22:23], v[20:21]
	s_nop 0
	v_add_f32_e32 v20, v5, v20
	v_add_f32_e32 v20, v20, v21
	s_waitcnt vmcnt(8)
	v_pk_mul_f32 v[4:5], v[28:29], v[30:31]
	s_waitcnt lgkmcnt(4)
	v_pk_mul_f32 v[4:5], v[4:5], v[24:25]
	s_nop 0
	v_add_f32_e32 v4, v20, v4
	v_add_f32_e32 v22, v4, v5
	s_waitcnt vmcnt(4)
	v_pk_mul_f32 v[20:21], v[32:33], v[34:35]
	s_waitcnt lgkmcnt(2)
	v_pk_mul_f32 v[4:5], v[20:21], v[40:41]
	s_waitcnt vmcnt(0)
	v_pk_mul_f32 v[20:21], v[36:37], v[38:39]
	v_add_f32_e32 v4, v22, v4
	v_add_f32_e32 v22, v4, v5
	s_waitcnt lgkmcnt(0)
	v_pk_mul_f32 v[4:5], v[20:21], v[42:43]
	s_nop 0
	v_add_f32_e32 v4, v22, v4
	v_add_f32_e32 v5, v4, v5
	s_cbranch_vccz .LBB144_7
.LBB144_4:                              ; =>This Inner Loop Header: Depth=1
	v_mov_b32_e32 v4, 0
	s_and_saveexec_b64 s[28:29], s[4:5]
	s_cbranch_execz .LBB144_3
; %bb.5:                                ;   in Loop: Header=BB144_4 Depth=1
	v_cmp_gt_i64_e32 vcc, s[8:9], v[6:7]
	v_mov_b32_e32 v4, 0
	s_and_saveexec_b64 s[30:31], vcc
	s_cbranch_execz .LBB144_2
; %bb.6:                                ;   in Loop: Header=BB144_4 Depth=1
	global_load_dword v4, v[8:9], off
	s_branch .LBB144_2
.LBB144_7:
	s_cmp_eq_u64 s[16:17], 0
	s_cbranch_scc1 .LBB144_9
; %bb.8:
	s_load_dword s0, s[0:1], 0x4c
	v_mov_b32_e32 v3, 0
	v_mov_b32_e32 v1, s6
	s_mov_b32 s3, 0
	v_and_b32_e32 v0, 0x3ff, v0
	s_waitcnt lgkmcnt(0)
	s_lshr_b32 s0, s0, 16
	v_mad_u64_u32 v[6:7], s[0:1], s0, v1, v[2:3]
	v_mul_lo_u32 v1, v7, s10
	v_mul_lo_u32 v2, v6, s11
	v_mad_u64_u32 v[6:7], s[0:1], v6, s10, 0
	v_add3_u32 v7, v7, v2, v1
	v_lshl_add_u64 v[6:7], v[6:7], 2, s[16:17]
	s_lshl_b64 s[0:1], s[2:3], 8
	v_lshl_add_u64 v[6:7], v[6:7], 0, s[0:1]
	v_lshlrev_b32_e32 v2, 2, v0
	v_lshl_add_u64 v[0:1], v[6:7], 0, v[2:3]
	global_store_dword v[0:1], v5, off
.LBB144_9:
	s_endpgm
	.section	.rodata,"a",@progbits
	.p2align	6, 0x0
	.amdhsa_kernel _ZN2at6native12_GLOBAL__N_135GammaBetaBackwardCUDAKernelTemplateIffLj64ELj1ELj8ELb1ELb1ELb1EEEvllPKT_S5_PKT0_S8_PS3_S9_
		.amdhsa_group_segment_fixed_size 0
		.amdhsa_private_segment_fixed_size 0
		.amdhsa_kernarg_size 320
		.amdhsa_user_sgpr_count 2
		.amdhsa_user_sgpr_dispatch_ptr 0
		.amdhsa_user_sgpr_queue_ptr 0
		.amdhsa_user_sgpr_kernarg_segment_ptr 1
		.amdhsa_user_sgpr_dispatch_id 0
		.amdhsa_user_sgpr_kernarg_preload_length 0
		.amdhsa_user_sgpr_kernarg_preload_offset 0
		.amdhsa_user_sgpr_private_segment_size 0
		.amdhsa_uses_dynamic_stack 0
		.amdhsa_enable_private_segment 0
		.amdhsa_system_sgpr_workgroup_id_x 1
		.amdhsa_system_sgpr_workgroup_id_y 1
		.amdhsa_system_sgpr_workgroup_id_z 0
		.amdhsa_system_sgpr_workgroup_info 0
		.amdhsa_system_vgpr_workitem_id 1
		.amdhsa_next_free_vgpr 44
		.amdhsa_next_free_sgpr 32
		.amdhsa_accum_offset 44
		.amdhsa_reserve_vcc 1
		.amdhsa_float_round_mode_32 0
		.amdhsa_float_round_mode_16_64 0
		.amdhsa_float_denorm_mode_32 3
		.amdhsa_float_denorm_mode_16_64 3
		.amdhsa_dx10_clamp 1
		.amdhsa_ieee_mode 1
		.amdhsa_fp16_overflow 0
		.amdhsa_tg_split 0
		.amdhsa_exception_fp_ieee_invalid_op 0
		.amdhsa_exception_fp_denorm_src 0
		.amdhsa_exception_fp_ieee_div_zero 0
		.amdhsa_exception_fp_ieee_overflow 0
		.amdhsa_exception_fp_ieee_underflow 0
		.amdhsa_exception_fp_ieee_inexact 0
		.amdhsa_exception_int_div_zero 0
	.end_amdhsa_kernel
	.section	.text._ZN2at6native12_GLOBAL__N_135GammaBetaBackwardCUDAKernelTemplateIffLj64ELj1ELj8ELb1ELb1ELb1EEEvllPKT_S5_PKT0_S8_PS3_S9_,"axG",@progbits,_ZN2at6native12_GLOBAL__N_135GammaBetaBackwardCUDAKernelTemplateIffLj64ELj1ELj8ELb1ELb1ELb1EEEvllPKT_S5_PKT0_S8_PS3_S9_,comdat
.Lfunc_end144:
	.size	_ZN2at6native12_GLOBAL__N_135GammaBetaBackwardCUDAKernelTemplateIffLj64ELj1ELj8ELb1ELb1ELb1EEEvllPKT_S5_PKT0_S8_PS3_S9_, .Lfunc_end144-_ZN2at6native12_GLOBAL__N_135GammaBetaBackwardCUDAKernelTemplateIffLj64ELj1ELj8ELb1ELb1ELb1EEEvllPKT_S5_PKT0_S8_PS3_S9_
                                        ; -- End function
	.set _ZN2at6native12_GLOBAL__N_135GammaBetaBackwardCUDAKernelTemplateIffLj64ELj1ELj8ELb1ELb1ELb1EEEvllPKT_S5_PKT0_S8_PS3_S9_.num_vgpr, 44
	.set _ZN2at6native12_GLOBAL__N_135GammaBetaBackwardCUDAKernelTemplateIffLj64ELj1ELj8ELb1ELb1ELb1EEEvllPKT_S5_PKT0_S8_PS3_S9_.num_agpr, 0
	.set _ZN2at6native12_GLOBAL__N_135GammaBetaBackwardCUDAKernelTemplateIffLj64ELj1ELj8ELb1ELb1ELb1EEEvllPKT_S5_PKT0_S8_PS3_S9_.numbered_sgpr, 32
	.set _ZN2at6native12_GLOBAL__N_135GammaBetaBackwardCUDAKernelTemplateIffLj64ELj1ELj8ELb1ELb1ELb1EEEvllPKT_S5_PKT0_S8_PS3_S9_.num_named_barrier, 0
	.set _ZN2at6native12_GLOBAL__N_135GammaBetaBackwardCUDAKernelTemplateIffLj64ELj1ELj8ELb1ELb1ELb1EEEvllPKT_S5_PKT0_S8_PS3_S9_.private_seg_size, 0
	.set _ZN2at6native12_GLOBAL__N_135GammaBetaBackwardCUDAKernelTemplateIffLj64ELj1ELj8ELb1ELb1ELb1EEEvllPKT_S5_PKT0_S8_PS3_S9_.uses_vcc, 1
	.set _ZN2at6native12_GLOBAL__N_135GammaBetaBackwardCUDAKernelTemplateIffLj64ELj1ELj8ELb1ELb1ELb1EEEvllPKT_S5_PKT0_S8_PS3_S9_.uses_flat_scratch, 0
	.set _ZN2at6native12_GLOBAL__N_135GammaBetaBackwardCUDAKernelTemplateIffLj64ELj1ELj8ELb1ELb1ELb1EEEvllPKT_S5_PKT0_S8_PS3_S9_.has_dyn_sized_stack, 0
	.set _ZN2at6native12_GLOBAL__N_135GammaBetaBackwardCUDAKernelTemplateIffLj64ELj1ELj8ELb1ELb1ELb1EEEvllPKT_S5_PKT0_S8_PS3_S9_.has_recursion, 0
	.set _ZN2at6native12_GLOBAL__N_135GammaBetaBackwardCUDAKernelTemplateIffLj64ELj1ELj8ELb1ELb1ELb1EEEvllPKT_S5_PKT0_S8_PS3_S9_.has_indirect_call, 0
	.section	.AMDGPU.csdata,"",@progbits
; Kernel info:
; codeLenInByte = 1008
; TotalNumSgprs: 38
; NumVgprs: 44
; NumAgprs: 0
; TotalNumVgprs: 44
; ScratchSize: 0
; MemoryBound: 0
; FloatMode: 240
; IeeeMode: 1
; LDSByteSize: 0 bytes/workgroup (compile time only)
; SGPRBlocks: 4
; VGPRBlocks: 5
; NumSGPRsForWavesPerEU: 38
; NumVGPRsForWavesPerEU: 44
; AccumOffset: 44
; Occupancy: 8
; WaveLimiterHint : 0
; COMPUTE_PGM_RSRC2:SCRATCH_EN: 0
; COMPUTE_PGM_RSRC2:USER_SGPR: 2
; COMPUTE_PGM_RSRC2:TRAP_HANDLER: 0
; COMPUTE_PGM_RSRC2:TGID_X_EN: 1
; COMPUTE_PGM_RSRC2:TGID_Y_EN: 1
; COMPUTE_PGM_RSRC2:TGID_Z_EN: 0
; COMPUTE_PGM_RSRC2:TIDIG_COMP_CNT: 1
; COMPUTE_PGM_RSRC3_GFX90A:ACCUM_OFFSET: 10
; COMPUTE_PGM_RSRC3_GFX90A:TG_SPLIT: 0
	.section	.text._ZN2at6native12_GLOBAL__N_135GammaBetaBackwardCUDAKernelTemplateIffLj64ELj1ELj8ELb1ELb0ELb1EEEvllPKT_S5_PKT0_S8_PS3_S9_,"axG",@progbits,_ZN2at6native12_GLOBAL__N_135GammaBetaBackwardCUDAKernelTemplateIffLj64ELj1ELj8ELb1ELb0ELb1EEEvllPKT_S5_PKT0_S8_PS3_S9_,comdat
	.globl	_ZN2at6native12_GLOBAL__N_135GammaBetaBackwardCUDAKernelTemplateIffLj64ELj1ELj8ELb1ELb0ELb1EEEvllPKT_S5_PKT0_S8_PS3_S9_ ; -- Begin function _ZN2at6native12_GLOBAL__N_135GammaBetaBackwardCUDAKernelTemplateIffLj64ELj1ELj8ELb1ELb0ELb1EEEvllPKT_S5_PKT0_S8_PS3_S9_
	.p2align	8
	.type	_ZN2at6native12_GLOBAL__N_135GammaBetaBackwardCUDAKernelTemplateIffLj64ELj1ELj8ELb1ELb0ELb1EEEvllPKT_S5_PKT0_S8_PS3_S9_,@function
_ZN2at6native12_GLOBAL__N_135GammaBetaBackwardCUDAKernelTemplateIffLj64ELj1ELj8ELb1ELb0ELb1EEEvllPKT_S5_PKT0_S8_PS3_S9_: ; @_ZN2at6native12_GLOBAL__N_135GammaBetaBackwardCUDAKernelTemplateIffLj64ELj1ELj8ELb1ELb0ELb1EEEvllPKT_S5_PKT0_S8_PS3_S9_
; %bb.0:
	s_load_dwordx8 s[12:19], s[0:1], 0x0
	s_load_dwordx2 s[10:11], s[0:1], 0x28
	s_mov_b32 s8, s3
	s_lshl_b32 s3, s2, 6
	s_mov_b32 s21, 0
	s_lshl_b32 s20, s8, 3
	s_or_b32 s4, s3, 63
	v_mov_b64_e32 v[4:5], s[20:21]
	v_mov_b32_e32 v2, s4
	v_mov_b32_e32 v3, 0
	s_waitcnt lgkmcnt(0)
	v_cmp_gt_i64_e64 s[4:5], s[12:13], v[4:5]
	v_cmp_le_i64_e32 vcc, s[14:15], v[2:3]
	s_nop 0
	v_cndmask_b32_e64 v1, 0, 1, s[4:5]
	v_cmp_ne_u32_e64 s[4:5], 1, v1
	s_cbranch_vccz .LBB145_49
; %bb.1:
	s_and_b64 vcc, exec, s[4:5]
	s_cbranch_vccnz .LBB145_50
; %bb.2:
	v_and_b32_e32 v1, 0x3ff, v0
	v_mov_b32_e32 v2, 0
	v_bfe_u32 v58, v0, 10, 10
	v_add_u32_e32 v4, s3, v1
	v_mov_b32_e32 v5, v2
	v_lshlrev_b32_e32 v20, 3, v58
	v_mov_b32_e32 v21, v2
	v_cmp_gt_i64_e64 s[6:7], s[14:15], v[4:5]
	v_lshlrev_b64 v[22:23], 2, v[4:5]
	v_lshl_add_u64 v[4:5], v[20:21], 0, s[20:21]
	v_mul_lo_u32 v3, s15, v4
	v_mul_lo_u32 v8, s14, v5
	v_mad_u64_u32 v[6:7], s[26:27], s14, v4, 0
	v_add3_u32 v7, v7, v8, v3
	v_lshlrev_b64 v[6:7], 2, v[6:7]
	v_lshl_add_u64 v[24:25], s[16:17], 0, v[6:7]
	v_lshl_add_u64 v[26:27], s[18:19], 0, v[6:7]
	v_lshl_add_u64 v[6:7], v[4:5], 0, 7
	v_mul_lo_u32 v9, s15, v6
	v_mul_lo_u32 v10, s14, v7
	v_mad_u64_u32 v[6:7], s[30:31], s14, v6, 0
	v_add3_u32 v7, v7, v10, v9
	v_lshlrev_b64 v[6:7], 2, v[6:7]
	v_lshl_add_u64 v[28:29], s[16:17], 0, v[6:7]
	v_lshl_add_u64 v[30:31], s[18:19], 0, v[6:7]
	;; [unrolled: 8-line block ×6, first 2 shown]
	v_lshl_add_u64 v[6:7], v[4:5], 0, 2
	s_load_dword s9, s[0:1], 0x44
	v_mul_lo_u32 v5, s15, v6
	v_mul_lo_u32 v9, s14, v7
	v_mad_u64_u32 v[6:7], s[30:31], s14, v6, 0
	v_add3_u32 v7, v7, v9, v5
	v_lshlrev_b64 v[6:7], 2, v[6:7]
	v_lshl_add_u64 v[48:49], s[16:17], 0, v[6:7]
	v_lshl_add_u64 v[50:51], s[18:19], 0, v[6:7]
	v_mov_b64_e32 v[6:7], s[14:15]
	s_add_u32 s24, s0, 64
	v_mad_u64_u32 v[4:5], s[30:31], s14, v4, v[6:7]
	s_addc_u32 s25, s1, 0
	s_waitcnt lgkmcnt(0)
	s_lshl_b32 s22, s9, 3
	v_add3_u32 v5, v3, v5, v8
	v_mbcnt_lo_u32_b32 v3, -1, 0
	s_mul_i32 s9, s15, s22
	s_mul_hi_u32 s26, s14, s22
	v_mbcnt_hi_u32_b32 v3, -1, v3
	s_add_i32 s27, s26, s9
	s_mul_i32 s26, s14, s22
	v_lshlrev_b64 v[4:5], 2, v[4:5]
	v_lshlrev_b32_e32 v3, 2, v3
	s_mov_b32 s23, 0
	s_lshl_b64 s[26:27], s[26:27], 2
	s_mov_b64 s[28:29], 7
	v_lshl_add_u64 v[52:53], s[16:17], 0, v[4:5]
	v_lshl_add_u64 v[54:55], s[18:19], 0, v[4:5]
	v_and_b32_e32 v59, 0x100, v3
	s_mov_b64 s[30:31], s[20:21]
	v_mov_b32_e32 v60, 0
.LBB145_3:                              ; =>This Inner Loop Header: Depth=1
	s_add_u32 s34, s20, s28
	s_addc_u32 s35, 0, s29
	v_mov_b64_e32 v[4:5], s[12:13]
	v_cmp_ge_i64_e32 vcc, s[34:35], v[4:5]
	v_lshl_add_u64 v[56:57], s[20:21], 0, v[20:21]
	s_mov_b64 s[34:35], -1
	s_and_b64 vcc, exec, vcc
                                        ; implicit-def: $vgpr4_vgpr5_vgpr6_vgpr7_vgpr8_vgpr9_vgpr10_vgpr11
                                        ; implicit-def: $vgpr3
                                        ; implicit-def: $vgpr12_vgpr13_vgpr14_vgpr15_vgpr16_vgpr17_vgpr18_vgpr19
                                        ; implicit-def: $vgpr4
	s_cbranch_vccz .LBB145_25
; %bb.4:                                ;   in Loop: Header=BB145_3 Depth=1
	s_load_dword s9, s[24:25], 0xc
	v_mov_b32_e32 v61, 0
	s_waitcnt lgkmcnt(0)
	s_and_b32 s9, s9, 0xffff
	v_mad_u32_u24 v3, v58, s9, v1
	v_and_b32_e32 v4, 63, v3
	v_cmp_gt_u32_e32 vcc, 8, v4
	s_and_saveexec_b64 s[34:35], vcc
	s_cbranch_execz .LBB145_8
; %bb.5:                                ;   in Loop: Header=BB145_3 Depth=1
	v_mov_b32_e32 v5, v2
	v_lshl_add_u64 v[4:5], v[56:57], 0, v[4:5]
	v_cmp_gt_i64_e32 vcc, s[12:13], v[4:5]
	v_mov_b32_e32 v61, 0
	s_and_saveexec_b64 s[36:37], vcc
	s_cbranch_execz .LBB145_7
; %bb.6:                                ;   in Loop: Header=BB145_3 Depth=1
	v_lshl_add_u64 v[4:5], v[4:5], 2, s[10:11]
	global_load_dword v61, v[4:5], off
.LBB145_7:                              ;   in Loop: Header=BB145_3 Depth=1
	s_or_b64 exec, exec, s[36:37]
.LBB145_8:                              ;   in Loop: Header=BB145_3 Depth=1
	s_or_b64 exec, exec, s[34:35]
	v_mov_b32_e32 v8, v2
	v_mov_b32_e32 v9, v2
	;; [unrolled: 1-line block ×7, first 2 shown]
	v_mov_b64_e32 v[18:19], v[8:9]
	v_cmp_gt_i64_e32 vcc, s[12:13], v[56:57]
	v_mov_b64_e32 v[16:17], v[6:7]
	v_mov_b64_e32 v[14:15], v[4:5]
	;; [unrolled: 1-line block ×4, first 2 shown]
	s_and_b64 s[36:37], s[6:7], vcc
	v_mov_b64_e32 v[8:9], v[6:7]
	v_mov_b64_e32 v[6:7], v[4:5]
	;; [unrolled: 1-line block ×3, first 2 shown]
	s_and_saveexec_b64 s[34:35], s[36:37]
	s_cbranch_execz .LBB145_10
; %bb.9:                                ;   in Loop: Header=BB145_3 Depth=1
	v_lshl_add_u64 v[4:5], v[24:25], 0, v[22:23]
	v_lshl_add_u64 v[6:7], v[26:27], 0, v[22:23]
	global_load_dword v4, v[4:5], off
	v_mov_b32_e32 v5, v2
	global_load_dword v12, v[6:7], off
	v_mov_b32_e32 v6, v2
	v_mov_b32_e32 v7, v2
	;; [unrolled: 1-line block ×13, first 2 shown]
.LBB145_10:                             ;   in Loop: Header=BB145_3 Depth=1
	s_or_b64 exec, exec, s[34:35]
	v_lshl_add_u64 v[62:63], v[56:57], 0, 1
	v_cmp_gt_i64_e32 vcc, s[12:13], v[62:63]
	s_and_b64 s[36:37], s[6:7], vcc
	s_and_saveexec_b64 s[34:35], s[36:37]
	s_cbranch_execz .LBB145_12
; %bb.11:                               ;   in Loop: Header=BB145_3 Depth=1
	v_lshl_add_u64 v[62:63], v[52:53], 0, v[22:23]
	global_load_dword v5, v[62:63], off
	v_lshl_add_u64 v[62:63], v[54:55], 0, v[22:23]
	global_load_dword v13, v[62:63], off
.LBB145_12:                             ;   in Loop: Header=BB145_3 Depth=1
	s_or_b64 exec, exec, s[34:35]
	v_lshl_add_u64 v[62:63], v[56:57], 0, 2
	v_cmp_gt_i64_e32 vcc, s[12:13], v[62:63]
	s_and_b64 s[36:37], s[6:7], vcc
	s_and_saveexec_b64 s[34:35], s[36:37]
	s_cbranch_execz .LBB145_14
; %bb.13:                               ;   in Loop: Header=BB145_3 Depth=1
	v_lshl_add_u64 v[62:63], v[48:49], 0, v[22:23]
	global_load_dword v6, v[62:63], off
	v_lshl_add_u64 v[62:63], v[50:51], 0, v[22:23]
	global_load_dword v14, v[62:63], off
.LBB145_14:                             ;   in Loop: Header=BB145_3 Depth=1
	;; [unrolled: 12-line block ×7, first 2 shown]
	s_or_b64 exec, exec, s[34:35]
	s_waitcnt vmcnt(0)
	ds_bpermute_b32 v3, v59, v61
	ds_bpermute_b32 v62, v59, v61 offset:4
	ds_bpermute_b32 v63, v59, v61 offset:8
	v_mul_f32_e32 v4, v12, v4
	v_pk_mul_f32 v[8:9], v[16:17], v[8:9]
	s_waitcnt lgkmcnt(2)
	v_fma_f32 v16, v4, v3, v60
	v_pk_mul_f32 v[6:7], v[14:15], v[6:7]
	v_mul_f32_e32 v3, v13, v5
	ds_bpermute_b32 v14, v59, v61 offset:12
	ds_bpermute_b32 v15, v59, v61 offset:16
	v_pk_mov_b32 v[12:13], v[2:3], v[6:7] op_sel:[1,0]
	v_pk_mov_b32 v[6:7], v[6:7], v[8:9] op_sel:[1,0]
	s_waitcnt lgkmcnt(2)
	v_pk_mul_f32 v[12:13], v[12:13], v[62:63]
	v_mul_f32_e32 v4, v18, v10
	v_add_f32_e32 v3, v16, v12
	v_add_f32_e32 v3, v3, v13
	ds_bpermute_b32 v12, v59, v61 offset:20
	ds_bpermute_b32 v13, v59, v61 offset:24
	s_waitcnt lgkmcnt(2)
	v_pk_mul_f32 v[6:7], v[6:7], v[14:15]
	s_mov_b64 s[34:35], 0
	v_add_f32_e32 v3, v3, v6
	v_add_f32_e32 v3, v3, v7
	v_pk_mov_b32 v[6:7], v[8:9], v[4:5] op_sel:[1,0]
	ds_bpermute_b32 v4, v59, v61 offset:28
	s_waitcnt lgkmcnt(1)
	v_pk_mul_f32 v[6:7], v[6:7], v[12:13]
	s_nop 0
	v_add_f32_e32 v3, v3, v6
	v_add_f32_e32 v3, v3, v7
.LBB145_25:                             ;   in Loop: Header=BB145_3 Depth=1
	s_and_b64 vcc, exec, s[34:35]
	s_cbranch_vccz .LBB145_40
; %bb.26:                               ;   in Loop: Header=BB145_3 Depth=1
	s_load_dword s9, s[24:25], 0x0
	v_mov_b32_e32 v61, 0
	s_waitcnt lgkmcnt(0)
	s_cmp_lt_u32 s2, s9
	s_cselect_b32 s9, 12, 18
	s_add_u32 s34, s24, s9
	s_addc_u32 s35, s25, 0
	global_load_ushort v3, v2, s[34:35]
	s_waitcnt vmcnt(0)
	v_mad_u32_u24 v3, v58, v3, v1
	v_and_b32_e32 v4, 63, v3
	v_cmp_gt_u32_e32 vcc, 8, v4
	s_and_saveexec_b64 s[34:35], vcc
	s_cbranch_execz .LBB145_30
; %bb.27:                               ;   in Loop: Header=BB145_3 Depth=1
	v_mov_b32_e32 v5, v2
	v_lshl_add_u64 v[4:5], v[56:57], 0, v[4:5]
	v_cmp_gt_i64_e32 vcc, s[12:13], v[4:5]
	v_mov_b32_e32 v61, 0
	s_and_saveexec_b64 s[36:37], vcc
	s_cbranch_execz .LBB145_29
; %bb.28:                               ;   in Loop: Header=BB145_3 Depth=1
	v_lshl_add_u64 v[4:5], v[4:5], 2, s[10:11]
	global_load_dword v61, v[4:5], off
.LBB145_29:                             ;   in Loop: Header=BB145_3 Depth=1
	s_or_b64 exec, exec, s[36:37]
.LBB145_30:                             ;   in Loop: Header=BB145_3 Depth=1
	s_or_b64 exec, exec, s[34:35]
	v_mov_b32_e32 v8, v2
	v_mov_b32_e32 v9, v2
	;; [unrolled: 1-line block ×7, first 2 shown]
	v_mov_b64_e32 v[18:19], v[8:9]
	v_mov_b64_e32 v[16:17], v[6:7]
	;; [unrolled: 1-line block ×8, first 2 shown]
	s_and_saveexec_b64 s[34:35], s[6:7]
	s_cbranch_execnz .LBB145_42
; %bb.31:                               ;   in Loop: Header=BB145_3 Depth=1
	s_or_b64 exec, exec, s[34:35]
	s_and_saveexec_b64 s[34:35], s[6:7]
	s_cbranch_execnz .LBB145_43
.LBB145_32:                             ;   in Loop: Header=BB145_3 Depth=1
	s_or_b64 exec, exec, s[34:35]
	s_and_saveexec_b64 s[34:35], s[6:7]
	s_cbranch_execnz .LBB145_44
.LBB145_33:                             ;   in Loop: Header=BB145_3 Depth=1
	s_or_b64 exec, exec, s[34:35]
	s_and_saveexec_b64 s[34:35], s[6:7]
	s_cbranch_execnz .LBB145_45
.LBB145_34:                             ;   in Loop: Header=BB145_3 Depth=1
	s_or_b64 exec, exec, s[34:35]
	s_and_saveexec_b64 s[34:35], s[6:7]
	s_cbranch_execnz .LBB145_46
.LBB145_35:                             ;   in Loop: Header=BB145_3 Depth=1
	s_or_b64 exec, exec, s[34:35]
	s_and_saveexec_b64 s[34:35], s[6:7]
	s_cbranch_execnz .LBB145_47
.LBB145_36:                             ;   in Loop: Header=BB145_3 Depth=1
	s_or_b64 exec, exec, s[34:35]
	s_and_saveexec_b64 s[34:35], s[6:7]
	s_cbranch_execnz .LBB145_48
.LBB145_37:                             ;   in Loop: Header=BB145_3 Depth=1
	s_or_b64 exec, exec, s[34:35]
	s_and_saveexec_b64 s[34:35], s[6:7]
	s_cbranch_execz .LBB145_39
.LBB145_38:                             ;   in Loop: Header=BB145_3 Depth=1
	v_lshl_add_u64 v[56:57], v[28:29], 0, v[22:23]
	global_load_dword v11, v[56:57], off
	v_lshl_add_u64 v[56:57], v[30:31], 0, v[22:23]
	global_load_dword v19, v[56:57], off
.LBB145_39:                             ;   in Loop: Header=BB145_3 Depth=1
	s_or_b64 exec, exec, s[34:35]
	s_waitcnt vmcnt(0)
	ds_bpermute_b32 v3, v59, v61
	ds_bpermute_b32 v56, v59, v61 offset:4
	ds_bpermute_b32 v57, v59, v61 offset:8
	v_mul_f32_e32 v4, v12, v4
	v_pk_mul_f32 v[6:7], v[14:15], v[6:7]
	s_waitcnt lgkmcnt(2)
	v_fmac_f32_e32 v60, v4, v3
	v_mul_f32_e32 v3, v13, v5
	v_pk_mov_b32 v[4:5], v[2:3], v[6:7] op_sel:[1,0]
	ds_bpermute_b32 v12, v59, v61 offset:12
	ds_bpermute_b32 v13, v59, v61 offset:16
	s_waitcnt lgkmcnt(2)
	v_pk_mul_f32 v[4:5], v[4:5], v[56:57]
	v_pk_mul_f32 v[8:9], v[16:17], v[8:9]
	v_add_f32_e32 v3, v60, v4
	v_add_f32_e32 v3, v3, v5
	v_pk_mov_b32 v[4:5], v[6:7], v[8:9] op_sel:[1,0]
	ds_bpermute_b32 v6, v59, v61 offset:20
	ds_bpermute_b32 v7, v59, v61 offset:24
	s_waitcnt lgkmcnt(2)
	v_pk_mul_f32 v[4:5], v[4:5], v[12:13]
	v_mul_f32_e32 v10, v18, v10
	v_add_f32_e32 v3, v3, v4
	ds_bpermute_b32 v4, v59, v61 offset:28
	v_pk_mov_b32 v[8:9], v[8:9], v[10:11] op_sel:[1,0]
	v_add_f32_e32 v3, v3, v5
	s_waitcnt lgkmcnt(1)
	v_pk_mul_f32 v[6:7], v[8:9], v[6:7]
	s_nop 0
	v_add_f32_e32 v3, v3, v6
	v_add_f32_e32 v3, v3, v7
.LBB145_40:                             ;   in Loop: Header=BB145_3 Depth=1
	v_mul_f32_e32 v5, v11, v19
	s_add_u32 s30, s30, s22
	s_waitcnt lgkmcnt(0)
	v_fmac_f32_e32 v3, v5, v4
	s_addc_u32 s31, s31, 0
	v_mov_b64_e32 v[4:5], s[12:13]
	s_add_u32 s28, s28, s22
	v_cmp_lt_i64_e32 vcc, s[30:31], v[4:5]
	v_lshl_add_u64 v[24:25], v[24:25], 0, s[26:27]
	v_lshl_add_u64 v[26:27], v[26:27], 0, s[26:27]
	;; [unrolled: 1-line block ×17, first 2 shown]
	s_addc_u32 s29, 0, s29
	s_cbranch_vccz .LBB145_50
; %bb.41:                               ;   in Loop: Header=BB145_3 Depth=1
	v_mov_b32_e32 v60, v3
	s_branch .LBB145_3
.LBB145_42:                             ;   in Loop: Header=BB145_3 Depth=1
	v_lshl_add_u64 v[4:5], v[24:25], 0, v[22:23]
	v_lshl_add_u64 v[6:7], v[26:27], 0, v[22:23]
	global_load_dword v4, v[4:5], off
	v_mov_b32_e32 v5, v2
	global_load_dword v12, v[6:7], off
	v_mov_b32_e32 v6, v2
	v_mov_b32_e32 v7, v2
	;; [unrolled: 1-line block ×13, first 2 shown]
	s_or_b64 exec, exec, s[34:35]
	s_and_saveexec_b64 s[34:35], s[6:7]
	s_cbranch_execz .LBB145_32
.LBB145_43:                             ;   in Loop: Header=BB145_3 Depth=1
	v_lshl_add_u64 v[56:57], v[52:53], 0, v[22:23]
	global_load_dword v5, v[56:57], off
	v_lshl_add_u64 v[56:57], v[54:55], 0, v[22:23]
	global_load_dword v13, v[56:57], off
	s_or_b64 exec, exec, s[34:35]
	s_and_saveexec_b64 s[34:35], s[6:7]
	s_cbranch_execz .LBB145_33
.LBB145_44:                             ;   in Loop: Header=BB145_3 Depth=1
	v_lshl_add_u64 v[56:57], v[48:49], 0, v[22:23]
	global_load_dword v6, v[56:57], off
	v_lshl_add_u64 v[56:57], v[50:51], 0, v[22:23]
	global_load_dword v14, v[56:57], off
	s_or_b64 exec, exec, s[34:35]
	s_and_saveexec_b64 s[34:35], s[6:7]
	s_cbranch_execz .LBB145_34
.LBB145_45:                             ;   in Loop: Header=BB145_3 Depth=1
	v_lshl_add_u64 v[56:57], v[44:45], 0, v[22:23]
	global_load_dword v7, v[56:57], off
	v_lshl_add_u64 v[56:57], v[46:47], 0, v[22:23]
	global_load_dword v15, v[56:57], off
	s_or_b64 exec, exec, s[34:35]
	s_and_saveexec_b64 s[34:35], s[6:7]
	s_cbranch_execz .LBB145_35
.LBB145_46:                             ;   in Loop: Header=BB145_3 Depth=1
	v_lshl_add_u64 v[56:57], v[40:41], 0, v[22:23]
	global_load_dword v8, v[56:57], off
	v_lshl_add_u64 v[56:57], v[42:43], 0, v[22:23]
	global_load_dword v16, v[56:57], off
	s_or_b64 exec, exec, s[34:35]
	s_and_saveexec_b64 s[34:35], s[6:7]
	s_cbranch_execz .LBB145_36
.LBB145_47:                             ;   in Loop: Header=BB145_3 Depth=1
	v_lshl_add_u64 v[56:57], v[36:37], 0, v[22:23]
	global_load_dword v9, v[56:57], off
	v_lshl_add_u64 v[56:57], v[38:39], 0, v[22:23]
	global_load_dword v17, v[56:57], off
	s_or_b64 exec, exec, s[34:35]
	s_and_saveexec_b64 s[34:35], s[6:7]
	s_cbranch_execz .LBB145_37
.LBB145_48:                             ;   in Loop: Header=BB145_3 Depth=1
	v_lshl_add_u64 v[56:57], v[32:33], 0, v[22:23]
	global_load_dword v10, v[56:57], off
	v_lshl_add_u64 v[56:57], v[34:35], 0, v[22:23]
	global_load_dword v18, v[56:57], off
	s_or_b64 exec, exec, s[34:35]
	s_and_saveexec_b64 s[34:35], s[6:7]
	s_cbranch_execnz .LBB145_38
	s_branch .LBB145_39
.LBB145_49:
                                        ; implicit-def: $vgpr3
	s_load_dwordx2 s[6:7], s[0:1], 0x30
	s_branch .LBB145_51
.LBB145_50:
	s_load_dwordx2 s[6:7], s[0:1], 0x30
	s_cbranch_execnz .LBB145_83
.LBB145_51:
	s_and_b64 vcc, exec, s[4:5]
	v_mov_b32_e32 v3, 0
	s_cbranch_vccnz .LBB145_83
; %bb.52:
	v_mov_b32_e32 v2, 0
	v_bfe_u32 v86, v0, 10, 10
	v_lshlrev_b32_e32 v6, 5, v86
	v_mov_b32_e32 v7, v2
	v_lshl_add_u64 v[6:7], s[20:21], 2, v[6:7]
	v_lshl_add_u64 v[8:9], v[6:7], 0, 4
	v_mov_b64_e32 v[10:11], s[16:17]
	v_lshl_add_u64 v[12:13], v[6:7], 0, 8
	v_lshl_add_u64 v[14:15], v[6:7], 0, 12
	;; [unrolled: 1-line block ×6, first 2 shown]
	v_mad_u64_u32 v[22:23], s[4:5], s14, v8, v[10:11]
	v_mad_u64_u32 v[24:25], s[4:5], s14, v12, v[10:11]
	;; [unrolled: 1-line block ×7, first 2 shown]
	v_mov_b64_e32 v[10:11], s[18:19]
	v_mul_lo_u32 v9, s14, v9
	v_mul_lo_u32 v38, s15, v8
	v_mad_u64_u32 v[36:37], s[4:5], s14, v8, v[10:11]
	v_add3_u32 v23, v38, v23, v9
	v_mul_lo_u32 v13, s14, v13
	v_mul_lo_u32 v40, s15, v12
	v_add3_u32 v37, v38, v37, v9
	v_mad_u64_u32 v[38:39], s[4:5], s14, v12, v[10:11]
	v_add3_u32 v25, v40, v25, v13
	v_mul_lo_u32 v15, s14, v15
	v_mul_lo_u32 v42, s15, v14
	v_add3_u32 v39, v40, v39, v13
	;; [unrolled: 5-line block ×3, first 2 shown]
	v_mad_u64_u32 v[42:43], s[4:5], s14, v16, v[10:11]
	v_lshlrev_b32_e32 v20, 3, v86
	v_mov_b32_e32 v21, v2
	v_add3_u32 v29, v44, v29, v17
	v_mul_lo_u32 v19, s14, v19
	v_mul_lo_u32 v48, s15, v18
	;; [unrolled: 1-line block ×4, first 2 shown]
	v_add3_u32 v43, v44, v43, v17
	v_mad_u64_u32 v[44:45], s[4:5], s14, v18, v[10:11]
	v_mad_u64_u32 v[46:47], s[4:5], s14, v46, v[10:11]
	v_lshl_add_u64 v[4:5], v[20:21], 0, s[20:21]
	v_add3_u32 v31, v48, v31, v19
	v_add3_u32 v33, v51, v33, v49
	v_mul_lo_u32 v7, s14, v7
	v_mul_lo_u32 v8, s15, v6
	v_add3_u32 v45, v48, v45, v19
	v_add3_u32 v47, v51, v47, v49
	v_mad_u64_u32 v[48:49], s[4:5], s14, v6, v[10:11]
	v_add3_u32 v35, v8, v35, v7
	v_add3_u32 v49, v8, v49, v7
	v_lshl_add_u64 v[6:7], v[4:5], 0, 7
	v_mul_lo_u32 v8, s15, v6
	v_mul_lo_u32 v9, s14, v7
	v_mad_u64_u32 v[6:7], s[4:5], s14, v6, 0
	v_add3_u32 v7, v7, v9, v8
	v_lshl_add_u64 v[8:9], v[4:5], 0, 6
	v_mul_lo_u32 v10, s15, v8
	v_mul_lo_u32 v11, s14, v9
	v_mad_u64_u32 v[8:9], s[4:5], s14, v8, 0
	v_add3_u32 v9, v9, v11, v10
	v_lshl_add_u64 v[10:11], v[4:5], 0, 5
	v_mul_lo_u32 v12, s15, v10
	v_mul_lo_u32 v13, s14, v11
	v_mad_u64_u32 v[10:11], s[4:5], s14, v10, 0
	v_add3_u32 v11, v11, v13, v12
	v_lshl_add_u64 v[12:13], v[4:5], 0, 4
	v_mul_lo_u32 v14, s15, v12
	v_mul_lo_u32 v15, s14, v13
	v_mad_u64_u32 v[12:13], s[4:5], s14, v12, 0
	v_add3_u32 v13, v13, v15, v14
	v_lshl_add_u64 v[14:15], v[4:5], 0, 3
	v_mul_lo_u32 v16, s15, v14
	v_mul_lo_u32 v17, s14, v15
	v_mad_u64_u32 v[14:15], s[4:5], s14, v14, 0
	v_add3_u32 v15, v15, v17, v16
	v_lshl_add_u64 v[16:17], v[4:5], 0, 2
	v_mul_lo_u32 v50, s14, v5
	v_mul_lo_u32 v5, s15, v16
	;; [unrolled: 1-line block ×3, first 2 shown]
	v_mad_u64_u32 v[16:17], s[4:5], s14, v16, 0
	v_add3_u32 v17, v17, v18, v5
	v_mov_b64_e32 v[18:19], s[14:15]
	v_mul_lo_u32 v3, s15, v4
	v_mad_u64_u32 v[18:19], s[4:5], s14, v4, v[18:19]
	v_mad_u64_u32 v[4:5], s[4:5], s14, v4, 0
	v_and_b32_e32 v1, 0x3ff, v0
	v_add3_u32 v5, v5, v50, v3
	v_add3_u32 v19, v3, v19, v50
	v_add_u32_e32 v50, s3, v1
	s_load_dword s3, s[0:1], 0x44
	v_lshlrev_b64 v[4:5], 2, v[4:5]
	v_lshl_add_u64 v[52:53], s[16:17], 0, v[4:5]
	v_lshl_add_u64 v[54:55], s[18:19], 0, v[4:5]
	v_lshlrev_b64 v[4:5], 2, v[6:7]
	v_lshl_add_u64 v[56:57], s[16:17], 0, v[4:5]
	v_lshl_add_u64 v[58:59], s[18:19], 0, v[4:5]
	;; [unrolled: 3-line block ×3, first 2 shown]
	v_lshlrev_b64 v[4:5], 2, v[10:11]
	s_add_u32 s22, s0, 64
	v_lshl_add_u64 v[64:65], s[16:17], 0, v[4:5]
	v_lshl_add_u64 v[66:67], s[18:19], 0, v[4:5]
	v_lshlrev_b64 v[4:5], 2, v[12:13]
	s_addc_u32 s23, s1, 0
	s_waitcnt lgkmcnt(0)
	s_lshl_b32 s4, s3, 3
	v_lshl_add_u64 v[68:69], s[16:17], 0, v[4:5]
	v_lshl_add_u64 v[70:71], s[18:19], 0, v[4:5]
	v_lshlrev_b64 v[4:5], 2, v[14:15]
	v_mbcnt_lo_u32_b32 v3, -1, 0
	s_mul_i32 s3, s15, s4
	s_mul_hi_u32 s9, s14, s4
	v_lshl_add_u64 v[72:73], s[16:17], 0, v[4:5]
	v_lshl_add_u64 v[74:75], s[18:19], 0, v[4:5]
	v_lshlrev_b64 v[4:5], 2, v[16:17]
	v_mbcnt_hi_u32_b32 v3, -1, v3
	v_mov_b32_e32 v51, v2
	s_add_i32 s25, s9, s3
	s_mul_i32 s24, s14, s4
	v_lshl_add_u64 v[76:77], s[16:17], 0, v[4:5]
	v_lshl_add_u64 v[78:79], s[18:19], 0, v[4:5]
	v_lshlrev_b64 v[4:5], 2, v[18:19]
	v_lshlrev_b32_e32 v3, 2, v3
	s_mov_b32 s5, 0
	v_lshlrev_b64 v[50:51], 2, v[50:51]
	s_lshl_b64 s[24:25], s[24:25], 2
	s_mov_b64 s[26:27], 7
	v_lshl_add_u64 v[80:81], s[16:17], 0, v[4:5]
	v_lshl_add_u64 v[82:83], s[18:19], 0, v[4:5]
	v_and_b32_e32 v87, 0x100, v3
	s_mov_b64 s[16:17], s[20:21]
	v_mov_b32_e32 v88, 0
.LBB145_53:                             ; =>This Inner Loop Header: Depth=1
	s_add_u32 s18, s20, s26
	s_addc_u32 s19, 0, s27
	v_mov_b64_e32 v[4:5], s[12:13]
	v_cmp_ge_i64_e32 vcc, s[18:19], v[4:5]
	v_lshl_add_u64 v[84:85], s[20:21], 0, v[20:21]
	s_mov_b64 s[18:19], -1
                                        ; implicit-def: $vgpr3
	s_cbranch_vccz .LBB145_75
; %bb.54:                               ;   in Loop: Header=BB145_53 Depth=1
	s_load_dword s3, s[22:23], 0xc
	v_mov_b32_e32 v89, 0
	s_waitcnt lgkmcnt(0)
	s_and_b32 s3, s3, 0xffff
	v_mad_u32_u24 v3, v86, s3, v1
	v_and_b32_e32 v4, 63, v3
	v_cmp_gt_u32_e32 vcc, 8, v4
	s_and_saveexec_b64 s[18:19], vcc
	s_cbranch_execz .LBB145_58
; %bb.55:                               ;   in Loop: Header=BB145_53 Depth=1
	v_mov_b32_e32 v5, v2
	v_lshl_add_u64 v[4:5], v[84:85], 0, v[4:5]
	v_cmp_gt_i64_e32 vcc, s[12:13], v[4:5]
	v_mov_b32_e32 v89, 0
	s_and_saveexec_b64 s[28:29], vcc
	s_cbranch_execz .LBB145_57
; %bb.56:                               ;   in Loop: Header=BB145_53 Depth=1
	v_lshl_add_u64 v[4:5], v[4:5], 2, s[10:11]
	global_load_dword v89, v[4:5], off
.LBB145_57:                             ;   in Loop: Header=BB145_53 Depth=1
	s_or_b64 exec, exec, s[28:29]
.LBB145_58:                             ;   in Loop: Header=BB145_53 Depth=1
	s_or_b64 exec, exec, s[18:19]
	v_mov_b32_e32 v8, v2
	v_mov_b32_e32 v9, v2
	;; [unrolled: 1-line block ×7, first 2 shown]
	v_mov_b64_e32 v[18:19], v[8:9]
	v_mov_b64_e32 v[16:17], v[6:7]
	;; [unrolled: 1-line block ×5, first 2 shown]
	v_cmp_gt_i64_e32 vcc, s[12:13], v[84:85]
	v_mov_b64_e32 v[8:9], v[6:7]
	v_mov_b64_e32 v[6:7], v[4:5]
	;; [unrolled: 1-line block ×3, first 2 shown]
	s_and_saveexec_b64 s[18:19], vcc
	s_cbranch_execz .LBB145_60
; %bb.59:                               ;   in Loop: Header=BB145_53 Depth=1
	v_lshl_add_u64 v[4:5], v[52:53], 0, v[50:51]
	v_lshl_add_u64 v[6:7], v[54:55], 0, v[50:51]
	global_load_dword v4, v[4:5], off
	v_mov_b32_e32 v5, v2
	global_load_dword v12, v[6:7], off
	v_mov_b32_e32 v6, v2
	v_mov_b32_e32 v7, v2
	;; [unrolled: 1-line block ×13, first 2 shown]
.LBB145_60:                             ;   in Loop: Header=BB145_53 Depth=1
	s_or_b64 exec, exec, s[18:19]
	v_lshl_add_u64 v[90:91], v[84:85], 0, 1
	v_cmp_gt_i64_e32 vcc, s[12:13], v[90:91]
	s_and_saveexec_b64 s[18:19], vcc
	s_cbranch_execz .LBB145_62
; %bb.61:                               ;   in Loop: Header=BB145_53 Depth=1
	v_lshl_add_u64 v[90:91], v[80:81], 0, v[50:51]
	global_load_dword v5, v[90:91], off
	v_lshl_add_u64 v[90:91], v[82:83], 0, v[50:51]
	global_load_dword v13, v[90:91], off
.LBB145_62:                             ;   in Loop: Header=BB145_53 Depth=1
	s_or_b64 exec, exec, s[18:19]
	v_lshl_add_u64 v[90:91], v[84:85], 0, 2
	v_cmp_gt_i64_e32 vcc, s[12:13], v[90:91]
	s_and_saveexec_b64 s[18:19], vcc
	s_cbranch_execz .LBB145_64
; %bb.63:                               ;   in Loop: Header=BB145_53 Depth=1
	v_lshl_add_u64 v[90:91], v[76:77], 0, v[50:51]
	global_load_dword v6, v[90:91], off
	v_lshl_add_u64 v[90:91], v[78:79], 0, v[50:51]
	global_load_dword v14, v[90:91], off
.LBB145_64:                             ;   in Loop: Header=BB145_53 Depth=1
	;; [unrolled: 11-line block ×7, first 2 shown]
	s_or_b64 exec, exec, s[18:19]
	s_waitcnt vmcnt(0)
	ds_bpermute_b32 v90, v87, v89
	ds_bpermute_b32 v91, v87, v89 offset:4
	v_pk_mul_f32 v[6:7], v[14:15], v[6:7]
	ds_bpermute_b32 v14, v87, v89 offset:8
	ds_bpermute_b32 v15, v87, v89 offset:12
	v_pk_mul_f32 v[4:5], v[12:13], v[4:5]
	ds_bpermute_b32 v12, v87, v89 offset:24
	s_waitcnt lgkmcnt(3)
	v_pk_mul_f32 v[4:5], v[4:5], v[90:91]
	ds_bpermute_b32 v13, v87, v89 offset:28
	v_add_f32_e32 v3, v88, v4
	v_add_f32_e32 v3, v3, v5
	s_waitcnt lgkmcnt(2)
	v_pk_mul_f32 v[4:5], v[6:7], v[14:15]
	ds_bpermute_b32 v6, v87, v89 offset:16
	ds_bpermute_b32 v7, v87, v89 offset:20
	v_pk_mul_f32 v[8:9], v[16:17], v[8:9]
	v_add_f32_e32 v3, v3, v4
	v_add_f32_e32 v3, v3, v5
	v_pk_mul_f32 v[10:11], v[18:19], v[10:11]
	s_waitcnt lgkmcnt(0)
	v_pk_mul_f32 v[4:5], v[8:9], v[6:7]
	s_mov_b64 s[18:19], 0
	v_add_f32_e32 v3, v3, v4
	v_add_f32_e32 v3, v3, v5
	v_pk_mul_f32 v[4:5], v[10:11], v[12:13]
	s_nop 0
	v_add_f32_e32 v3, v3, v4
	v_add_f32_e32 v3, v3, v5
.LBB145_75:                             ;   in Loop: Header=BB145_53 Depth=1
	s_and_b64 vcc, exec, s[18:19]
	s_cbranch_vccz .LBB145_81
; %bb.76:                               ;   in Loop: Header=BB145_53 Depth=1
	s_load_dword s3, s[22:23], 0x0
	s_waitcnt lgkmcnt(0)
	s_cmp_lt_u32 s2, s3
	s_cselect_b32 s3, 12, 18
	s_add_u32 s18, s22, s3
	s_addc_u32 s19, s23, 0
	global_load_ushort v3, v2, s[18:19]
	s_waitcnt vmcnt(0)
	v_mad_u32_u24 v3, v86, v3, v1
	v_and_b32_e32 v4, 63, v3
	v_cmp_gt_u32_e32 vcc, 8, v4
	v_mov_b32_e32 v3, 0
	s_and_saveexec_b64 s[18:19], vcc
	s_cbranch_execz .LBB145_80
; %bb.77:                               ;   in Loop: Header=BB145_53 Depth=1
	v_mov_b32_e32 v5, v2
	v_lshl_add_u64 v[4:5], v[84:85], 0, v[4:5]
	v_cmp_gt_i64_e32 vcc, s[12:13], v[4:5]
	v_mov_b32_e32 v3, 0
	s_and_saveexec_b64 s[28:29], vcc
	s_cbranch_execz .LBB145_79
; %bb.78:                               ;   in Loop: Header=BB145_53 Depth=1
	v_lshl_add_u64 v[4:5], v[4:5], 2, s[10:11]
	global_load_dword v3, v[4:5], off
.LBB145_79:                             ;   in Loop: Header=BB145_53 Depth=1
	s_or_b64 exec, exec, s[28:29]
.LBB145_80:                             ;   in Loop: Header=BB145_53 Depth=1
	s_or_b64 exec, exec, s[18:19]
	v_lshl_add_u64 v[4:5], v[52:53], 0, v[50:51]
	v_lshl_add_u64 v[8:9], v[22:23], 0, v[50:51]
	global_load_dword v4, v[4:5], off
	v_lshl_add_u64 v[6:7], v[54:55], 0, v[50:51]
	global_load_dword v5, v[8:9], off
	;; [unrolled: 2-line block ×15, first 2 shown]
	s_waitcnt vmcnt(15)
	ds_bpermute_b32 v90, v87, v3 offset:8
	global_load_dword v19, v[84:85], off
	ds_bpermute_b32 v84, v87, v3
	ds_bpermute_b32 v85, v87, v3 offset:4
	ds_bpermute_b32 v91, v87, v3 offset:12
	;; [unrolled: 1-line block ×6, first 2 shown]
	s_waitcnt vmcnt(12)
	v_pk_mul_f32 v[4:5], v[4:5], v[6:7]
	s_waitcnt lgkmcnt(5)
	v_pk_mul_f32 v[4:5], v[4:5], v[84:85]
	s_waitcnt vmcnt(8)
	v_pk_mul_f32 v[6:7], v[8:9], v[10:11]
	v_add_f32_e32 v3, v88, v4
	s_waitcnt lgkmcnt(4)
	v_pk_mul_f32 v[6:7], v[6:7], v[90:91]
	v_add_f32_e32 v3, v3, v5
	v_add_f32_e32 v3, v3, v6
	;; [unrolled: 1-line block ×3, first 2 shown]
	s_waitcnt vmcnt(4)
	v_pk_mul_f32 v[8:9], v[12:13], v[14:15]
	s_waitcnt lgkmcnt(2)
	v_pk_mul_f32 v[8:9], v[8:9], v[92:93]
	s_waitcnt vmcnt(0)
	v_pk_mul_f32 v[10:11], v[16:17], v[18:19]
	v_add_f32_e32 v3, v3, v8
	v_add_f32_e32 v3, v3, v9
	s_waitcnt lgkmcnt(0)
	v_pk_mul_f32 v[4:5], v[10:11], v[94:95]
	s_nop 0
	v_add_f32_e32 v3, v3, v4
	v_add_f32_e32 v3, v3, v5
.LBB145_81:                             ;   in Loop: Header=BB145_53 Depth=1
	s_add_u32 s16, s16, s4
	s_addc_u32 s17, s17, 0
	v_mov_b64_e32 v[4:5], s[12:13]
	s_add_u32 s26, s26, s4
	v_cmp_ge_i64_e32 vcc, s[16:17], v[4:5]
	v_lshl_add_u64 v[52:53], v[52:53], 0, s[24:25]
	v_lshl_add_u64 v[54:55], v[54:55], 0, s[24:25]
	;; [unrolled: 1-line block ×31, first 2 shown]
	s_addc_u32 s27, 0, s27
	s_cbranch_vccnz .LBB145_83
; %bb.82:                               ;   in Loop: Header=BB145_53 Depth=1
	v_mov_b32_e32 v88, v3
	s_branch .LBB145_53
.LBB145_83:
	s_mov_b32 s3, 0
	s_lshl_b64 s[2:3], s[2:3], 6
	v_and_b32_e32 v1, 0x3ff, v0
	v_or_b32_e32 v4, s2, v1
	v_mov_b32_e32 v5, s3
	s_waitcnt lgkmcnt(0)
	s_cmp_lg_u64 s[6:7], 0
	v_cmp_gt_i64_e32 vcc, s[14:15], v[4:5]
	s_cselect_b64 s[2:3], -1, 0
	s_and_b64 s[2:3], vcc, s[2:3]
	s_and_saveexec_b64 s[4:5], s[2:3]
	s_cbranch_execz .LBB145_85
; %bb.84:
	s_load_dword s0, s[0:1], 0x4c
	v_bfe_u32 v0, v0, 10, 10
	v_mov_b32_e32 v1, 0
	v_mov_b32_e32 v2, s8
	s_waitcnt lgkmcnt(0)
	s_lshr_b32 s0, s0, 16
	v_mad_u64_u32 v[0:1], s[0:1], s0, v2, v[0:1]
	v_mul_lo_u32 v2, v1, s14
	v_mul_lo_u32 v6, v0, s15
	v_mad_u64_u32 v[0:1], s[0:1], v0, s14, 0
	v_add3_u32 v1, v1, v6, v2
	v_lshl_add_u64 v[0:1], v[0:1], 2, s[6:7]
	v_lshl_add_u64 v[0:1], v[4:5], 2, v[0:1]
	global_store_dword v[0:1], v3, off
.LBB145_85:
	s_endpgm
	.section	.rodata,"a",@progbits
	.p2align	6, 0x0
	.amdhsa_kernel _ZN2at6native12_GLOBAL__N_135GammaBetaBackwardCUDAKernelTemplateIffLj64ELj1ELj8ELb1ELb0ELb1EEEvllPKT_S5_PKT0_S8_PS3_S9_
		.amdhsa_group_segment_fixed_size 0
		.amdhsa_private_segment_fixed_size 0
		.amdhsa_kernarg_size 320
		.amdhsa_user_sgpr_count 2
		.amdhsa_user_sgpr_dispatch_ptr 0
		.amdhsa_user_sgpr_queue_ptr 0
		.amdhsa_user_sgpr_kernarg_segment_ptr 1
		.amdhsa_user_sgpr_dispatch_id 0
		.amdhsa_user_sgpr_kernarg_preload_length 0
		.amdhsa_user_sgpr_kernarg_preload_offset 0
		.amdhsa_user_sgpr_private_segment_size 0
		.amdhsa_uses_dynamic_stack 0
		.amdhsa_enable_private_segment 0
		.amdhsa_system_sgpr_workgroup_id_x 1
		.amdhsa_system_sgpr_workgroup_id_y 1
		.amdhsa_system_sgpr_workgroup_id_z 0
		.amdhsa_system_sgpr_workgroup_info 0
		.amdhsa_system_vgpr_workitem_id 1
		.amdhsa_next_free_vgpr 96
		.amdhsa_next_free_sgpr 38
		.amdhsa_accum_offset 96
		.amdhsa_reserve_vcc 1
		.amdhsa_float_round_mode_32 0
		.amdhsa_float_round_mode_16_64 0
		.amdhsa_float_denorm_mode_32 3
		.amdhsa_float_denorm_mode_16_64 3
		.amdhsa_dx10_clamp 1
		.amdhsa_ieee_mode 1
		.amdhsa_fp16_overflow 0
		.amdhsa_tg_split 0
		.amdhsa_exception_fp_ieee_invalid_op 0
		.amdhsa_exception_fp_denorm_src 0
		.amdhsa_exception_fp_ieee_div_zero 0
		.amdhsa_exception_fp_ieee_overflow 0
		.amdhsa_exception_fp_ieee_underflow 0
		.amdhsa_exception_fp_ieee_inexact 0
		.amdhsa_exception_int_div_zero 0
	.end_amdhsa_kernel
	.section	.text._ZN2at6native12_GLOBAL__N_135GammaBetaBackwardCUDAKernelTemplateIffLj64ELj1ELj8ELb1ELb0ELb1EEEvllPKT_S5_PKT0_S8_PS3_S9_,"axG",@progbits,_ZN2at6native12_GLOBAL__N_135GammaBetaBackwardCUDAKernelTemplateIffLj64ELj1ELj8ELb1ELb0ELb1EEEvllPKT_S5_PKT0_S8_PS3_S9_,comdat
.Lfunc_end145:
	.size	_ZN2at6native12_GLOBAL__N_135GammaBetaBackwardCUDAKernelTemplateIffLj64ELj1ELj8ELb1ELb0ELb1EEEvllPKT_S5_PKT0_S8_PS3_S9_, .Lfunc_end145-_ZN2at6native12_GLOBAL__N_135GammaBetaBackwardCUDAKernelTemplateIffLj64ELj1ELj8ELb1ELb0ELb1EEEvllPKT_S5_PKT0_S8_PS3_S9_
                                        ; -- End function
	.set _ZN2at6native12_GLOBAL__N_135GammaBetaBackwardCUDAKernelTemplateIffLj64ELj1ELj8ELb1ELb0ELb1EEEvllPKT_S5_PKT0_S8_PS3_S9_.num_vgpr, 96
	.set _ZN2at6native12_GLOBAL__N_135GammaBetaBackwardCUDAKernelTemplateIffLj64ELj1ELj8ELb1ELb0ELb1EEEvllPKT_S5_PKT0_S8_PS3_S9_.num_agpr, 0
	.set _ZN2at6native12_GLOBAL__N_135GammaBetaBackwardCUDAKernelTemplateIffLj64ELj1ELj8ELb1ELb0ELb1EEEvllPKT_S5_PKT0_S8_PS3_S9_.numbered_sgpr, 38
	.set _ZN2at6native12_GLOBAL__N_135GammaBetaBackwardCUDAKernelTemplateIffLj64ELj1ELj8ELb1ELb0ELb1EEEvllPKT_S5_PKT0_S8_PS3_S9_.num_named_barrier, 0
	.set _ZN2at6native12_GLOBAL__N_135GammaBetaBackwardCUDAKernelTemplateIffLj64ELj1ELj8ELb1ELb0ELb1EEEvllPKT_S5_PKT0_S8_PS3_S9_.private_seg_size, 0
	.set _ZN2at6native12_GLOBAL__N_135GammaBetaBackwardCUDAKernelTemplateIffLj64ELj1ELj8ELb1ELb0ELb1EEEvllPKT_S5_PKT0_S8_PS3_S9_.uses_vcc, 1
	.set _ZN2at6native12_GLOBAL__N_135GammaBetaBackwardCUDAKernelTemplateIffLj64ELj1ELj8ELb1ELb0ELb1EEEvllPKT_S5_PKT0_S8_PS3_S9_.uses_flat_scratch, 0
	.set _ZN2at6native12_GLOBAL__N_135GammaBetaBackwardCUDAKernelTemplateIffLj64ELj1ELj8ELb1ELb0ELb1EEEvllPKT_S5_PKT0_S8_PS3_S9_.has_dyn_sized_stack, 0
	.set _ZN2at6native12_GLOBAL__N_135GammaBetaBackwardCUDAKernelTemplateIffLj64ELj1ELj8ELb1ELb0ELb1EEEvllPKT_S5_PKT0_S8_PS3_S9_.has_recursion, 0
	.set _ZN2at6native12_GLOBAL__N_135GammaBetaBackwardCUDAKernelTemplateIffLj64ELj1ELj8ELb1ELb0ELb1EEEvllPKT_S5_PKT0_S8_PS3_S9_.has_indirect_call, 0
	.section	.AMDGPU.csdata,"",@progbits
; Kernel info:
; codeLenInByte = 5680
; TotalNumSgprs: 44
; NumVgprs: 96
; NumAgprs: 0
; TotalNumVgprs: 96
; ScratchSize: 0
; MemoryBound: 0
; FloatMode: 240
; IeeeMode: 1
; LDSByteSize: 0 bytes/workgroup (compile time only)
; SGPRBlocks: 5
; VGPRBlocks: 11
; NumSGPRsForWavesPerEU: 44
; NumVGPRsForWavesPerEU: 96
; AccumOffset: 96
; Occupancy: 5
; WaveLimiterHint : 0
; COMPUTE_PGM_RSRC2:SCRATCH_EN: 0
; COMPUTE_PGM_RSRC2:USER_SGPR: 2
; COMPUTE_PGM_RSRC2:TRAP_HANDLER: 0
; COMPUTE_PGM_RSRC2:TGID_X_EN: 1
; COMPUTE_PGM_RSRC2:TGID_Y_EN: 1
; COMPUTE_PGM_RSRC2:TGID_Z_EN: 0
; COMPUTE_PGM_RSRC2:TIDIG_COMP_CNT: 1
; COMPUTE_PGM_RSRC3_GFX90A:ACCUM_OFFSET: 23
; COMPUTE_PGM_RSRC3_GFX90A:TG_SPLIT: 0
	.section	.text._ZN2at6native12_GLOBAL__N_135GammaBetaBackwardCUDAKernelTemplateIffLj64ELj8ELj64ELb0ELb1ELb1EEEvllPKT_S5_PKT0_S8_PS3_S9_,"axG",@progbits,_ZN2at6native12_GLOBAL__N_135GammaBetaBackwardCUDAKernelTemplateIffLj64ELj8ELj64ELb0ELb1ELb1EEEvllPKT_S5_PKT0_S8_PS3_S9_,comdat
	.globl	_ZN2at6native12_GLOBAL__N_135GammaBetaBackwardCUDAKernelTemplateIffLj64ELj8ELj64ELb0ELb1ELb1EEEvllPKT_S5_PKT0_S8_PS3_S9_ ; -- Begin function _ZN2at6native12_GLOBAL__N_135GammaBetaBackwardCUDAKernelTemplateIffLj64ELj8ELj64ELb0ELb1ELb1EEEvllPKT_S5_PKT0_S8_PS3_S9_
	.p2align	8
	.type	_ZN2at6native12_GLOBAL__N_135GammaBetaBackwardCUDAKernelTemplateIffLj64ELj8ELj64ELb0ELb1ELb1EEEvllPKT_S5_PKT0_S8_PS3_S9_,@function
_ZN2at6native12_GLOBAL__N_135GammaBetaBackwardCUDAKernelTemplateIffLj64ELj8ELj64ELb0ELb1ELb1EEEvllPKT_S5_PKT0_S8_PS3_S9_: ; @_ZN2at6native12_GLOBAL__N_135GammaBetaBackwardCUDAKernelTemplateIffLj64ELj8ELj64ELb0ELb1ELb1EEEvllPKT_S5_PKT0_S8_PS3_S9_
; %bb.0:
	s_load_dwordx4 s[4:7], s[0:1], 0x0
	s_lshl_b32 s14, s3, 6
	s_mov_b32 s15, 0
	v_mov_b64_e32 v[2:3], s[14:15]
	v_bfe_u32 v12, v0, 10, 10
	s_waitcnt lgkmcnt(0)
	v_cmp_gt_i64_e32 vcc, s[4:5], v[2:3]
	s_cbranch_vccnz .LBB146_2
; %bb.1:
	s_mov_b64 s[8:9], 0
	v_bfe_u32 v2, v0, 10, 10
	s_branch .LBB146_3
.LBB146_2:
	s_mov_b64 s[8:9], -1
                                        ; implicit-def: $vgpr2
.LBB146_3:
	s_load_dwordx2 s[12:13], s[0:1], 0x30
	v_and_b32_e32 v10, 0x3ff, v0
	v_mov_b32_e32 v1, 0
	s_andn2_b64 vcc, exec, s[8:9]
	v_mbcnt_lo_u32_b32 v11, -1, 0
	s_cbranch_vccnz .LBB146_11
; %bb.4:
	s_load_dword s3, s[0:1], 0x4c
	s_load_dword s16, s[0:1], 0x44
	s_load_dwordx2 s[18:19], s[0:1], 0x28
	s_load_dwordx4 s[8:11], s[0:1], 0x10
	v_lshlrev_b32_e32 v0, 3, v12
	s_waitcnt lgkmcnt(0)
	s_and_b32 s0, s3, 0xffff
	v_mad_u32_u24 v1, v12, s0, v10
	v_and_b32_e32 v2, 63, v1
	v_mov_b32_e32 v1, 0
	v_mov_b32_e32 v3, v1
	v_lshl_add_u64 v[8:9], v[0:1], 0, s[14:15]
	v_cmp_gt_u32_e64 s[0:1], 8, v2
	v_mbcnt_hi_u32_b32 v4, -1, v11
	s_lshl_b32 s16, s16, 6
	v_lshl_add_u64 v[2:3], v[8:9], 0, v[2:3]
	v_mul_lo_u32 v0, s7, v8
	v_mul_lo_u32 v21, s6, v9
	v_mad_u64_u32 v[8:9], s[20:21], s6, v8, 0
	v_lshl_add_u32 v6, s2, 6, v10
	v_mov_b32_e32 v7, v1
	v_lshlrev_b32_e32 v4, 2, v4
	s_mul_i32 s3, s7, s16
	s_mul_hi_u32 s20, s6, s16
	s_mov_b32 s17, 0
	v_and_b32_e32 v13, 0x100, v4
	v_add3_u32 v9, v9, v21, v0
	v_lshlrev_b64 v[6:7], 2, v[6:7]
	s_add_i32 s21, s20, s3
	s_mul_i32 s20, s6, s16
	v_or_b32_e32 v14, 4, v13
	v_or_b32_e32 v15, 8, v13
	;; [unrolled: 1-line block ×7, first 2 shown]
	v_lshl_add_u64 v[4:5], v[2:3], 2, s[18:19]
	s_lshl_b64 s[18:19], s[16:17], 2
	v_lshl_add_u64 v[6:7], v[8:9], 2, v[6:7]
	s_lshl_b64 s[20:21], s[20:21], 2
	s_lshl_b64 s[6:7], s[6:7], 2
	v_mov_b64_e32 v[8:9], s[4:5]
	s_branch .LBB146_7
.LBB146_5:                              ;   in Loop: Header=BB146_7 Depth=1
	s_or_b64 exec, exec, s[24:25]
.LBB146_6:                              ;   in Loop: Header=BB146_7 Depth=1
	s_or_b64 exec, exec, s[22:23]
	v_lshl_add_u64 v[22:23], s[8:9], 0, v[6:7]
	global_load_dword v24, v[22:23], off
	v_lshl_add_u64 v[26:27], s[10:11], 0, v[6:7]
	v_lshl_add_u64 v[22:23], v[22:23], 0, s[6:7]
	global_load_dword v28, v[26:27], off
	global_load_dword v25, v[22:23], off
	v_lshl_add_u64 v[26:27], v[26:27], 0, s[6:7]
	v_lshl_add_u64 v[22:23], v[22:23], 0, s[6:7]
	global_load_dword v29, v[26:27], off
	global_load_dword v30, v[22:23], off
	v_lshl_add_u64 v[26:27], v[26:27], 0, s[6:7]
	v_lshl_add_u64 v[22:23], v[22:23], 0, s[6:7]
	global_load_dword v32, v[26:27], off
	global_load_dword v31, v[22:23], off
	v_lshl_add_u64 v[26:27], v[26:27], 0, s[6:7]
	v_lshl_add_u64 v[22:23], v[22:23], 0, s[6:7]
	global_load_dword v33, v[26:27], off
	global_load_dword v34, v[22:23], off
	v_lshl_add_u64 v[26:27], v[26:27], 0, s[6:7]
	v_lshl_add_u64 v[22:23], v[22:23], 0, s[6:7]
	global_load_dword v36, v[26:27], off
	global_load_dword v35, v[22:23], off
	v_lshl_add_u64 v[26:27], v[26:27], 0, s[6:7]
	v_lshl_add_u64 v[22:23], v[22:23], 0, s[6:7]
	global_load_dword v37, v[26:27], off
	global_load_dword v38, v[22:23], off
	v_lshl_add_u64 v[26:27], v[26:27], 0, s[6:7]
	v_lshl_add_u64 v[22:23], v[22:23], 0, s[6:7]
	global_load_dword v39, v[22:23], off
	v_lshl_add_u64 v[22:23], v[26:27], 0, s[6:7]
	global_load_dword v40, v[26:27], off
	global_load_dword v41, v[22:23], off
	s_waitcnt vmcnt(16)
	ds_bpermute_b32 v22, v13, v0
	ds_bpermute_b32 v23, v14, v0
	;; [unrolled: 1-line block ×8, first 2 shown]
	s_add_u32 s14, s14, s16
	s_addc_u32 s15, s15, 0
	v_cmp_lt_i64_e32 vcc, s[14:15], v[8:9]
	v_lshl_add_u64 v[4:5], v[4:5], 0, s[18:19]
	v_lshl_add_u64 v[2:3], v[2:3], 0, s[16:17]
	;; [unrolled: 1-line block ×3, first 2 shown]
	s_and_b64 vcc, exec, vcc
	s_waitcnt vmcnt(12)
	v_pk_mul_f32 v[24:25], v[24:25], v[28:29]
	s_waitcnt lgkmcnt(6)
	v_pk_mul_f32 v[22:23], v[24:25], v[22:23]
	s_nop 0
	v_add_f32_e32 v21, v1, v22
	v_add_f32_e32 v21, v21, v23
	s_waitcnt vmcnt(8)
	v_pk_mul_f32 v[0:1], v[30:31], v[32:33]
	s_waitcnt lgkmcnt(4)
	v_pk_mul_f32 v[0:1], v[0:1], v[26:27]
	s_waitcnt vmcnt(4)
	v_pk_mul_f32 v[22:23], v[34:35], v[36:37]
	v_add_f32_e32 v0, v21, v0
	v_add_f32_e32 v21, v0, v1
	s_waitcnt lgkmcnt(2)
	v_pk_mul_f32 v[0:1], v[22:23], v[42:43]
	s_waitcnt vmcnt(0)
	v_pk_mul_f32 v[22:23], v[38:39], v[40:41]
	v_add_f32_e32 v0, v21, v0
	v_add_f32_e32 v21, v0, v1
	s_waitcnt lgkmcnt(0)
	v_pk_mul_f32 v[0:1], v[22:23], v[44:45]
	s_nop 0
	v_add_f32_e32 v0, v21, v0
	v_add_f32_e32 v1, v0, v1
	s_cbranch_vccz .LBB146_10
.LBB146_7:                              ; =>This Inner Loop Header: Depth=1
	v_mov_b32_e32 v0, 0
	s_and_saveexec_b64 s[22:23], s[0:1]
	s_cbranch_execz .LBB146_6
; %bb.8:                                ;   in Loop: Header=BB146_7 Depth=1
	v_cmp_gt_i64_e32 vcc, s[4:5], v[2:3]
	v_mov_b32_e32 v0, 0
	s_and_saveexec_b64 s[24:25], vcc
	s_cbranch_execz .LBB146_5
; %bb.9:                                ;   in Loop: Header=BB146_7 Depth=1
	global_load_dword v0, v[4:5], off
	s_branch .LBB146_5
.LBB146_10:
	v_mov_b32_e32 v2, v12
.LBB146_11:
	s_movk_i32 s0, 0x41
	v_mad_u32_u24 v0, v2, s0, v10
	v_lshl_add_u32 v0, v0, 2, 0
	ds_write_b32 v0, v1
	v_mov_b32_e32 v1, 0
	ds_write_b32 v0, v1 offset:2080
	v_lshrrev_b32_e32 v0, 6, v10
	v_add_u32_e32 v0, v0, v2
	v_cmp_gt_u32_e32 vcc, 64, v0
	s_waitcnt lgkmcnt(0)
	s_barrier
	s_and_saveexec_b64 s[0:1], vcc
	s_cbranch_execz .LBB146_51
; %bb.12:
	v_and_b32_e32 v1, 63, v10
	v_cmp_gt_u32_e32 vcc, 8, v1
	v_mul_u32_u24_e32 v2, 0x41, v1
                                        ; implicit-def: $vgpr1
	s_and_saveexec_b64 s[0:1], vcc
; %bb.13:
	v_lshlrev_b32_e32 v1, 2, v0
	v_lshlrev_b32_e32 v3, 2, v2
	v_add3_u32 v1, 0, v1, v3
	ds_read_b32 v1, v1
; %bb.14:
	s_or_b64 exec, exec, s[0:1]
	v_mbcnt_hi_u32_b32 v5, -1, v11
	v_and_b32_e32 v3, 64, v5
	v_add_u32_e32 v6, 64, v3
	v_xor_b32_e32 v3, 4, v5
	v_cmp_lt_i32_e64 s[0:1], v3, v6
	v_xor_b32_e32 v7, 2, v5
	s_cmp_lg_u64 s[12:13], 0
	v_cndmask_b32_e64 v3, v5, v3, s[0:1]
	v_lshlrev_b32_e32 v3, 2, v3
	s_waitcnt lgkmcnt(0)
	ds_bpermute_b32 v4, v3, v1
	v_cmp_lt_i32_e64 s[0:1], v7, v6
	s_mov_b32 s3, 0
	s_cselect_b64 s[6:7], -1, 0
	s_waitcnt lgkmcnt(0)
	v_add_f32_e32 v1, v1, v4
	v_cndmask_b32_e64 v4, v5, v7, s[0:1]
	v_lshlrev_b32_e32 v4, 2, v4
	ds_bpermute_b32 v7, v4, v1
	v_cmp_eq_u32_e64 s[0:1], 0, v10
	s_waitcnt lgkmcnt(0)
	v_add_f32_e32 v1, v1, v7
	v_xor_b32_e32 v7, 1, v5
	v_cmp_lt_i32_e64 s[4:5], v7, v6
	s_nop 1
	v_cndmask_b32_e64 v5, v5, v7, s[4:5]
	v_lshlrev_b32_e32 v5, 2, v5
	ds_bpermute_b32 v6, v5, v1
	s_and_b64 s[4:5], s[0:1], s[6:7]
	s_lshl_b64 s[0:1], s[2:3], 8
	s_add_u32 s2, s12, s0
	s_addc_u32 s3, s13, s1
	s_waitcnt lgkmcnt(0)
	v_add_f32_e32 v6, v1, v6
	s_and_saveexec_b64 s[0:1], s[4:5]
	s_cbranch_execz .LBB146_16
; %bb.15:
	v_mov_b32_e32 v1, 0
	v_lshl_add_u64 v[8:9], v[0:1], 2, s[2:3]
	global_store_dword v[8:9], v6, off
.LBB146_16:
	s_or_b64 exec, exec, s[0:1]
	v_cmp_gt_u32_e64 s[0:1], 56, v0
	s_and_b64 exec, exec, s[0:1]
	s_cbranch_execz .LBB146_51
; %bb.17:
	s_and_saveexec_b64 s[0:1], vcc
; %bb.18:
	v_lshlrev_b32_e32 v1, 2, v0
	v_lshlrev_b32_e32 v6, 2, v2
	v_add3_u32 v1, 0, v1, v6
	ds_read_b32 v6, v1 offset:32
; %bb.19:
	s_or_b64 exec, exec, s[0:1]
	s_waitcnt lgkmcnt(0)
	ds_bpermute_b32 v1, v3, v6
	s_waitcnt lgkmcnt(0)
	v_add_f32_e32 v1, v6, v1
	ds_bpermute_b32 v6, v4, v1
	s_waitcnt lgkmcnt(0)
	v_add_f32_e32 v1, v1, v6
	ds_bpermute_b32 v6, v5, v1
	s_waitcnt lgkmcnt(0)
	v_add_f32_e32 v6, v1, v6
	s_and_saveexec_b64 s[0:1], s[4:5]
	s_cbranch_execz .LBB146_21
; %bb.20:
	v_mov_b32_e32 v1, 0
	v_lshl_add_u64 v[8:9], v[0:1], 2, s[2:3]
	global_store_dword v[8:9], v6, off offset:32
.LBB146_21:
	s_or_b64 exec, exec, s[0:1]
	v_cmp_gt_u32_e64 s[0:1], 48, v0
	s_and_b64 exec, exec, s[0:1]
	s_cbranch_execz .LBB146_51
; %bb.22:
	s_and_saveexec_b64 s[0:1], vcc
; %bb.23:
	v_lshlrev_b32_e32 v1, 2, v0
	v_lshlrev_b32_e32 v6, 2, v2
	v_add3_u32 v1, 0, v1, v6
	ds_read_b32 v6, v1 offset:64
; %bb.24:
	s_or_b64 exec, exec, s[0:1]
	s_waitcnt lgkmcnt(0)
	ds_bpermute_b32 v1, v3, v6
	s_waitcnt lgkmcnt(0)
	v_add_f32_e32 v1, v6, v1
	ds_bpermute_b32 v6, v4, v1
	s_waitcnt lgkmcnt(0)
	v_add_f32_e32 v1, v1, v6
	ds_bpermute_b32 v6, v5, v1
	s_waitcnt lgkmcnt(0)
	v_add_f32_e32 v6, v1, v6
	s_and_saveexec_b64 s[0:1], s[4:5]
	s_cbranch_execz .LBB146_26
; %bb.25:
	v_mov_b32_e32 v1, 0
	v_lshl_add_u64 v[8:9], v[0:1], 2, s[2:3]
	global_store_dword v[8:9], v6, off offset:64
.LBB146_26:
	;; [unrolled: 30-line block ×6, first 2 shown]
	s_or_b64 exec, exec, s[0:1]
	v_cmp_gt_u32_e64 s[0:1], 8, v0
	s_and_b64 exec, exec, s[0:1]
	s_cbranch_execz .LBB146_51
; %bb.47:
	s_and_saveexec_b64 s[0:1], vcc
; %bb.48:
	v_lshlrev_b32_e32 v1, 2, v0
	v_lshlrev_b32_e32 v2, 2, v2
	v_add3_u32 v1, 0, v1, v2
	ds_read_b32 v6, v1 offset:224
; %bb.49:
	s_or_b64 exec, exec, s[0:1]
	s_waitcnt lgkmcnt(0)
	ds_bpermute_b32 v1, v3, v6
	s_waitcnt lgkmcnt(0)
	v_add_f32_e32 v1, v6, v1
	ds_bpermute_b32 v2, v4, v1
	s_waitcnt lgkmcnt(0)
	v_add_f32_e32 v1, v1, v2
	ds_bpermute_b32 v2, v5, v1
	s_and_saveexec_b64 s[0:1], s[4:5]
	s_xor_b64 s[0:1], exec, s[0:1]
	s_cbranch_execz .LBB146_51
; %bb.50:
	s_waitcnt lgkmcnt(0)
	v_add_f32_e32 v2, v1, v2
	v_mov_b32_e32 v1, 0
	v_lshl_add_u64 v[0:1], v[0:1], 2, s[2:3]
	global_store_dword v[0:1], v2, off offset:224
.LBB146_51:
	s_endpgm
	.section	.rodata,"a",@progbits
	.p2align	6, 0x0
	.amdhsa_kernel _ZN2at6native12_GLOBAL__N_135GammaBetaBackwardCUDAKernelTemplateIffLj64ELj8ELj64ELb0ELb1ELb1EEEvllPKT_S5_PKT0_S8_PS3_S9_
		.amdhsa_group_segment_fixed_size 0
		.amdhsa_private_segment_fixed_size 0
		.amdhsa_kernarg_size 320
		.amdhsa_user_sgpr_count 2
		.amdhsa_user_sgpr_dispatch_ptr 0
		.amdhsa_user_sgpr_queue_ptr 0
		.amdhsa_user_sgpr_kernarg_segment_ptr 1
		.amdhsa_user_sgpr_dispatch_id 0
		.amdhsa_user_sgpr_kernarg_preload_length 0
		.amdhsa_user_sgpr_kernarg_preload_offset 0
		.amdhsa_user_sgpr_private_segment_size 0
		.amdhsa_uses_dynamic_stack 0
		.amdhsa_enable_private_segment 0
		.amdhsa_system_sgpr_workgroup_id_x 1
		.amdhsa_system_sgpr_workgroup_id_y 1
		.amdhsa_system_sgpr_workgroup_id_z 0
		.amdhsa_system_sgpr_workgroup_info 0
		.amdhsa_system_vgpr_workitem_id 1
		.amdhsa_next_free_vgpr 46
		.amdhsa_next_free_sgpr 26
		.amdhsa_accum_offset 48
		.amdhsa_reserve_vcc 1
		.amdhsa_float_round_mode_32 0
		.amdhsa_float_round_mode_16_64 0
		.amdhsa_float_denorm_mode_32 3
		.amdhsa_float_denorm_mode_16_64 3
		.amdhsa_dx10_clamp 1
		.amdhsa_ieee_mode 1
		.amdhsa_fp16_overflow 0
		.amdhsa_tg_split 0
		.amdhsa_exception_fp_ieee_invalid_op 0
		.amdhsa_exception_fp_denorm_src 0
		.amdhsa_exception_fp_ieee_div_zero 0
		.amdhsa_exception_fp_ieee_overflow 0
		.amdhsa_exception_fp_ieee_underflow 0
		.amdhsa_exception_fp_ieee_inexact 0
		.amdhsa_exception_int_div_zero 0
	.end_amdhsa_kernel
	.section	.text._ZN2at6native12_GLOBAL__N_135GammaBetaBackwardCUDAKernelTemplateIffLj64ELj8ELj64ELb0ELb1ELb1EEEvllPKT_S5_PKT0_S8_PS3_S9_,"axG",@progbits,_ZN2at6native12_GLOBAL__N_135GammaBetaBackwardCUDAKernelTemplateIffLj64ELj8ELj64ELb0ELb1ELb1EEEvllPKT_S5_PKT0_S8_PS3_S9_,comdat
.Lfunc_end146:
	.size	_ZN2at6native12_GLOBAL__N_135GammaBetaBackwardCUDAKernelTemplateIffLj64ELj8ELj64ELb0ELb1ELb1EEEvllPKT_S5_PKT0_S8_PS3_S9_, .Lfunc_end146-_ZN2at6native12_GLOBAL__N_135GammaBetaBackwardCUDAKernelTemplateIffLj64ELj8ELj64ELb0ELb1ELb1EEEvllPKT_S5_PKT0_S8_PS3_S9_
                                        ; -- End function
	.set _ZN2at6native12_GLOBAL__N_135GammaBetaBackwardCUDAKernelTemplateIffLj64ELj8ELj64ELb0ELb1ELb1EEEvllPKT_S5_PKT0_S8_PS3_S9_.num_vgpr, 46
	.set _ZN2at6native12_GLOBAL__N_135GammaBetaBackwardCUDAKernelTemplateIffLj64ELj8ELj64ELb0ELb1ELb1EEEvllPKT_S5_PKT0_S8_PS3_S9_.num_agpr, 0
	.set _ZN2at6native12_GLOBAL__N_135GammaBetaBackwardCUDAKernelTemplateIffLj64ELj8ELj64ELb0ELb1ELb1EEEvllPKT_S5_PKT0_S8_PS3_S9_.numbered_sgpr, 26
	.set _ZN2at6native12_GLOBAL__N_135GammaBetaBackwardCUDAKernelTemplateIffLj64ELj8ELj64ELb0ELb1ELb1EEEvllPKT_S5_PKT0_S8_PS3_S9_.num_named_barrier, 0
	.set _ZN2at6native12_GLOBAL__N_135GammaBetaBackwardCUDAKernelTemplateIffLj64ELj8ELj64ELb0ELb1ELb1EEEvllPKT_S5_PKT0_S8_PS3_S9_.private_seg_size, 0
	.set _ZN2at6native12_GLOBAL__N_135GammaBetaBackwardCUDAKernelTemplateIffLj64ELj8ELj64ELb0ELb1ELb1EEEvllPKT_S5_PKT0_S8_PS3_S9_.uses_vcc, 1
	.set _ZN2at6native12_GLOBAL__N_135GammaBetaBackwardCUDAKernelTemplateIffLj64ELj8ELj64ELb0ELb1ELb1EEEvllPKT_S5_PKT0_S8_PS3_S9_.uses_flat_scratch, 0
	.set _ZN2at6native12_GLOBAL__N_135GammaBetaBackwardCUDAKernelTemplateIffLj64ELj8ELj64ELb0ELb1ELb1EEEvllPKT_S5_PKT0_S8_PS3_S9_.has_dyn_sized_stack, 0
	.set _ZN2at6native12_GLOBAL__N_135GammaBetaBackwardCUDAKernelTemplateIffLj64ELj8ELj64ELb0ELb1ELb1EEEvllPKT_S5_PKT0_S8_PS3_S9_.has_recursion, 0
	.set _ZN2at6native12_GLOBAL__N_135GammaBetaBackwardCUDAKernelTemplateIffLj64ELj8ELj64ELb0ELb1ELb1EEEvllPKT_S5_PKT0_S8_PS3_S9_.has_indirect_call, 0
	.section	.AMDGPU.csdata,"",@progbits
; Kernel info:
; codeLenInByte = 2160
; TotalNumSgprs: 32
; NumVgprs: 46
; NumAgprs: 0
; TotalNumVgprs: 46
; ScratchSize: 0
; MemoryBound: 0
; FloatMode: 240
; IeeeMode: 1
; LDSByteSize: 0 bytes/workgroup (compile time only)
; SGPRBlocks: 3
; VGPRBlocks: 5
; NumSGPRsForWavesPerEU: 32
; NumVGPRsForWavesPerEU: 46
; AccumOffset: 48
; Occupancy: 8
; WaveLimiterHint : 0
; COMPUTE_PGM_RSRC2:SCRATCH_EN: 0
; COMPUTE_PGM_RSRC2:USER_SGPR: 2
; COMPUTE_PGM_RSRC2:TRAP_HANDLER: 0
; COMPUTE_PGM_RSRC2:TGID_X_EN: 1
; COMPUTE_PGM_RSRC2:TGID_Y_EN: 1
; COMPUTE_PGM_RSRC2:TGID_Z_EN: 0
; COMPUTE_PGM_RSRC2:TIDIG_COMP_CNT: 1
; COMPUTE_PGM_RSRC3_GFX90A:ACCUM_OFFSET: 11
; COMPUTE_PGM_RSRC3_GFX90A:TG_SPLIT: 0
	.section	.text._ZN2at6native12_GLOBAL__N_135GammaBetaBackwardCUDAKernelTemplateIffLj64ELj8ELj64ELb0ELb0ELb1EEEvllPKT_S5_PKT0_S8_PS3_S9_,"axG",@progbits,_ZN2at6native12_GLOBAL__N_135GammaBetaBackwardCUDAKernelTemplateIffLj64ELj8ELj64ELb0ELb0ELb1EEEvllPKT_S5_PKT0_S8_PS3_S9_,comdat
	.globl	_ZN2at6native12_GLOBAL__N_135GammaBetaBackwardCUDAKernelTemplateIffLj64ELj8ELj64ELb0ELb0ELb1EEEvllPKT_S5_PKT0_S8_PS3_S9_ ; -- Begin function _ZN2at6native12_GLOBAL__N_135GammaBetaBackwardCUDAKernelTemplateIffLj64ELj8ELj64ELb0ELb0ELb1EEEvllPKT_S5_PKT0_S8_PS3_S9_
	.p2align	8
	.type	_ZN2at6native12_GLOBAL__N_135GammaBetaBackwardCUDAKernelTemplateIffLj64ELj8ELj64ELb0ELb0ELb1EEEvllPKT_S5_PKT0_S8_PS3_S9_,@function
_ZN2at6native12_GLOBAL__N_135GammaBetaBackwardCUDAKernelTemplateIffLj64ELj8ELj64ELb0ELb0ELb1EEEvllPKT_S5_PKT0_S8_PS3_S9_: ; @_ZN2at6native12_GLOBAL__N_135GammaBetaBackwardCUDAKernelTemplateIffLj64ELj8ELj64ELb0ELb0ELb1EEEvllPKT_S5_PKT0_S8_PS3_S9_
; %bb.0:
	s_load_dwordx8 s[8:15], s[0:1], 0x0
	s_load_dwordx2 s[16:17], s[0:1], 0x28
	s_lshl_b32 s33, s2, 6
	s_mov_b32 s19, 0
	s_lshl_b32 s18, s3, 6
	s_or_b32 s4, s33, 63
	v_mov_b64_e32 v[4:5], s[18:19]
	v_mov_b32_e32 v2, s4
	v_mov_b32_e32 v3, 0
	s_waitcnt lgkmcnt(0)
	v_cmp_gt_i64_e64 s[4:5], s[8:9], v[4:5]
	v_cmp_le_i64_e32 vcc, s[10:11], v[2:3]
	s_nop 0
	v_cndmask_b32_e64 v1, 0, 1, s[4:5]
	v_cmp_ne_u32_e64 s[4:5], 1, v1
	s_cbranch_vccz .LBB147_49
; %bb.1:
	s_and_b64 vcc, exec, s[4:5]
	s_cbranch_vccnz .LBB147_50
; %bb.2:
	v_and_b32_e32 v1, 0x3ff, v0
	v_mov_b32_e32 v2, 0
	v_bfe_u32 v58, v0, 10, 10
	v_add_u32_e32 v4, s33, v1
	v_mov_b32_e32 v5, v2
	v_lshlrev_b32_e32 v20, 3, v58
	v_mov_b32_e32 v21, v2
	v_cmp_gt_i64_e64 s[6:7], s[10:11], v[4:5]
	v_lshlrev_b64 v[22:23], 2, v[4:5]
	v_lshl_add_u64 v[4:5], v[20:21], 0, s[18:19]
	v_mul_lo_u32 v3, s11, v4
	v_mul_lo_u32 v8, s10, v5
	v_mad_u64_u32 v[6:7], s[22:23], s10, v4, 0
	v_add3_u32 v7, v7, v8, v3
	v_lshlrev_b64 v[6:7], 2, v[6:7]
	v_lshl_add_u64 v[24:25], s[12:13], 0, v[6:7]
	v_lshl_add_u64 v[26:27], s[14:15], 0, v[6:7]
	v_lshl_add_u64 v[6:7], v[4:5], 0, 7
	v_mul_lo_u32 v9, s11, v6
	v_mul_lo_u32 v10, s10, v7
	v_mad_u64_u32 v[6:7], s[24:25], s10, v6, 0
	v_add3_u32 v7, v7, v10, v9
	v_lshlrev_b64 v[6:7], 2, v[6:7]
	v_lshl_add_u64 v[28:29], s[12:13], 0, v[6:7]
	v_lshl_add_u64 v[30:31], s[14:15], 0, v[6:7]
	;; [unrolled: 8-line block ×5, first 2 shown]
	v_lshl_add_u64 v[6:7], v[4:5], 0, 3
	v_mul_lo_u32 v9, s11, v6
	v_mul_lo_u32 v10, s10, v7
	v_mad_u64_u32 v[6:7], s[24:25], s10, v6, 0
	v_add3_u32 v7, v7, v10, v9
	s_load_dword s3, s[0:1], 0x44
	v_lshlrev_b64 v[6:7], 2, v[6:7]
	v_lshl_add_u64 v[44:45], s[12:13], 0, v[6:7]
	v_lshl_add_u64 v[46:47], s[14:15], 0, v[6:7]
	;; [unrolled: 1-line block ×3, first 2 shown]
	v_mul_lo_u32 v5, s11, v6
	v_mul_lo_u32 v9, s10, v7
	v_mad_u64_u32 v[6:7], s[24:25], s10, v6, 0
	v_add3_u32 v7, v7, v9, v5
	s_add_u32 s20, s0, 64
	v_lshlrev_b64 v[6:7], 2, v[6:7]
	s_addc_u32 s21, s1, 0
	s_waitcnt lgkmcnt(0)
	s_lshl_b32 s3, s3, 6
	v_lshl_add_u64 v[48:49], s[12:13], 0, v[6:7]
	v_lshl_add_u64 v[50:51], s[14:15], 0, v[6:7]
	v_mov_b64_e32 v[6:7], s[10:11]
	s_mul_i32 s22, s11, s3
	s_mul_hi_u32 s23, s10, s3
	v_mad_u64_u32 v[4:5], s[24:25], s10, v4, v[6:7]
	s_add_i32 s23, s23, s22
	s_mul_i32 s22, s10, s3
	v_add3_u32 v5, v3, v5, v8
	v_mbcnt_lo_u32_b32 v3, -1, 0
	s_lshl_b64 s[22:23], s[22:23], 2
	v_mbcnt_hi_u32_b32 v3, -1, v3
	v_lshlrev_b64 v[4:5], 2, v[4:5]
	s_add_u32 s24, s18, 63
	s_movk_i32 s26, 0xffc1
	s_movk_i32 s28, 0xffc2
	;; [unrolled: 1-line block ×8, first 2 shown]
	v_lshlrev_b32_e32 v3, 2, v3
	v_lshl_add_u64 v[52:53], s[12:13], 0, v[4:5]
	v_lshl_add_u64 v[54:55], s[14:15], 0, v[4:5]
	s_addc_u32 s25, 0, 0
	s_mov_b32 s27, -1
	s_mov_b32 s29, -1
	;; [unrolled: 1-line block ×8, first 2 shown]
	v_and_b32_e32 v59, 0x100, v3
	s_mov_b64 s[44:45], s[18:19]
	v_mov_b32_e32 v60, 0
.LBB147_3:                              ; =>This Inner Loop Header: Depth=1
	v_mov_b64_e32 v[4:5], s[8:9]
	v_cmp_ge_i64_e32 vcc, s[24:25], v[4:5]
	v_lshl_add_u64 v[56:57], v[20:21], 0, s[24:25]
	s_mov_b64 s[46:47], -1
	s_and_b64 vcc, exec, vcc
                                        ; implicit-def: $vgpr4_vgpr5_vgpr6_vgpr7_vgpr8_vgpr9_vgpr10_vgpr11
                                        ; implicit-def: $vgpr3
                                        ; implicit-def: $vgpr12_vgpr13_vgpr14_vgpr15_vgpr16_vgpr17_vgpr18_vgpr19
                                        ; implicit-def: $vgpr4
	s_cbranch_vccz .LBB147_25
; %bb.4:                                ;   in Loop: Header=BB147_3 Depth=1
	s_load_dword s46, s[20:21], 0xc
	v_mov_b32_e32 v61, 0
	s_waitcnt lgkmcnt(0)
	s_and_b32 s46, s46, 0xffff
	v_mad_u32_u24 v3, v58, s46, v1
	v_and_b32_e32 v4, 63, v3
	v_cmp_gt_u32_e32 vcc, 8, v4
	s_and_saveexec_b64 s[46:47], vcc
	s_cbranch_execz .LBB147_8
; %bb.5:                                ;   in Loop: Header=BB147_3 Depth=1
	v_mov_b32_e32 v5, v2
	v_lshl_add_u64 v[4:5], v[56:57], 0, v[4:5]
	v_lshl_add_u64 v[4:5], v[4:5], 0, s[26:27]
	v_cmp_gt_i64_e32 vcc, s[8:9], v[4:5]
	v_mov_b32_e32 v61, 0
	s_and_saveexec_b64 s[48:49], vcc
	s_cbranch_execz .LBB147_7
; %bb.6:                                ;   in Loop: Header=BB147_3 Depth=1
	v_lshl_add_u64 v[4:5], v[4:5], 2, s[16:17]
	global_load_dword v61, v[4:5], off
.LBB147_7:                              ;   in Loop: Header=BB147_3 Depth=1
	s_or_b64 exec, exec, s[48:49]
.LBB147_8:                              ;   in Loop: Header=BB147_3 Depth=1
	s_or_b64 exec, exec, s[46:47]
	v_lshl_add_u64 v[4:5], v[56:57], 0, s[26:27]
	v_mov_b32_e32 v8, v2
	v_mov_b32_e32 v9, v2
	v_cmp_gt_i64_e32 vcc, s[8:9], v[4:5]
	v_mov_b32_e32 v3, v2
	v_mov_b32_e32 v4, v2
	;; [unrolled: 1-line block ×5, first 2 shown]
	v_mov_b64_e32 v[18:19], v[8:9]
	v_mov_b64_e32 v[16:17], v[6:7]
	;; [unrolled: 1-line block ×5, first 2 shown]
	s_and_b64 s[48:49], s[6:7], vcc
	v_mov_b64_e32 v[8:9], v[6:7]
	v_mov_b64_e32 v[6:7], v[4:5]
	;; [unrolled: 1-line block ×3, first 2 shown]
	s_and_saveexec_b64 s[46:47], s[48:49]
	s_cbranch_execz .LBB147_10
; %bb.9:                                ;   in Loop: Header=BB147_3 Depth=1
	v_lshl_add_u64 v[4:5], v[24:25], 0, v[22:23]
	v_lshl_add_u64 v[6:7], v[26:27], 0, v[22:23]
	global_load_dword v4, v[4:5], off
	v_mov_b32_e32 v5, v2
	global_load_dword v12, v[6:7], off
	v_mov_b32_e32 v6, v2
	v_mov_b32_e32 v7, v2
	;; [unrolled: 1-line block ×13, first 2 shown]
.LBB147_10:                             ;   in Loop: Header=BB147_3 Depth=1
	s_or_b64 exec, exec, s[46:47]
	v_lshl_add_u64 v[62:63], v[56:57], 0, s[28:29]
	v_cmp_gt_i64_e32 vcc, s[8:9], v[62:63]
	s_and_b64 s[48:49], s[6:7], vcc
	s_and_saveexec_b64 s[46:47], s[48:49]
	s_cbranch_execz .LBB147_12
; %bb.11:                               ;   in Loop: Header=BB147_3 Depth=1
	v_lshl_add_u64 v[62:63], v[52:53], 0, v[22:23]
	global_load_dword v5, v[62:63], off
	v_lshl_add_u64 v[62:63], v[54:55], 0, v[22:23]
	global_load_dword v13, v[62:63], off
.LBB147_12:                             ;   in Loop: Header=BB147_3 Depth=1
	s_or_b64 exec, exec, s[46:47]
	v_lshl_add_u64 v[62:63], v[56:57], 0, s[30:31]
	v_cmp_gt_i64_e32 vcc, s[8:9], v[62:63]
	s_and_b64 s[48:49], s[6:7], vcc
	s_and_saveexec_b64 s[46:47], s[48:49]
	s_cbranch_execz .LBB147_14
; %bb.13:                               ;   in Loop: Header=BB147_3 Depth=1
	v_lshl_add_u64 v[62:63], v[48:49], 0, v[22:23]
	global_load_dword v6, v[62:63], off
	v_lshl_add_u64 v[62:63], v[50:51], 0, v[22:23]
	global_load_dword v14, v[62:63], off
.LBB147_14:                             ;   in Loop: Header=BB147_3 Depth=1
	;; [unrolled: 12-line block ×7, first 2 shown]
	s_or_b64 exec, exec, s[46:47]
	s_waitcnt vmcnt(0)
	ds_bpermute_b32 v3, v59, v61
	ds_bpermute_b32 v62, v59, v61 offset:4
	ds_bpermute_b32 v63, v59, v61 offset:8
	v_mul_f32_e32 v4, v12, v4
	v_pk_mul_f32 v[8:9], v[16:17], v[8:9]
	s_waitcnt lgkmcnt(2)
	v_fma_f32 v16, v4, v3, v60
	v_pk_mul_f32 v[6:7], v[14:15], v[6:7]
	v_mul_f32_e32 v3, v13, v5
	ds_bpermute_b32 v14, v59, v61 offset:12
	ds_bpermute_b32 v15, v59, v61 offset:16
	v_pk_mov_b32 v[12:13], v[2:3], v[6:7] op_sel:[1,0]
	v_pk_mov_b32 v[6:7], v[6:7], v[8:9] op_sel:[1,0]
	s_waitcnt lgkmcnt(2)
	v_pk_mul_f32 v[12:13], v[12:13], v[62:63]
	v_mul_f32_e32 v4, v18, v10
	v_add_f32_e32 v3, v16, v12
	v_add_f32_e32 v3, v3, v13
	ds_bpermute_b32 v12, v59, v61 offset:20
	ds_bpermute_b32 v13, v59, v61 offset:24
	s_waitcnt lgkmcnt(2)
	v_pk_mul_f32 v[6:7], v[6:7], v[14:15]
	s_mov_b64 s[46:47], 0
	v_add_f32_e32 v3, v3, v6
	v_add_f32_e32 v3, v3, v7
	v_pk_mov_b32 v[6:7], v[8:9], v[4:5] op_sel:[1,0]
	ds_bpermute_b32 v4, v59, v61 offset:28
	s_waitcnt lgkmcnt(1)
	v_pk_mul_f32 v[6:7], v[6:7], v[12:13]
	s_nop 0
	v_add_f32_e32 v3, v3, v6
	v_add_f32_e32 v3, v3, v7
.LBB147_25:                             ;   in Loop: Header=BB147_3 Depth=1
	s_and_b64 vcc, exec, s[46:47]
	s_cbranch_vccz .LBB147_40
; %bb.26:                               ;   in Loop: Header=BB147_3 Depth=1
	s_load_dword s46, s[20:21], 0x0
	v_mov_b32_e32 v61, 0
	s_waitcnt lgkmcnt(0)
	s_cmp_lt_u32 s2, s46
	s_cselect_b32 s46, 12, 18
	s_add_u32 s46, s20, s46
	s_addc_u32 s47, s21, 0
	global_load_ushort v3, v2, s[46:47]
	s_waitcnt vmcnt(0)
	v_mad_u32_u24 v3, v58, v3, v1
	v_and_b32_e32 v4, 63, v3
	v_cmp_gt_u32_e32 vcc, 8, v4
	s_and_saveexec_b64 s[46:47], vcc
	s_cbranch_execz .LBB147_30
; %bb.27:                               ;   in Loop: Header=BB147_3 Depth=1
	v_mov_b32_e32 v5, v2
	v_lshl_add_u64 v[4:5], v[56:57], 0, v[4:5]
	v_lshl_add_u64 v[4:5], v[4:5], 0, s[26:27]
	v_cmp_gt_i64_e32 vcc, s[8:9], v[4:5]
	v_mov_b32_e32 v61, 0
	s_and_saveexec_b64 s[48:49], vcc
	s_cbranch_execz .LBB147_29
; %bb.28:                               ;   in Loop: Header=BB147_3 Depth=1
	v_lshl_add_u64 v[4:5], v[4:5], 2, s[16:17]
	global_load_dword v61, v[4:5], off
.LBB147_29:                             ;   in Loop: Header=BB147_3 Depth=1
	s_or_b64 exec, exec, s[48:49]
.LBB147_30:                             ;   in Loop: Header=BB147_3 Depth=1
	s_or_b64 exec, exec, s[46:47]
	v_mov_b32_e32 v8, v2
	v_mov_b32_e32 v9, v2
	;; [unrolled: 1-line block ×7, first 2 shown]
	v_mov_b64_e32 v[18:19], v[8:9]
	v_mov_b64_e32 v[16:17], v[6:7]
	;; [unrolled: 1-line block ×8, first 2 shown]
	s_and_saveexec_b64 s[46:47], s[6:7]
	s_cbranch_execnz .LBB147_42
; %bb.31:                               ;   in Loop: Header=BB147_3 Depth=1
	s_or_b64 exec, exec, s[46:47]
	s_and_saveexec_b64 s[46:47], s[6:7]
	s_cbranch_execnz .LBB147_43
.LBB147_32:                             ;   in Loop: Header=BB147_3 Depth=1
	s_or_b64 exec, exec, s[46:47]
	s_and_saveexec_b64 s[46:47], s[6:7]
	s_cbranch_execnz .LBB147_44
.LBB147_33:                             ;   in Loop: Header=BB147_3 Depth=1
	s_or_b64 exec, exec, s[46:47]
	s_and_saveexec_b64 s[46:47], s[6:7]
	s_cbranch_execnz .LBB147_45
.LBB147_34:                             ;   in Loop: Header=BB147_3 Depth=1
	s_or_b64 exec, exec, s[46:47]
	s_and_saveexec_b64 s[46:47], s[6:7]
	s_cbranch_execnz .LBB147_46
.LBB147_35:                             ;   in Loop: Header=BB147_3 Depth=1
	s_or_b64 exec, exec, s[46:47]
	s_and_saveexec_b64 s[46:47], s[6:7]
	s_cbranch_execnz .LBB147_47
.LBB147_36:                             ;   in Loop: Header=BB147_3 Depth=1
	s_or_b64 exec, exec, s[46:47]
	s_and_saveexec_b64 s[46:47], s[6:7]
	s_cbranch_execnz .LBB147_48
.LBB147_37:                             ;   in Loop: Header=BB147_3 Depth=1
	s_or_b64 exec, exec, s[46:47]
	s_and_saveexec_b64 s[46:47], s[6:7]
	s_cbranch_execz .LBB147_39
.LBB147_38:                             ;   in Loop: Header=BB147_3 Depth=1
	v_lshl_add_u64 v[56:57], v[28:29], 0, v[22:23]
	global_load_dword v11, v[56:57], off
	v_lshl_add_u64 v[56:57], v[30:31], 0, v[22:23]
	global_load_dword v19, v[56:57], off
.LBB147_39:                             ;   in Loop: Header=BB147_3 Depth=1
	s_or_b64 exec, exec, s[46:47]
	s_waitcnt vmcnt(0)
	ds_bpermute_b32 v3, v59, v61
	ds_bpermute_b32 v56, v59, v61 offset:4
	ds_bpermute_b32 v57, v59, v61 offset:8
	v_mul_f32_e32 v4, v12, v4
	v_pk_mul_f32 v[6:7], v[14:15], v[6:7]
	s_waitcnt lgkmcnt(2)
	v_fmac_f32_e32 v60, v4, v3
	v_mul_f32_e32 v3, v13, v5
	v_pk_mov_b32 v[4:5], v[2:3], v[6:7] op_sel:[1,0]
	ds_bpermute_b32 v12, v59, v61 offset:12
	ds_bpermute_b32 v13, v59, v61 offset:16
	s_waitcnt lgkmcnt(2)
	v_pk_mul_f32 v[4:5], v[4:5], v[56:57]
	v_pk_mul_f32 v[8:9], v[16:17], v[8:9]
	v_add_f32_e32 v3, v60, v4
	v_add_f32_e32 v3, v3, v5
	v_pk_mov_b32 v[4:5], v[6:7], v[8:9] op_sel:[1,0]
	ds_bpermute_b32 v6, v59, v61 offset:20
	ds_bpermute_b32 v7, v59, v61 offset:24
	s_waitcnt lgkmcnt(2)
	v_pk_mul_f32 v[4:5], v[4:5], v[12:13]
	v_mul_f32_e32 v10, v18, v10
	v_add_f32_e32 v3, v3, v4
	ds_bpermute_b32 v4, v59, v61 offset:28
	v_pk_mov_b32 v[8:9], v[8:9], v[10:11] op_sel:[1,0]
	v_add_f32_e32 v3, v3, v5
	s_waitcnt lgkmcnt(1)
	v_pk_mul_f32 v[6:7], v[8:9], v[6:7]
	s_nop 0
	v_add_f32_e32 v3, v3, v6
	v_add_f32_e32 v3, v3, v7
.LBB147_40:                             ;   in Loop: Header=BB147_3 Depth=1
	v_mul_f32_e32 v5, v11, v19
	s_add_u32 s44, s44, s3
	s_waitcnt lgkmcnt(0)
	v_fmac_f32_e32 v3, v5, v4
	s_addc_u32 s45, s45, 0
	v_mov_b64_e32 v[4:5], s[8:9]
	s_add_u32 s24, s24, s3
	v_cmp_lt_i64_e32 vcc, s[44:45], v[4:5]
	v_lshl_add_u64 v[24:25], v[24:25], 0, s[22:23]
	v_lshl_add_u64 v[26:27], v[26:27], 0, s[22:23]
	v_lshl_add_u64 v[28:29], v[28:29], 0, s[22:23]
	v_lshl_add_u64 v[30:31], v[30:31], 0, s[22:23]
	v_lshl_add_u64 v[32:33], v[32:33], 0, s[22:23]
	v_lshl_add_u64 v[34:35], v[34:35], 0, s[22:23]
	v_lshl_add_u64 v[36:37], v[36:37], 0, s[22:23]
	v_lshl_add_u64 v[38:39], v[38:39], 0, s[22:23]
	v_lshl_add_u64 v[40:41], v[40:41], 0, s[22:23]
	v_lshl_add_u64 v[42:43], v[42:43], 0, s[22:23]
	v_lshl_add_u64 v[44:45], v[44:45], 0, s[22:23]
	v_lshl_add_u64 v[46:47], v[46:47], 0, s[22:23]
	v_lshl_add_u64 v[48:49], v[48:49], 0, s[22:23]
	v_lshl_add_u64 v[50:51], v[50:51], 0, s[22:23]
	v_lshl_add_u64 v[52:53], v[52:53], 0, s[22:23]
	v_lshl_add_u64 v[54:55], v[54:55], 0, s[22:23]
	s_addc_u32 s25, s25, 0
	s_cbranch_vccz .LBB147_50
; %bb.41:                               ;   in Loop: Header=BB147_3 Depth=1
	v_mov_b32_e32 v60, v3
	s_branch .LBB147_3
.LBB147_42:                             ;   in Loop: Header=BB147_3 Depth=1
	v_lshl_add_u64 v[4:5], v[24:25], 0, v[22:23]
	v_lshl_add_u64 v[6:7], v[26:27], 0, v[22:23]
	global_load_dword v4, v[4:5], off
	v_mov_b32_e32 v5, v2
	global_load_dword v12, v[6:7], off
	v_mov_b32_e32 v6, v2
	v_mov_b32_e32 v7, v2
	;; [unrolled: 1-line block ×13, first 2 shown]
	s_or_b64 exec, exec, s[46:47]
	s_and_saveexec_b64 s[46:47], s[6:7]
	s_cbranch_execz .LBB147_32
.LBB147_43:                             ;   in Loop: Header=BB147_3 Depth=1
	v_lshl_add_u64 v[56:57], v[52:53], 0, v[22:23]
	global_load_dword v5, v[56:57], off
	v_lshl_add_u64 v[56:57], v[54:55], 0, v[22:23]
	global_load_dword v13, v[56:57], off
	s_or_b64 exec, exec, s[46:47]
	s_and_saveexec_b64 s[46:47], s[6:7]
	s_cbranch_execz .LBB147_33
.LBB147_44:                             ;   in Loop: Header=BB147_3 Depth=1
	v_lshl_add_u64 v[56:57], v[48:49], 0, v[22:23]
	global_load_dword v6, v[56:57], off
	v_lshl_add_u64 v[56:57], v[50:51], 0, v[22:23]
	global_load_dword v14, v[56:57], off
	s_or_b64 exec, exec, s[46:47]
	s_and_saveexec_b64 s[46:47], s[6:7]
	s_cbranch_execz .LBB147_34
.LBB147_45:                             ;   in Loop: Header=BB147_3 Depth=1
	v_lshl_add_u64 v[56:57], v[44:45], 0, v[22:23]
	global_load_dword v7, v[56:57], off
	v_lshl_add_u64 v[56:57], v[46:47], 0, v[22:23]
	global_load_dword v15, v[56:57], off
	s_or_b64 exec, exec, s[46:47]
	s_and_saveexec_b64 s[46:47], s[6:7]
	s_cbranch_execz .LBB147_35
.LBB147_46:                             ;   in Loop: Header=BB147_3 Depth=1
	v_lshl_add_u64 v[56:57], v[40:41], 0, v[22:23]
	global_load_dword v8, v[56:57], off
	v_lshl_add_u64 v[56:57], v[42:43], 0, v[22:23]
	global_load_dword v16, v[56:57], off
	s_or_b64 exec, exec, s[46:47]
	s_and_saveexec_b64 s[46:47], s[6:7]
	s_cbranch_execz .LBB147_36
.LBB147_47:                             ;   in Loop: Header=BB147_3 Depth=1
	v_lshl_add_u64 v[56:57], v[36:37], 0, v[22:23]
	global_load_dword v9, v[56:57], off
	v_lshl_add_u64 v[56:57], v[38:39], 0, v[22:23]
	global_load_dword v17, v[56:57], off
	s_or_b64 exec, exec, s[46:47]
	s_and_saveexec_b64 s[46:47], s[6:7]
	s_cbranch_execz .LBB147_37
.LBB147_48:                             ;   in Loop: Header=BB147_3 Depth=1
	v_lshl_add_u64 v[56:57], v[32:33], 0, v[22:23]
	global_load_dword v10, v[56:57], off
	v_lshl_add_u64 v[56:57], v[34:35], 0, v[22:23]
	global_load_dword v18, v[56:57], off
	s_or_b64 exec, exec, s[46:47]
	s_and_saveexec_b64 s[46:47], s[6:7]
	s_cbranch_execnz .LBB147_38
	s_branch .LBB147_39
.LBB147_49:
                                        ; implicit-def: $vgpr3
	s_branch .LBB147_51
.LBB147_50:
	s_cbranch_execnz .LBB147_83
.LBB147_51:
	s_and_b64 vcc, exec, s[4:5]
	v_mov_b32_e32 v3, 0
	s_cbranch_vccnz .LBB147_83
; %bb.52:
	v_mov_b32_e32 v2, 0
	v_bfe_u32 v86, v0, 10, 10
	v_lshlrev_b32_e32 v6, 5, v86
	v_mov_b32_e32 v7, v2
	v_lshl_add_u64 v[6:7], s[18:19], 2, v[6:7]
	v_lshl_add_u64 v[8:9], v[6:7], 0, 4
	v_mov_b64_e32 v[10:11], s[12:13]
	v_lshl_add_u64 v[12:13], v[6:7], 0, 8
	v_lshl_add_u64 v[14:15], v[6:7], 0, 12
	;; [unrolled: 1-line block ×6, first 2 shown]
	v_mad_u64_u32 v[22:23], s[4:5], s10, v8, v[10:11]
	v_mad_u64_u32 v[24:25], s[4:5], s10, v12, v[10:11]
	;; [unrolled: 1-line block ×7, first 2 shown]
	v_mov_b64_e32 v[10:11], s[14:15]
	v_mul_lo_u32 v9, s10, v9
	v_mul_lo_u32 v38, s11, v8
	v_mad_u64_u32 v[36:37], s[4:5], s10, v8, v[10:11]
	v_add3_u32 v23, v38, v23, v9
	v_mul_lo_u32 v13, s10, v13
	v_mul_lo_u32 v40, s11, v12
	v_add3_u32 v37, v38, v37, v9
	v_mad_u64_u32 v[38:39], s[4:5], s10, v12, v[10:11]
	v_add3_u32 v25, v40, v25, v13
	v_mul_lo_u32 v15, s10, v15
	v_mul_lo_u32 v42, s11, v14
	v_add3_u32 v39, v40, v39, v13
	v_mad_u64_u32 v[40:41], s[4:5], s10, v14, v[10:11]
	v_add3_u32 v27, v42, v27, v15
	v_mul_lo_u32 v17, s10, v17
	v_mul_lo_u32 v44, s11, v16
	v_add3_u32 v41, v42, v41, v15
	v_mad_u64_u32 v[42:43], s[4:5], s10, v16, v[10:11]
	v_lshlrev_b32_e32 v20, 3, v86
	v_mov_b32_e32 v21, v2
	v_add3_u32 v29, v44, v29, v17
	v_mul_lo_u32 v19, s10, v19
	v_mul_lo_u32 v48, s11, v18
	;; [unrolled: 1-line block ×4, first 2 shown]
	v_add3_u32 v43, v44, v43, v17
	v_mad_u64_u32 v[44:45], s[4:5], s10, v18, v[10:11]
	v_mad_u64_u32 v[46:47], s[4:5], s10, v46, v[10:11]
	v_lshl_add_u64 v[4:5], v[20:21], 0, s[18:19]
	v_add3_u32 v31, v48, v31, v19
	v_add3_u32 v33, v51, v33, v49
	v_mul_lo_u32 v7, s10, v7
	v_mul_lo_u32 v8, s11, v6
	v_add3_u32 v45, v48, v45, v19
	v_add3_u32 v47, v51, v47, v49
	v_mad_u64_u32 v[48:49], s[4:5], s10, v6, v[10:11]
	v_add3_u32 v35, v8, v35, v7
	v_add3_u32 v49, v8, v49, v7
	v_lshl_add_u64 v[6:7], v[4:5], 0, 7
	v_mul_lo_u32 v8, s11, v6
	v_mul_lo_u32 v9, s10, v7
	v_mad_u64_u32 v[6:7], s[4:5], s10, v6, 0
	v_add3_u32 v7, v7, v9, v8
	v_lshl_add_u64 v[8:9], v[4:5], 0, 6
	v_mul_lo_u32 v10, s11, v8
	v_mul_lo_u32 v11, s10, v9
	v_mad_u64_u32 v[8:9], s[4:5], s10, v8, 0
	;; [unrolled: 5-line block ×5, first 2 shown]
	v_add3_u32 v15, v15, v17, v16
	v_lshl_add_u64 v[16:17], v[4:5], 0, 2
	v_mul_lo_u32 v50, s10, v5
	v_mul_lo_u32 v5, s11, v16
	;; [unrolled: 1-line block ×3, first 2 shown]
	v_mad_u64_u32 v[16:17], s[4:5], s10, v16, 0
	v_add3_u32 v17, v17, v18, v5
	v_mov_b64_e32 v[18:19], s[10:11]
	v_mul_lo_u32 v3, s11, v4
	v_mad_u64_u32 v[18:19], s[4:5], s10, v4, v[18:19]
	v_mad_u64_u32 v[4:5], s[4:5], s10, v4, 0
	s_load_dword s3, s[0:1], 0x44
	v_add3_u32 v5, v5, v50, v3
	v_lshlrev_b64 v[4:5], 2, v[4:5]
	v_lshl_add_u64 v[52:53], s[12:13], 0, v[4:5]
	v_lshl_add_u64 v[54:55], s[14:15], 0, v[4:5]
	v_lshlrev_b64 v[4:5], 2, v[6:7]
	v_lshl_add_u64 v[56:57], s[12:13], 0, v[4:5]
	v_lshl_add_u64 v[58:59], s[14:15], 0, v[4:5]
	v_lshlrev_b64 v[4:5], 2, v[8:9]
	s_add_u32 s4, s0, 64
	v_lshl_add_u64 v[60:61], s[12:13], 0, v[4:5]
	v_lshl_add_u64 v[62:63], s[14:15], 0, v[4:5]
	v_lshlrev_b64 v[4:5], 2, v[10:11]
	s_addc_u32 s5, s1, 0
	s_waitcnt lgkmcnt(0)
	s_lshl_b32 s3, s3, 6
	v_lshl_add_u64 v[64:65], s[12:13], 0, v[4:5]
	v_lshl_add_u64 v[66:67], s[14:15], 0, v[4:5]
	v_lshlrev_b64 v[4:5], 2, v[12:13]
	s_mul_i32 s6, s11, s3
	s_mul_hi_u32 s7, s10, s3
	v_lshl_add_u64 v[68:69], s[12:13], 0, v[4:5]
	v_lshl_add_u64 v[70:71], s[14:15], 0, v[4:5]
	v_lshlrev_b64 v[4:5], 2, v[14:15]
	v_add3_u32 v19, v3, v19, v50
	s_add_i32 s7, s7, s6
	s_mul_i32 s6, s10, s3
	v_lshl_add_u64 v[72:73], s[12:13], 0, v[4:5]
	v_lshl_add_u64 v[74:75], s[14:15], 0, v[4:5]
	v_lshlrev_b64 v[4:5], 2, v[16:17]
	v_mbcnt_lo_u32_b32 v3, -1, 0
	v_and_b32_e32 v1, 0x3ff, v0
	s_lshl_b64 s[6:7], s[6:7], 2
	v_lshl_add_u64 v[76:77], s[12:13], 0, v[4:5]
	v_lshl_add_u64 v[78:79], s[14:15], 0, v[4:5]
	v_lshlrev_b64 v[4:5], 2, v[18:19]
	v_mbcnt_hi_u32_b32 v3, -1, v3
	v_add_u32_e32 v50, s33, v1
	v_mov_b32_e32 v51, v2
	s_add_u32 s20, s18, 63
	v_lshl_add_u64 v[80:81], s[12:13], 0, v[4:5]
	v_lshl_add_u64 v[82:83], s[14:15], 0, v[4:5]
	s_movk_i32 s12, 0xffc1
	s_movk_i32 s14, 0xffc2
	;; [unrolled: 1-line block ×8, first 2 shown]
	v_lshlrev_b32_e32 v3, 2, v3
	v_lshlrev_b64 v[50:51], 2, v[50:51]
	s_addc_u32 s21, 0, 0
	s_mov_b32 s13, -1
	s_mov_b32 s15, -1
	;; [unrolled: 1-line block ×8, first 2 shown]
	v_and_b32_e32 v87, 0x100, v3
	v_mov_b32_e32 v88, 0
.LBB147_53:                             ; =>This Inner Loop Header: Depth=1
	v_mov_b64_e32 v[4:5], s[8:9]
	v_cmp_ge_i64_e32 vcc, s[20:21], v[4:5]
	v_lshl_add_u64 v[84:85], v[20:21], 0, s[20:21]
	s_mov_b64 s[36:37], -1
                                        ; implicit-def: $vgpr3
	s_cbranch_vccz .LBB147_75
; %bb.54:                               ;   in Loop: Header=BB147_53 Depth=1
	s_load_dword s33, s[4:5], 0xc
	v_mov_b32_e32 v89, 0
	s_waitcnt lgkmcnt(0)
	s_and_b32 s33, s33, 0xffff
	v_mad_u32_u24 v3, v86, s33, v1
	v_and_b32_e32 v4, 63, v3
	v_cmp_gt_u32_e32 vcc, 8, v4
	s_and_saveexec_b64 s[36:37], vcc
	s_cbranch_execz .LBB147_58
; %bb.55:                               ;   in Loop: Header=BB147_53 Depth=1
	v_mov_b32_e32 v5, v2
	v_lshl_add_u64 v[4:5], v[84:85], 0, v[4:5]
	v_lshl_add_u64 v[4:5], v[4:5], 0, s[12:13]
	v_cmp_gt_i64_e32 vcc, s[8:9], v[4:5]
	v_mov_b32_e32 v89, 0
	s_and_saveexec_b64 s[38:39], vcc
	s_cbranch_execz .LBB147_57
; %bb.56:                               ;   in Loop: Header=BB147_53 Depth=1
	v_lshl_add_u64 v[4:5], v[4:5], 2, s[16:17]
	global_load_dword v89, v[4:5], off
.LBB147_57:                             ;   in Loop: Header=BB147_53 Depth=1
	s_or_b64 exec, exec, s[38:39]
.LBB147_58:                             ;   in Loop: Header=BB147_53 Depth=1
	s_or_b64 exec, exec, s[36:37]
	v_lshl_add_u64 v[4:5], v[84:85], 0, s[12:13]
	v_mov_b32_e32 v8, v2
	v_mov_b32_e32 v9, v2
	v_cmp_gt_i64_e32 vcc, s[8:9], v[4:5]
	v_mov_b32_e32 v3, v2
	v_mov_b32_e32 v4, v2
	;; [unrolled: 1-line block ×5, first 2 shown]
	v_mov_b64_e32 v[18:19], v[8:9]
	v_mov_b64_e32 v[16:17], v[6:7]
	v_mov_b64_e32 v[14:15], v[4:5]
	v_mov_b64_e32 v[12:13], v[2:3]
	v_mov_b64_e32 v[10:11], v[8:9]
	v_mov_b64_e32 v[8:9], v[6:7]
	v_mov_b64_e32 v[6:7], v[4:5]
	v_mov_b64_e32 v[4:5], v[2:3]
	s_and_saveexec_b64 s[36:37], vcc
	s_cbranch_execz .LBB147_60
; %bb.59:                               ;   in Loop: Header=BB147_53 Depth=1
	v_lshl_add_u64 v[4:5], v[52:53], 0, v[50:51]
	v_lshl_add_u64 v[6:7], v[54:55], 0, v[50:51]
	global_load_dword v4, v[4:5], off
	v_mov_b32_e32 v5, v2
	global_load_dword v12, v[6:7], off
	v_mov_b32_e32 v6, v2
	v_mov_b32_e32 v7, v2
	v_mov_b32_e32 v8, v2
	v_mov_b32_e32 v9, v2
	v_mov_b32_e32 v10, v2
	v_mov_b32_e32 v11, v2
	v_mov_b32_e32 v13, v2
	v_mov_b32_e32 v14, v2
	v_mov_b32_e32 v15, v2
	v_mov_b32_e32 v16, v2
	v_mov_b32_e32 v17, v2
	v_mov_b32_e32 v18, v2
	v_mov_b32_e32 v19, v2
.LBB147_60:                             ;   in Loop: Header=BB147_53 Depth=1
	s_or_b64 exec, exec, s[36:37]
	v_lshl_add_u64 v[90:91], v[84:85], 0, s[14:15]
	v_cmp_gt_i64_e32 vcc, s[8:9], v[90:91]
	s_and_saveexec_b64 s[36:37], vcc
	s_cbranch_execz .LBB147_62
; %bb.61:                               ;   in Loop: Header=BB147_53 Depth=1
	v_lshl_add_u64 v[90:91], v[80:81], 0, v[50:51]
	global_load_dword v5, v[90:91], off
	v_lshl_add_u64 v[90:91], v[82:83], 0, v[50:51]
	global_load_dword v13, v[90:91], off
.LBB147_62:                             ;   in Loop: Header=BB147_53 Depth=1
	s_or_b64 exec, exec, s[36:37]
	v_lshl_add_u64 v[90:91], v[84:85], 0, s[22:23]
	v_cmp_gt_i64_e32 vcc, s[8:9], v[90:91]
	s_and_saveexec_b64 s[36:37], vcc
	s_cbranch_execz .LBB147_64
; %bb.63:                               ;   in Loop: Header=BB147_53 Depth=1
	v_lshl_add_u64 v[90:91], v[76:77], 0, v[50:51]
	global_load_dword v6, v[90:91], off
	v_lshl_add_u64 v[90:91], v[78:79], 0, v[50:51]
	global_load_dword v14, v[90:91], off
.LBB147_64:                             ;   in Loop: Header=BB147_53 Depth=1
	;; [unrolled: 11-line block ×7, first 2 shown]
	s_or_b64 exec, exec, s[36:37]
	s_waitcnt vmcnt(0)
	ds_bpermute_b32 v90, v87, v89
	ds_bpermute_b32 v91, v87, v89 offset:4
	v_pk_mul_f32 v[6:7], v[14:15], v[6:7]
	ds_bpermute_b32 v14, v87, v89 offset:8
	ds_bpermute_b32 v15, v87, v89 offset:12
	v_pk_mul_f32 v[4:5], v[12:13], v[4:5]
	ds_bpermute_b32 v12, v87, v89 offset:24
	s_waitcnt lgkmcnt(3)
	v_pk_mul_f32 v[4:5], v[4:5], v[90:91]
	ds_bpermute_b32 v13, v87, v89 offset:28
	v_add_f32_e32 v3, v88, v4
	v_add_f32_e32 v3, v3, v5
	s_waitcnt lgkmcnt(2)
	v_pk_mul_f32 v[4:5], v[6:7], v[14:15]
	ds_bpermute_b32 v6, v87, v89 offset:16
	ds_bpermute_b32 v7, v87, v89 offset:20
	v_pk_mul_f32 v[8:9], v[16:17], v[8:9]
	v_add_f32_e32 v3, v3, v4
	v_add_f32_e32 v3, v3, v5
	v_pk_mul_f32 v[10:11], v[18:19], v[10:11]
	s_waitcnt lgkmcnt(0)
	v_pk_mul_f32 v[4:5], v[8:9], v[6:7]
	s_mov_b64 s[36:37], 0
	v_add_f32_e32 v3, v3, v4
	v_add_f32_e32 v3, v3, v5
	v_pk_mul_f32 v[4:5], v[10:11], v[12:13]
	s_nop 0
	v_add_f32_e32 v3, v3, v4
	v_add_f32_e32 v3, v3, v5
.LBB147_75:                             ;   in Loop: Header=BB147_53 Depth=1
	s_and_b64 vcc, exec, s[36:37]
	s_cbranch_vccz .LBB147_81
; %bb.76:                               ;   in Loop: Header=BB147_53 Depth=1
	s_load_dword s33, s[4:5], 0x0
	s_waitcnt lgkmcnt(0)
	s_cmp_lt_u32 s2, s33
	s_cselect_b32 s33, 12, 18
	s_add_u32 s36, s4, s33
	s_addc_u32 s37, s5, 0
	global_load_ushort v3, v2, s[36:37]
	s_waitcnt vmcnt(0)
	v_mad_u32_u24 v3, v86, v3, v1
	v_and_b32_e32 v4, 63, v3
	v_cmp_gt_u32_e32 vcc, 8, v4
	v_mov_b32_e32 v3, 0
	s_and_saveexec_b64 s[36:37], vcc
	s_cbranch_execz .LBB147_80
; %bb.77:                               ;   in Loop: Header=BB147_53 Depth=1
	v_mov_b32_e32 v5, v2
	v_lshl_add_u64 v[4:5], v[84:85], 0, v[4:5]
	v_lshl_add_u64 v[4:5], v[4:5], 0, s[12:13]
	v_cmp_gt_i64_e32 vcc, s[8:9], v[4:5]
	v_mov_b32_e32 v3, 0
	s_and_saveexec_b64 s[38:39], vcc
	s_cbranch_execz .LBB147_79
; %bb.78:                               ;   in Loop: Header=BB147_53 Depth=1
	v_lshl_add_u64 v[4:5], v[4:5], 2, s[16:17]
	global_load_dword v3, v[4:5], off
.LBB147_79:                             ;   in Loop: Header=BB147_53 Depth=1
	s_or_b64 exec, exec, s[38:39]
.LBB147_80:                             ;   in Loop: Header=BB147_53 Depth=1
	s_or_b64 exec, exec, s[36:37]
	v_lshl_add_u64 v[4:5], v[52:53], 0, v[50:51]
	v_lshl_add_u64 v[8:9], v[22:23], 0, v[50:51]
	global_load_dword v4, v[4:5], off
	v_lshl_add_u64 v[6:7], v[54:55], 0, v[50:51]
	global_load_dword v5, v[8:9], off
	;; [unrolled: 2-line block ×15, first 2 shown]
	s_waitcnt vmcnt(15)
	ds_bpermute_b32 v90, v87, v3 offset:8
	global_load_dword v19, v[84:85], off
	ds_bpermute_b32 v84, v87, v3
	ds_bpermute_b32 v85, v87, v3 offset:4
	ds_bpermute_b32 v91, v87, v3 offset:12
	;; [unrolled: 1-line block ×6, first 2 shown]
	s_waitcnt vmcnt(12)
	v_pk_mul_f32 v[4:5], v[4:5], v[6:7]
	s_waitcnt lgkmcnt(5)
	v_pk_mul_f32 v[4:5], v[4:5], v[84:85]
	s_waitcnt vmcnt(8)
	v_pk_mul_f32 v[6:7], v[8:9], v[10:11]
	v_add_f32_e32 v3, v88, v4
	s_waitcnt lgkmcnt(4)
	v_pk_mul_f32 v[6:7], v[6:7], v[90:91]
	v_add_f32_e32 v3, v3, v5
	v_add_f32_e32 v3, v3, v6
	;; [unrolled: 1-line block ×3, first 2 shown]
	s_waitcnt vmcnt(4)
	v_pk_mul_f32 v[8:9], v[12:13], v[14:15]
	s_waitcnt lgkmcnt(2)
	v_pk_mul_f32 v[8:9], v[8:9], v[92:93]
	s_waitcnt vmcnt(0)
	v_pk_mul_f32 v[10:11], v[16:17], v[18:19]
	v_add_f32_e32 v3, v3, v8
	v_add_f32_e32 v3, v3, v9
	s_waitcnt lgkmcnt(0)
	v_pk_mul_f32 v[4:5], v[10:11], v[94:95]
	s_nop 0
	v_add_f32_e32 v3, v3, v4
	v_add_f32_e32 v3, v3, v5
.LBB147_81:                             ;   in Loop: Header=BB147_53 Depth=1
	s_add_u32 s18, s18, s3
	s_addc_u32 s19, s19, 0
	v_mov_b64_e32 v[4:5], s[8:9]
	s_add_u32 s20, s20, s3
	v_cmp_ge_i64_e32 vcc, s[18:19], v[4:5]
	v_lshl_add_u64 v[52:53], v[52:53], 0, s[6:7]
	v_lshl_add_u64 v[54:55], v[54:55], 0, s[6:7]
	s_addc_u32 s21, s21, 0
	v_lshl_add_u64 v[22:23], v[22:23], 0, s[6:7]
	v_lshl_add_u64 v[24:25], v[24:25], 0, s[6:7]
	;; [unrolled: 1-line block ×28, first 2 shown]
	s_cbranch_vccnz .LBB147_83
; %bb.82:                               ;   in Loop: Header=BB147_53 Depth=1
	v_mov_b32_e32 v88, v3
	s_branch .LBB147_53
.LBB147_83:
	v_and_b32_e32 v1, 0x3ff, v0
	v_bfe_u32 v2, v0, 10, 10
	s_movk_i32 s3, 0x41
	v_mad_u32_u24 v4, v2, s3, v1
	v_bfe_u32 v0, v0, 6, 4
	v_lshl_add_u32 v4, v4, 2, 0
	v_add_u32_e32 v0, v0, v2
	ds_write_b32 v4, v3
	v_mov_b32_e32 v3, 0
	v_cmp_gt_u32_e32 vcc, 64, v0
	ds_write_b32 v4, v3 offset:2080
	s_waitcnt lgkmcnt(0)
	s_barrier
	s_and_saveexec_b64 s[4:5], vcc
	s_cbranch_execz .LBB147_123
; %bb.84:
	s_load_dwordx2 s[4:5], s[0:1], 0x30
	v_and_b32_e32 v2, 63, v1
	v_cmp_gt_u32_e32 vcc, 8, v2
	v_mul_u32_u24_e32 v4, 0x41, v2
                                        ; implicit-def: $vgpr2
	s_and_saveexec_b64 s[0:1], vcc
; %bb.85:
	v_lshlrev_b32_e32 v2, 2, v0
	v_lshlrev_b32_e32 v3, 2, v4
	v_add3_u32 v2, 0, v2, v3
	ds_read_b32 v2, v2
; %bb.86:
	s_or_b64 exec, exec, s[0:1]
	v_mbcnt_lo_u32_b32 v3, -1, 0
	v_mbcnt_hi_u32_b32 v3, -1, v3
	v_and_b32_e32 v5, 64, v3
	v_add_u32_e32 v7, 64, v5
	v_xor_b32_e32 v5, 4, v3
	v_cmp_lt_i32_e64 s[0:1], v5, v7
	v_xor_b32_e32 v8, 2, v3
	v_xor_b32_e32 v9, 1, v3
	v_cndmask_b32_e64 v5, v3, v5, s[0:1]
	v_lshlrev_b32_e32 v5, 2, v5
	s_waitcnt lgkmcnt(0)
	ds_bpermute_b32 v6, v5, v2
	v_cmp_lt_i32_e64 s[0:1], v8, v7
	s_mov_b32 s3, 0
	s_lshl_b64 s[6:7], s[2:3], 6
	s_cmp_eq_u64 s[4:5], 0
	s_waitcnt lgkmcnt(0)
	v_add_f32_e32 v2, v2, v6
	v_cndmask_b32_e64 v6, v3, v8, s[0:1]
	v_lshlrev_b32_e32 v6, 2, v6
	ds_bpermute_b32 v8, v6, v2
	v_cmp_lt_i32_e64 s[0:1], v9, v7
	s_cselect_b64 s[8:9], -1, 0
	s_waitcnt lgkmcnt(0)
	v_add_f32_e32 v2, v2, v8
	v_cndmask_b32_e64 v3, v3, v9, s[0:1]
	v_lshlrev_b32_e32 v7, 2, v3
	ds_bpermute_b32 v3, v7, v2
	v_cmp_ne_u32_e64 s[0:1], 0, v1
	s_waitcnt lgkmcnt(0)
	v_add_f32_e32 v8, v2, v3
	v_or_b32_e32 v2, s6, v0
	v_mov_b32_e32 v3, s7
	v_cmp_le_i64_e64 s[2:3], s[10:11], v[2:3]
	s_or_b64 s[2:3], s[0:1], s[2:3]
	s_nor_b64 s[12:13], s[8:9], s[2:3]
	s_and_saveexec_b64 s[2:3], s[12:13]
	s_cbranch_execz .LBB147_88
; %bb.87:
	v_lshl_add_u64 v[2:3], v[2:3], 2, s[4:5]
	global_store_dword v[2:3], v8, off
.LBB147_88:
	s_or_b64 exec, exec, s[2:3]
	v_cmp_gt_u32_e64 s[2:3], 56, v0
	s_and_b64 exec, exec, s[2:3]
	s_cbranch_execz .LBB147_123
; %bb.89:
	v_mov_b32_e32 v1, 0
	s_and_saveexec_b64 s[2:3], vcc
; %bb.90:
	v_lshlrev_b32_e32 v2, 2, v0
	v_lshlrev_b32_e32 v3, 2, v4
	v_add3_u32 v2, 0, v2, v3
	ds_read_b32 v8, v2 offset:32
; %bb.91:
	s_or_b64 exec, exec, s[2:3]
	s_waitcnt lgkmcnt(0)
	ds_bpermute_b32 v2, v5, v8
	s_waitcnt lgkmcnt(0)
	v_add_f32_e32 v3, v8, v2
	ds_bpermute_b32 v8, v6, v3
	v_add_u32_e32 v2, 8, v0
	s_waitcnt lgkmcnt(0)
	v_add_f32_e32 v8, v3, v8
	ds_bpermute_b32 v9, v7, v8
	v_mov_b32_e32 v3, v1
	v_lshl_add_u64 v[2:3], s[6:7], 0, v[2:3]
	v_cmp_le_i64_e64 s[2:3], s[10:11], v[2:3]
	s_or_b64 s[2:3], s[0:1], s[2:3]
	s_waitcnt lgkmcnt(0)
	v_add_f32_e32 v2, v8, v9
	s_nor_b64 s[12:13], s[8:9], s[2:3]
	s_and_saveexec_b64 s[2:3], s[12:13]
	s_cbranch_execz .LBB147_93
; %bb.92:
	v_lshl_add_u64 v[8:9], s[6:7], 0, v[0:1]
	v_lshl_add_u64 v[8:9], v[8:9], 2, s[4:5]
	global_store_dword v[8:9], v2, off offset:32
.LBB147_93:
	s_or_b64 exec, exec, s[2:3]
	v_cmp_gt_u32_e64 s[2:3], 48, v0
	s_and_b64 exec, exec, s[2:3]
	s_cbranch_execz .LBB147_123
; %bb.94:
	s_and_saveexec_b64 s[2:3], vcc
; %bb.95:
	v_lshlrev_b32_e32 v2, 2, v0
	v_lshlrev_b32_e32 v3, 2, v4
	v_add3_u32 v2, 0, v2, v3
	ds_read_b32 v2, v2 offset:64
; %bb.96:
	s_or_b64 exec, exec, s[2:3]
	s_waitcnt lgkmcnt(0)
	ds_bpermute_b32 v3, v5, v2
	s_waitcnt lgkmcnt(0)
	v_add_f32_e32 v3, v2, v3
	ds_bpermute_b32 v8, v6, v3
	v_add_u32_e32 v2, 16, v0
	s_waitcnt lgkmcnt(0)
	v_add_f32_e32 v8, v3, v8
	ds_bpermute_b32 v9, v7, v8
	v_mov_b32_e32 v3, 0
	v_lshl_add_u64 v[2:3], s[6:7], 0, v[2:3]
	v_cmp_le_i64_e64 s[2:3], s[10:11], v[2:3]
	s_or_b64 s[2:3], s[0:1], s[2:3]
	s_waitcnt lgkmcnt(0)
	v_add_f32_e32 v2, v8, v9
	s_nor_b64 s[12:13], s[8:9], s[2:3]
	s_and_saveexec_b64 s[2:3], s[12:13]
	s_cbranch_execz .LBB147_98
; %bb.97:
	v_lshl_add_u64 v[8:9], s[6:7], 0, v[0:1]
	v_lshl_add_u64 v[8:9], v[8:9], 2, s[4:5]
	global_store_dword v[8:9], v2, off offset:64
.LBB147_98:
	s_or_b64 exec, exec, s[2:3]
	v_cmp_gt_u32_e64 s[2:3], 40, v0
	s_and_b64 exec, exec, s[2:3]
	s_cbranch_execz .LBB147_123
; %bb.99:
	;; [unrolled: 36-line block ×3, first 2 shown]
	s_and_saveexec_b64 s[2:3], vcc
; %bb.105:
	v_lshlrev_b32_e32 v2, 2, v0
	v_lshlrev_b32_e32 v3, 2, v4
	v_add3_u32 v2, 0, v2, v3
	ds_read_b32 v2, v2 offset:128
; %bb.106:
	s_or_b64 exec, exec, s[2:3]
	s_waitcnt lgkmcnt(0)
	ds_bpermute_b32 v3, v5, v2
	v_add_u32_e32 v8, 32, v0
	s_waitcnt lgkmcnt(0)
	v_add_f32_e32 v2, v2, v3
	ds_bpermute_b32 v3, v6, v2
	s_waitcnt lgkmcnt(0)
	v_add_f32_e32 v9, v2, v3
	ds_bpermute_b32 v10, v7, v9
	v_mov_b32_e32 v3, s7
	v_or_b32_e32 v2, s6, v8
	v_cmp_le_i64_e64 s[2:3], s[10:11], v[2:3]
	s_or_b64 s[2:3], s[0:1], s[2:3]
	s_waitcnt lgkmcnt(0)
	v_add_f32_e32 v2, v9, v10
	s_nor_b64 s[12:13], s[8:9], s[2:3]
	s_and_saveexec_b64 s[2:3], s[12:13]
	s_cbranch_execz .LBB147_108
; %bb.107:
	v_lshl_add_u64 v[8:9], s[6:7], 0, v[0:1]
	v_lshl_add_u64 v[8:9], v[8:9], 2, s[4:5]
	global_store_dword v[8:9], v2, off offset:128
.LBB147_108:
	s_or_b64 exec, exec, s[2:3]
	v_cmp_gt_u32_e64 s[2:3], 24, v0
	s_and_b64 exec, exec, s[2:3]
	s_cbranch_execz .LBB147_123
; %bb.109:
	s_and_saveexec_b64 s[2:3], vcc
; %bb.110:
	v_lshlrev_b32_e32 v2, 2, v0
	v_lshlrev_b32_e32 v3, 2, v4
	v_add3_u32 v2, 0, v2, v3
	ds_read_b32 v2, v2 offset:160
; %bb.111:
	s_or_b64 exec, exec, s[2:3]
	s_waitcnt lgkmcnt(0)
	ds_bpermute_b32 v3, v5, v2
	s_waitcnt lgkmcnt(0)
	v_add_f32_e32 v3, v2, v3
	ds_bpermute_b32 v8, v6, v3
	v_add_u32_e32 v2, 40, v0
	s_waitcnt lgkmcnt(0)
	v_add_f32_e32 v8, v3, v8
	ds_bpermute_b32 v9, v7, v8
	v_mov_b32_e32 v3, 0
	v_lshl_add_u64 v[2:3], s[6:7], 0, v[2:3]
	v_cmp_le_i64_e64 s[2:3], s[10:11], v[2:3]
	s_or_b64 s[2:3], s[0:1], s[2:3]
	s_waitcnt lgkmcnt(0)
	v_add_f32_e32 v2, v8, v9
	s_nor_b64 s[12:13], s[8:9], s[2:3]
	s_and_saveexec_b64 s[2:3], s[12:13]
	s_cbranch_execz .LBB147_113
; %bb.112:
	v_lshl_add_u64 v[8:9], s[6:7], 0, v[0:1]
	v_lshl_add_u64 v[8:9], v[8:9], 2, s[4:5]
	global_store_dword v[8:9], v2, off offset:160
.LBB147_113:
	s_or_b64 exec, exec, s[2:3]
	v_cmp_gt_u32_e64 s[2:3], 16, v0
	s_and_b64 exec, exec, s[2:3]
	s_cbranch_execz .LBB147_123
; %bb.114:
	s_and_saveexec_b64 s[2:3], vcc
; %bb.115:
	v_lshlrev_b32_e32 v2, 2, v0
	v_lshlrev_b32_e32 v3, 2, v4
	v_add3_u32 v2, 0, v2, v3
	ds_read_b32 v2, v2 offset:192
; %bb.116:
	s_or_b64 exec, exec, s[2:3]
	s_waitcnt lgkmcnt(0)
	ds_bpermute_b32 v3, v5, v2
	v_add_u32_e32 v8, 48, v0
	s_waitcnt lgkmcnt(0)
	v_add_f32_e32 v2, v2, v3
	ds_bpermute_b32 v3, v6, v2
	s_waitcnt lgkmcnt(0)
	v_add_f32_e32 v9, v2, v3
	ds_bpermute_b32 v10, v7, v9
	v_mov_b32_e32 v3, s7
	v_or_b32_e32 v2, s6, v8
	v_cmp_le_i64_e64 s[2:3], s[10:11], v[2:3]
	s_or_b64 s[2:3], s[0:1], s[2:3]
	s_waitcnt lgkmcnt(0)
	v_add_f32_e32 v2, v9, v10
	s_nor_b64 s[12:13], s[8:9], s[2:3]
	s_and_saveexec_b64 s[2:3], s[12:13]
	s_cbranch_execz .LBB147_118
; %bb.117:
	v_lshl_add_u64 v[8:9], s[6:7], 0, v[0:1]
	v_lshl_add_u64 v[8:9], v[8:9], 2, s[4:5]
	global_store_dword v[8:9], v2, off offset:192
.LBB147_118:
	s_or_b64 exec, exec, s[2:3]
	v_cmp_gt_u32_e64 s[2:3], 8, v0
	s_and_b64 exec, exec, s[2:3]
	s_cbranch_execz .LBB147_123
; %bb.119:
	s_and_saveexec_b64 s[2:3], vcc
; %bb.120:
	v_lshlrev_b32_e32 v2, 2, v0
	v_lshlrev_b32_e32 v3, 2, v4
	v_add3_u32 v2, 0, v2, v3
	ds_read_b32 v2, v2 offset:224
; %bb.121:
	s_or_b64 exec, exec, s[2:3]
	s_waitcnt lgkmcnt(0)
	ds_bpermute_b32 v3, v5, v2
	v_add_u32_e32 v4, 56, v0
	v_or_b32_e32 v4, s6, v4
	v_mov_b32_e32 v5, s7
	v_cmp_le_i64_e32 vcc, s[10:11], v[4:5]
	s_waitcnt lgkmcnt(0)
	v_add_f32_e32 v2, v2, v3
	ds_bpermute_b32 v3, v6, v2
	s_or_b64 s[0:1], s[0:1], vcc
	s_nor_b64 s[0:1], s[8:9], s[0:1]
	s_waitcnt lgkmcnt(0)
	v_add_f32_e32 v2, v2, v3
	ds_bpermute_b32 v3, v7, v2
	s_and_saveexec_b64 s[2:3], s[0:1]
	s_xor_b64 s[2:3], exec, s[2:3]
	s_cbranch_execz .LBB147_123
; %bb.122:
	v_lshl_add_u64 v[0:1], s[6:7], 0, v[0:1]
	s_waitcnt lgkmcnt(0)
	v_add_f32_e32 v2, v2, v3
	v_lshl_add_u64 v[0:1], v[0:1], 2, s[4:5]
	global_store_dword v[0:1], v2, off offset:224
.LBB147_123:
	s_endpgm
	.section	.rodata,"a",@progbits
	.p2align	6, 0x0
	.amdhsa_kernel _ZN2at6native12_GLOBAL__N_135GammaBetaBackwardCUDAKernelTemplateIffLj64ELj8ELj64ELb0ELb0ELb1EEEvllPKT_S5_PKT0_S8_PS3_S9_
		.amdhsa_group_segment_fixed_size 0
		.amdhsa_private_segment_fixed_size 0
		.amdhsa_kernarg_size 320
		.amdhsa_user_sgpr_count 2
		.amdhsa_user_sgpr_dispatch_ptr 0
		.amdhsa_user_sgpr_queue_ptr 0
		.amdhsa_user_sgpr_kernarg_segment_ptr 1
		.amdhsa_user_sgpr_dispatch_id 0
		.amdhsa_user_sgpr_kernarg_preload_length 0
		.amdhsa_user_sgpr_kernarg_preload_offset 0
		.amdhsa_user_sgpr_private_segment_size 0
		.amdhsa_uses_dynamic_stack 0
		.amdhsa_enable_private_segment 0
		.amdhsa_system_sgpr_workgroup_id_x 1
		.amdhsa_system_sgpr_workgroup_id_y 1
		.amdhsa_system_sgpr_workgroup_id_z 0
		.amdhsa_system_sgpr_workgroup_info 0
		.amdhsa_system_vgpr_workitem_id 1
		.amdhsa_next_free_vgpr 96
		.amdhsa_next_free_sgpr 50
		.amdhsa_accum_offset 96
		.amdhsa_reserve_vcc 1
		.amdhsa_float_round_mode_32 0
		.amdhsa_float_round_mode_16_64 0
		.amdhsa_float_denorm_mode_32 3
		.amdhsa_float_denorm_mode_16_64 3
		.amdhsa_dx10_clamp 1
		.amdhsa_ieee_mode 1
		.amdhsa_fp16_overflow 0
		.amdhsa_tg_split 0
		.amdhsa_exception_fp_ieee_invalid_op 0
		.amdhsa_exception_fp_denorm_src 0
		.amdhsa_exception_fp_ieee_div_zero 0
		.amdhsa_exception_fp_ieee_overflow 0
		.amdhsa_exception_fp_ieee_underflow 0
		.amdhsa_exception_fp_ieee_inexact 0
		.amdhsa_exception_int_div_zero 0
	.end_amdhsa_kernel
	.section	.text._ZN2at6native12_GLOBAL__N_135GammaBetaBackwardCUDAKernelTemplateIffLj64ELj8ELj64ELb0ELb0ELb1EEEvllPKT_S5_PKT0_S8_PS3_S9_,"axG",@progbits,_ZN2at6native12_GLOBAL__N_135GammaBetaBackwardCUDAKernelTemplateIffLj64ELj8ELj64ELb0ELb0ELb1EEEvllPKT_S5_PKT0_S8_PS3_S9_,comdat
.Lfunc_end147:
	.size	_ZN2at6native12_GLOBAL__N_135GammaBetaBackwardCUDAKernelTemplateIffLj64ELj8ELj64ELb0ELb0ELb1EEEvllPKT_S5_PKT0_S8_PS3_S9_, .Lfunc_end147-_ZN2at6native12_GLOBAL__N_135GammaBetaBackwardCUDAKernelTemplateIffLj64ELj8ELj64ELb0ELb0ELb1EEEvllPKT_S5_PKT0_S8_PS3_S9_
                                        ; -- End function
	.set _ZN2at6native12_GLOBAL__N_135GammaBetaBackwardCUDAKernelTemplateIffLj64ELj8ELj64ELb0ELb0ELb1EEEvllPKT_S5_PKT0_S8_PS3_S9_.num_vgpr, 96
	.set _ZN2at6native12_GLOBAL__N_135GammaBetaBackwardCUDAKernelTemplateIffLj64ELj8ELj64ELb0ELb0ELb1EEEvllPKT_S5_PKT0_S8_PS3_S9_.num_agpr, 0
	.set _ZN2at6native12_GLOBAL__N_135GammaBetaBackwardCUDAKernelTemplateIffLj64ELj8ELj64ELb0ELb0ELb1EEEvllPKT_S5_PKT0_S8_PS3_S9_.numbered_sgpr, 50
	.set _ZN2at6native12_GLOBAL__N_135GammaBetaBackwardCUDAKernelTemplateIffLj64ELj8ELj64ELb0ELb0ELb1EEEvllPKT_S5_PKT0_S8_PS3_S9_.num_named_barrier, 0
	.set _ZN2at6native12_GLOBAL__N_135GammaBetaBackwardCUDAKernelTemplateIffLj64ELj8ELj64ELb0ELb0ELb1EEEvllPKT_S5_PKT0_S8_PS3_S9_.private_seg_size, 0
	.set _ZN2at6native12_GLOBAL__N_135GammaBetaBackwardCUDAKernelTemplateIffLj64ELj8ELj64ELb0ELb0ELb1EEEvllPKT_S5_PKT0_S8_PS3_S9_.uses_vcc, 1
	.set _ZN2at6native12_GLOBAL__N_135GammaBetaBackwardCUDAKernelTemplateIffLj64ELj8ELj64ELb0ELb0ELb1EEEvllPKT_S5_PKT0_S8_PS3_S9_.uses_flat_scratch, 0
	.set _ZN2at6native12_GLOBAL__N_135GammaBetaBackwardCUDAKernelTemplateIffLj64ELj8ELj64ELb0ELb0ELb1EEEvllPKT_S5_PKT0_S8_PS3_S9_.has_dyn_sized_stack, 0
	.set _ZN2at6native12_GLOBAL__N_135GammaBetaBackwardCUDAKernelTemplateIffLj64ELj8ELj64ELb0ELb0ELb1EEEvllPKT_S5_PKT0_S8_PS3_S9_.has_recursion, 0
	.set _ZN2at6native12_GLOBAL__N_135GammaBetaBackwardCUDAKernelTemplateIffLj64ELj8ELj64ELb0ELb0ELb1EEEvllPKT_S5_PKT0_S8_PS3_S9_.has_indirect_call, 0
	.section	.AMDGPU.csdata,"",@progbits
; Kernel info:
; codeLenInByte = 7184
; TotalNumSgprs: 56
; NumVgprs: 96
; NumAgprs: 0
; TotalNumVgprs: 96
; ScratchSize: 0
; MemoryBound: 0
; FloatMode: 240
; IeeeMode: 1
; LDSByteSize: 0 bytes/workgroup (compile time only)
; SGPRBlocks: 6
; VGPRBlocks: 11
; NumSGPRsForWavesPerEU: 56
; NumVGPRsForWavesPerEU: 96
; AccumOffset: 96
; Occupancy: 5
; WaveLimiterHint : 0
; COMPUTE_PGM_RSRC2:SCRATCH_EN: 0
; COMPUTE_PGM_RSRC2:USER_SGPR: 2
; COMPUTE_PGM_RSRC2:TRAP_HANDLER: 0
; COMPUTE_PGM_RSRC2:TGID_X_EN: 1
; COMPUTE_PGM_RSRC2:TGID_Y_EN: 1
; COMPUTE_PGM_RSRC2:TGID_Z_EN: 0
; COMPUTE_PGM_RSRC2:TIDIG_COMP_CNT: 1
; COMPUTE_PGM_RSRC3_GFX90A:ACCUM_OFFSET: 23
; COMPUTE_PGM_RSRC3_GFX90A:TG_SPLIT: 0
	.section	.text._ZN2at6native12_GLOBAL__N_135GammaBetaBackwardCUDAKernelTemplateIffLj64ELj16ELj128ELb0ELb1ELb1EEEvllPKT_S5_PKT0_S8_PS3_S9_,"axG",@progbits,_ZN2at6native12_GLOBAL__N_135GammaBetaBackwardCUDAKernelTemplateIffLj64ELj16ELj128ELb0ELb1ELb1EEEvllPKT_S5_PKT0_S8_PS3_S9_,comdat
	.globl	_ZN2at6native12_GLOBAL__N_135GammaBetaBackwardCUDAKernelTemplateIffLj64ELj16ELj128ELb0ELb1ELb1EEEvllPKT_S5_PKT0_S8_PS3_S9_ ; -- Begin function _ZN2at6native12_GLOBAL__N_135GammaBetaBackwardCUDAKernelTemplateIffLj64ELj16ELj128ELb0ELb1ELb1EEEvllPKT_S5_PKT0_S8_PS3_S9_
	.p2align	8
	.type	_ZN2at6native12_GLOBAL__N_135GammaBetaBackwardCUDAKernelTemplateIffLj64ELj16ELj128ELb0ELb1ELb1EEEvllPKT_S5_PKT0_S8_PS3_S9_,@function
_ZN2at6native12_GLOBAL__N_135GammaBetaBackwardCUDAKernelTemplateIffLj64ELj16ELj128ELb0ELb1ELb1EEEvllPKT_S5_PKT0_S8_PS3_S9_: ; @_ZN2at6native12_GLOBAL__N_135GammaBetaBackwardCUDAKernelTemplateIffLj64ELj16ELj128ELb0ELb1ELb1EEEvllPKT_S5_PKT0_S8_PS3_S9_
; %bb.0:
	s_load_dwordx4 s[4:7], s[0:1], 0x0
	s_lshl_b32 s14, s3, 7
	s_mov_b32 s15, 0
	v_mov_b64_e32 v[2:3], s[14:15]
	v_bfe_u32 v12, v0, 10, 10
	s_waitcnt lgkmcnt(0)
	v_cmp_gt_i64_e32 vcc, s[4:5], v[2:3]
	s_cbranch_vccnz .LBB148_2
; %bb.1:
	s_mov_b64 s[8:9], 0
	v_bfe_u32 v2, v0, 10, 10
	s_branch .LBB148_3
.LBB148_2:
	s_mov_b64 s[8:9], -1
                                        ; implicit-def: $vgpr2
.LBB148_3:
	s_load_dwordx2 s[12:13], s[0:1], 0x30
	v_and_b32_e32 v10, 0x3ff, v0
	v_mov_b32_e32 v1, 0
	s_andn2_b64 vcc, exec, s[8:9]
	v_mbcnt_lo_u32_b32 v11, -1, 0
	s_cbranch_vccnz .LBB148_11
; %bb.4:
	s_load_dword s3, s[0:1], 0x4c
	s_load_dword s16, s[0:1], 0x44
	s_load_dwordx2 s[18:19], s[0:1], 0x28
	s_load_dwordx4 s[8:11], s[0:1], 0x10
	v_lshlrev_b32_e32 v0, 3, v12
	s_waitcnt lgkmcnt(0)
	s_and_b32 s0, s3, 0xffff
	v_mad_u32_u24 v1, v12, s0, v10
	v_and_b32_e32 v2, 63, v1
	v_mov_b32_e32 v1, 0
	v_mov_b32_e32 v3, v1
	v_lshl_add_u64 v[8:9], v[0:1], 0, s[14:15]
	v_cmp_gt_u32_e64 s[0:1], 8, v2
	v_mbcnt_hi_u32_b32 v4, -1, v11
	s_lshl_b32 s16, s16, 7
	v_lshl_add_u64 v[2:3], v[8:9], 0, v[2:3]
	v_mul_lo_u32 v0, s7, v8
	v_mul_lo_u32 v21, s6, v9
	v_mad_u64_u32 v[8:9], s[20:21], s6, v8, 0
	v_lshl_add_u32 v6, s2, 6, v10
	v_mov_b32_e32 v7, v1
	v_lshlrev_b32_e32 v4, 2, v4
	s_mul_i32 s3, s7, s16
	s_mul_hi_u32 s20, s6, s16
	s_mov_b32 s17, 0
	v_and_b32_e32 v13, 0x100, v4
	v_add3_u32 v9, v9, v21, v0
	v_lshlrev_b64 v[6:7], 2, v[6:7]
	s_add_i32 s21, s20, s3
	s_mul_i32 s20, s6, s16
	v_or_b32_e32 v14, 4, v13
	v_or_b32_e32 v15, 8, v13
	;; [unrolled: 1-line block ×7, first 2 shown]
	v_lshl_add_u64 v[4:5], v[2:3], 2, s[18:19]
	s_lshl_b64 s[18:19], s[16:17], 2
	v_lshl_add_u64 v[6:7], v[8:9], 2, v[6:7]
	s_lshl_b64 s[20:21], s[20:21], 2
	s_lshl_b64 s[6:7], s[6:7], 2
	v_mov_b64_e32 v[8:9], s[4:5]
	s_branch .LBB148_7
.LBB148_5:                              ;   in Loop: Header=BB148_7 Depth=1
	s_or_b64 exec, exec, s[24:25]
.LBB148_6:                              ;   in Loop: Header=BB148_7 Depth=1
	s_or_b64 exec, exec, s[22:23]
	v_lshl_add_u64 v[22:23], s[8:9], 0, v[6:7]
	global_load_dword v24, v[22:23], off
	v_lshl_add_u64 v[26:27], s[10:11], 0, v[6:7]
	v_lshl_add_u64 v[22:23], v[22:23], 0, s[6:7]
	global_load_dword v28, v[26:27], off
	global_load_dword v25, v[22:23], off
	v_lshl_add_u64 v[26:27], v[26:27], 0, s[6:7]
	v_lshl_add_u64 v[22:23], v[22:23], 0, s[6:7]
	global_load_dword v29, v[26:27], off
	;; [unrolled: 4-line block ×7, first 2 shown]
	v_lshl_add_u64 v[22:23], v[26:27], 0, s[6:7]
	global_load_dword v40, v[26:27], off
	global_load_dword v41, v[22:23], off
	s_waitcnt vmcnt(16)
	ds_bpermute_b32 v22, v13, v0
	ds_bpermute_b32 v23, v14, v0
	;; [unrolled: 1-line block ×8, first 2 shown]
	s_add_u32 s14, s14, s16
	s_addc_u32 s15, s15, 0
	v_cmp_lt_i64_e32 vcc, s[14:15], v[8:9]
	v_lshl_add_u64 v[4:5], v[4:5], 0, s[18:19]
	v_lshl_add_u64 v[2:3], v[2:3], 0, s[16:17]
	;; [unrolled: 1-line block ×3, first 2 shown]
	s_and_b64 vcc, exec, vcc
	s_waitcnt vmcnt(12)
	v_pk_mul_f32 v[24:25], v[24:25], v[28:29]
	s_waitcnt lgkmcnt(6)
	v_pk_mul_f32 v[22:23], v[24:25], v[22:23]
	s_nop 0
	v_add_f32_e32 v21, v1, v22
	v_add_f32_e32 v21, v21, v23
	s_waitcnt vmcnt(8)
	v_pk_mul_f32 v[0:1], v[30:31], v[32:33]
	s_waitcnt lgkmcnt(4)
	v_pk_mul_f32 v[0:1], v[0:1], v[26:27]
	s_waitcnt vmcnt(4)
	v_pk_mul_f32 v[22:23], v[34:35], v[36:37]
	v_add_f32_e32 v0, v21, v0
	v_add_f32_e32 v21, v0, v1
	s_waitcnt lgkmcnt(2)
	v_pk_mul_f32 v[0:1], v[22:23], v[42:43]
	s_waitcnt vmcnt(0)
	v_pk_mul_f32 v[22:23], v[38:39], v[40:41]
	v_add_f32_e32 v0, v21, v0
	v_add_f32_e32 v21, v0, v1
	s_waitcnt lgkmcnt(0)
	v_pk_mul_f32 v[0:1], v[22:23], v[44:45]
	s_nop 0
	v_add_f32_e32 v0, v21, v0
	v_add_f32_e32 v1, v0, v1
	s_cbranch_vccz .LBB148_10
.LBB148_7:                              ; =>This Inner Loop Header: Depth=1
	v_mov_b32_e32 v0, 0
	s_and_saveexec_b64 s[22:23], s[0:1]
	s_cbranch_execz .LBB148_6
; %bb.8:                                ;   in Loop: Header=BB148_7 Depth=1
	v_cmp_gt_i64_e32 vcc, s[4:5], v[2:3]
	v_mov_b32_e32 v0, 0
	s_and_saveexec_b64 s[24:25], vcc
	s_cbranch_execz .LBB148_5
; %bb.9:                                ;   in Loop: Header=BB148_7 Depth=1
	global_load_dword v0, v[4:5], off
	s_branch .LBB148_5
.LBB148_10:
	v_mov_b32_e32 v2, v12
.LBB148_11:
	s_movk_i32 s0, 0x41
	v_mad_u32_u24 v0, v2, s0, v10
	v_lshl_add_u32 v0, v0, 2, 0
	ds_write_b32 v0, v1
	v_mov_b32_e32 v1, 0
	ds_write_b32 v0, v1 offset:4160
	v_lshrrev_b32_e32 v0, 6, v10
	v_add_u32_e32 v0, v0, v2
	v_cmp_gt_u32_e32 vcc, 64, v0
	s_waitcnt lgkmcnt(0)
	s_barrier
	s_and_saveexec_b64 s[0:1], vcc
	s_cbranch_execz .LBB148_31
; %bb.12:
	v_and_b32_e32 v1, 63, v10
	v_cmp_gt_u32_e32 vcc, 16, v1
	v_mul_u32_u24_e32 v2, 0x41, v1
                                        ; implicit-def: $vgpr1
	s_and_saveexec_b64 s[0:1], vcc
; %bb.13:
	v_lshlrev_b32_e32 v1, 2, v0
	v_lshlrev_b32_e32 v3, 2, v2
	v_add3_u32 v1, 0, v1, v3
	ds_read_b32 v1, v1
; %bb.14:
	s_or_b64 exec, exec, s[0:1]
	v_mbcnt_hi_u32_b32 v6, -1, v11
	v_and_b32_e32 v3, 64, v6
	v_add_u32_e32 v7, 64, v3
	v_xor_b32_e32 v3, 8, v6
	v_cmp_lt_i32_e64 s[0:1], v3, v7
	v_xor_b32_e32 v5, 4, v6
	v_xor_b32_e32 v8, 2, v6
	v_cndmask_b32_e64 v3, v6, v3, s[0:1]
	v_lshlrev_b32_e32 v3, 2, v3
	s_waitcnt lgkmcnt(0)
	ds_bpermute_b32 v4, v3, v1
	v_cmp_lt_i32_e64 s[0:1], v5, v7
	s_cmp_lg_u64 s[12:13], 0
	s_mov_b32 s3, 0
	s_cselect_b64 s[6:7], -1, 0
	s_waitcnt lgkmcnt(0)
	v_add_f32_e32 v1, v1, v4
	v_cndmask_b32_e64 v4, v6, v5, s[0:1]
	v_lshlrev_b32_e32 v4, 2, v4
	ds_bpermute_b32 v5, v4, v1
	v_cmp_lt_i32_e64 s[0:1], v8, v7
	s_waitcnt lgkmcnt(0)
	v_add_f32_e32 v1, v1, v5
	v_cndmask_b32_e64 v5, v6, v8, s[0:1]
	v_lshlrev_b32_e32 v5, 2, v5
	ds_bpermute_b32 v8, v5, v1
	v_cmp_eq_u32_e64 s[0:1], 0, v10
	s_waitcnt lgkmcnt(0)
	v_add_f32_e32 v1, v1, v8
	v_xor_b32_e32 v8, 1, v6
	v_cmp_lt_i32_e64 s[4:5], v8, v7
	s_nop 1
	v_cndmask_b32_e64 v6, v6, v8, s[4:5]
	v_lshlrev_b32_e32 v6, 2, v6
	ds_bpermute_b32 v7, v6, v1
	s_and_b64 s[4:5], s[0:1], s[6:7]
	s_lshl_b64 s[0:1], s[2:3], 8
	s_add_u32 s2, s12, s0
	s_addc_u32 s3, s13, s1
	s_waitcnt lgkmcnt(0)
	v_add_f32_e32 v7, v1, v7
	s_and_saveexec_b64 s[0:1], s[4:5]
	s_cbranch_execz .LBB148_16
; %bb.15:
	v_mov_b32_e32 v1, 0
	v_lshl_add_u64 v[8:9], v[0:1], 2, s[2:3]
	global_store_dword v[8:9], v7, off
.LBB148_16:
	s_or_b64 exec, exec, s[0:1]
	v_cmp_gt_u32_e64 s[0:1], 48, v0
	s_and_b64 exec, exec, s[0:1]
	s_cbranch_execz .LBB148_31
; %bb.17:
	s_and_saveexec_b64 s[0:1], vcc
; %bb.18:
	v_lshlrev_b32_e32 v1, 2, v0
	v_lshlrev_b32_e32 v7, 2, v2
	v_add3_u32 v1, 0, v1, v7
	ds_read_b32 v7, v1 offset:64
; %bb.19:
	s_or_b64 exec, exec, s[0:1]
	s_waitcnt lgkmcnt(0)
	ds_bpermute_b32 v1, v3, v7
	s_waitcnt lgkmcnt(0)
	v_add_f32_e32 v1, v7, v1
	ds_bpermute_b32 v7, v4, v1
	s_waitcnt lgkmcnt(0)
	v_add_f32_e32 v1, v1, v7
	;; [unrolled: 3-line block ×4, first 2 shown]
	s_and_saveexec_b64 s[0:1], s[4:5]
	s_cbranch_execz .LBB148_21
; %bb.20:
	v_mov_b32_e32 v1, 0
	v_lshl_add_u64 v[8:9], v[0:1], 2, s[2:3]
	global_store_dword v[8:9], v7, off offset:64
.LBB148_21:
	s_or_b64 exec, exec, s[0:1]
	v_cmp_gt_u32_e64 s[0:1], 32, v0
	s_and_b64 exec, exec, s[0:1]
	s_cbranch_execz .LBB148_31
; %bb.22:
	s_and_saveexec_b64 s[0:1], vcc
; %bb.23:
	v_lshlrev_b32_e32 v1, 2, v0
	v_lshlrev_b32_e32 v7, 2, v2
	v_add3_u32 v1, 0, v1, v7
	ds_read_b32 v7, v1 offset:128
; %bb.24:
	s_or_b64 exec, exec, s[0:1]
	s_waitcnt lgkmcnt(0)
	ds_bpermute_b32 v1, v3, v7
	s_waitcnt lgkmcnt(0)
	v_add_f32_e32 v1, v7, v1
	ds_bpermute_b32 v7, v4, v1
	s_waitcnt lgkmcnt(0)
	v_add_f32_e32 v1, v1, v7
	;; [unrolled: 3-line block ×4, first 2 shown]
	s_and_saveexec_b64 s[0:1], s[4:5]
	s_cbranch_execz .LBB148_26
; %bb.25:
	v_mov_b32_e32 v1, 0
	v_lshl_add_u64 v[8:9], v[0:1], 2, s[2:3]
	global_store_dword v[8:9], v7, off offset:128
.LBB148_26:
	s_or_b64 exec, exec, s[0:1]
	v_cmp_gt_u32_e64 s[0:1], 16, v0
	s_and_b64 exec, exec, s[0:1]
	s_cbranch_execz .LBB148_31
; %bb.27:
	s_and_saveexec_b64 s[0:1], vcc
; %bb.28:
	v_lshlrev_b32_e32 v1, 2, v0
	v_lshlrev_b32_e32 v2, 2, v2
	v_add3_u32 v1, 0, v1, v2
	ds_read_b32 v7, v1 offset:192
; %bb.29:
	s_or_b64 exec, exec, s[0:1]
	s_waitcnt lgkmcnt(0)
	ds_bpermute_b32 v1, v3, v7
	s_waitcnt lgkmcnt(0)
	v_add_f32_e32 v1, v7, v1
	ds_bpermute_b32 v2, v4, v1
	s_waitcnt lgkmcnt(0)
	v_add_f32_e32 v1, v1, v2
	;; [unrolled: 3-line block ×3, first 2 shown]
	ds_bpermute_b32 v2, v6, v1
	s_and_saveexec_b64 s[0:1], s[4:5]
	s_xor_b64 s[0:1], exec, s[0:1]
	s_cbranch_execz .LBB148_31
; %bb.30:
	s_waitcnt lgkmcnt(0)
	v_add_f32_e32 v2, v1, v2
	v_mov_b32_e32 v1, 0
	v_lshl_add_u64 v[0:1], v[0:1], 2, s[2:3]
	global_store_dword v[0:1], v2, off offset:192
.LBB148_31:
	s_endpgm
	.section	.rodata,"a",@progbits
	.p2align	6, 0x0
	.amdhsa_kernel _ZN2at6native12_GLOBAL__N_135GammaBetaBackwardCUDAKernelTemplateIffLj64ELj16ELj128ELb0ELb1ELb1EEEvllPKT_S5_PKT0_S8_PS3_S9_
		.amdhsa_group_segment_fixed_size 0
		.amdhsa_private_segment_fixed_size 0
		.amdhsa_kernarg_size 320
		.amdhsa_user_sgpr_count 2
		.amdhsa_user_sgpr_dispatch_ptr 0
		.amdhsa_user_sgpr_queue_ptr 0
		.amdhsa_user_sgpr_kernarg_segment_ptr 1
		.amdhsa_user_sgpr_dispatch_id 0
		.amdhsa_user_sgpr_kernarg_preload_length 0
		.amdhsa_user_sgpr_kernarg_preload_offset 0
		.amdhsa_user_sgpr_private_segment_size 0
		.amdhsa_uses_dynamic_stack 0
		.amdhsa_enable_private_segment 0
		.amdhsa_system_sgpr_workgroup_id_x 1
		.amdhsa_system_sgpr_workgroup_id_y 1
		.amdhsa_system_sgpr_workgroup_id_z 0
		.amdhsa_system_sgpr_workgroup_info 0
		.amdhsa_system_vgpr_workitem_id 1
		.amdhsa_next_free_vgpr 46
		.amdhsa_next_free_sgpr 26
		.amdhsa_accum_offset 48
		.amdhsa_reserve_vcc 1
		.amdhsa_float_round_mode_32 0
		.amdhsa_float_round_mode_16_64 0
		.amdhsa_float_denorm_mode_32 3
		.amdhsa_float_denorm_mode_16_64 3
		.amdhsa_dx10_clamp 1
		.amdhsa_ieee_mode 1
		.amdhsa_fp16_overflow 0
		.amdhsa_tg_split 0
		.amdhsa_exception_fp_ieee_invalid_op 0
		.amdhsa_exception_fp_denorm_src 0
		.amdhsa_exception_fp_ieee_div_zero 0
		.amdhsa_exception_fp_ieee_overflow 0
		.amdhsa_exception_fp_ieee_underflow 0
		.amdhsa_exception_fp_ieee_inexact 0
		.amdhsa_exception_int_div_zero 0
	.end_amdhsa_kernel
	.section	.text._ZN2at6native12_GLOBAL__N_135GammaBetaBackwardCUDAKernelTemplateIffLj64ELj16ELj128ELb0ELb1ELb1EEEvllPKT_S5_PKT0_S8_PS3_S9_,"axG",@progbits,_ZN2at6native12_GLOBAL__N_135GammaBetaBackwardCUDAKernelTemplateIffLj64ELj16ELj128ELb0ELb1ELb1EEEvllPKT_S5_PKT0_S8_PS3_S9_,comdat
.Lfunc_end148:
	.size	_ZN2at6native12_GLOBAL__N_135GammaBetaBackwardCUDAKernelTemplateIffLj64ELj16ELj128ELb0ELb1ELb1EEEvllPKT_S5_PKT0_S8_PS3_S9_, .Lfunc_end148-_ZN2at6native12_GLOBAL__N_135GammaBetaBackwardCUDAKernelTemplateIffLj64ELj16ELj128ELb0ELb1ELb1EEEvllPKT_S5_PKT0_S8_PS3_S9_
                                        ; -- End function
	.set _ZN2at6native12_GLOBAL__N_135GammaBetaBackwardCUDAKernelTemplateIffLj64ELj16ELj128ELb0ELb1ELb1EEEvllPKT_S5_PKT0_S8_PS3_S9_.num_vgpr, 46
	.set _ZN2at6native12_GLOBAL__N_135GammaBetaBackwardCUDAKernelTemplateIffLj64ELj16ELj128ELb0ELb1ELb1EEEvllPKT_S5_PKT0_S8_PS3_S9_.num_agpr, 0
	.set _ZN2at6native12_GLOBAL__N_135GammaBetaBackwardCUDAKernelTemplateIffLj64ELj16ELj128ELb0ELb1ELb1EEEvllPKT_S5_PKT0_S8_PS3_S9_.numbered_sgpr, 26
	.set _ZN2at6native12_GLOBAL__N_135GammaBetaBackwardCUDAKernelTemplateIffLj64ELj16ELj128ELb0ELb1ELb1EEEvllPKT_S5_PKT0_S8_PS3_S9_.num_named_barrier, 0
	.set _ZN2at6native12_GLOBAL__N_135GammaBetaBackwardCUDAKernelTemplateIffLj64ELj16ELj128ELb0ELb1ELb1EEEvllPKT_S5_PKT0_S8_PS3_S9_.private_seg_size, 0
	.set _ZN2at6native12_GLOBAL__N_135GammaBetaBackwardCUDAKernelTemplateIffLj64ELj16ELj128ELb0ELb1ELb1EEEvllPKT_S5_PKT0_S8_PS3_S9_.uses_vcc, 1
	.set _ZN2at6native12_GLOBAL__N_135GammaBetaBackwardCUDAKernelTemplateIffLj64ELj16ELj128ELb0ELb1ELb1EEEvllPKT_S5_PKT0_S8_PS3_S9_.uses_flat_scratch, 0
	.set _ZN2at6native12_GLOBAL__N_135GammaBetaBackwardCUDAKernelTemplateIffLj64ELj16ELj128ELb0ELb1ELb1EEEvllPKT_S5_PKT0_S8_PS3_S9_.has_dyn_sized_stack, 0
	.set _ZN2at6native12_GLOBAL__N_135GammaBetaBackwardCUDAKernelTemplateIffLj64ELj16ELj128ELb0ELb1ELb1EEEvllPKT_S5_PKT0_S8_PS3_S9_.has_recursion, 0
	.set _ZN2at6native12_GLOBAL__N_135GammaBetaBackwardCUDAKernelTemplateIffLj64ELj16ELj128ELb0ELb1ELb1EEEvllPKT_S5_PKT0_S8_PS3_S9_.has_indirect_call, 0
	.section	.AMDGPU.csdata,"",@progbits
; Kernel info:
; codeLenInByte = 1720
; TotalNumSgprs: 32
; NumVgprs: 46
; NumAgprs: 0
; TotalNumVgprs: 46
; ScratchSize: 0
; MemoryBound: 0
; FloatMode: 240
; IeeeMode: 1
; LDSByteSize: 0 bytes/workgroup (compile time only)
; SGPRBlocks: 3
; VGPRBlocks: 5
; NumSGPRsForWavesPerEU: 32
; NumVGPRsForWavesPerEU: 46
; AccumOffset: 48
; Occupancy: 8
; WaveLimiterHint : 0
; COMPUTE_PGM_RSRC2:SCRATCH_EN: 0
; COMPUTE_PGM_RSRC2:USER_SGPR: 2
; COMPUTE_PGM_RSRC2:TRAP_HANDLER: 0
; COMPUTE_PGM_RSRC2:TGID_X_EN: 1
; COMPUTE_PGM_RSRC2:TGID_Y_EN: 1
; COMPUTE_PGM_RSRC2:TGID_Z_EN: 0
; COMPUTE_PGM_RSRC2:TIDIG_COMP_CNT: 1
; COMPUTE_PGM_RSRC3_GFX90A:ACCUM_OFFSET: 11
; COMPUTE_PGM_RSRC3_GFX90A:TG_SPLIT: 0
	.section	.text._ZN2at6native12_GLOBAL__N_135GammaBetaBackwardCUDAKernelTemplateIffLj64ELj16ELj128ELb0ELb0ELb1EEEvllPKT_S5_PKT0_S8_PS3_S9_,"axG",@progbits,_ZN2at6native12_GLOBAL__N_135GammaBetaBackwardCUDAKernelTemplateIffLj64ELj16ELj128ELb0ELb0ELb1EEEvllPKT_S5_PKT0_S8_PS3_S9_,comdat
	.globl	_ZN2at6native12_GLOBAL__N_135GammaBetaBackwardCUDAKernelTemplateIffLj64ELj16ELj128ELb0ELb0ELb1EEEvllPKT_S5_PKT0_S8_PS3_S9_ ; -- Begin function _ZN2at6native12_GLOBAL__N_135GammaBetaBackwardCUDAKernelTemplateIffLj64ELj16ELj128ELb0ELb0ELb1EEEvllPKT_S5_PKT0_S8_PS3_S9_
	.p2align	8
	.type	_ZN2at6native12_GLOBAL__N_135GammaBetaBackwardCUDAKernelTemplateIffLj64ELj16ELj128ELb0ELb0ELb1EEEvllPKT_S5_PKT0_S8_PS3_S9_,@function
_ZN2at6native12_GLOBAL__N_135GammaBetaBackwardCUDAKernelTemplateIffLj64ELj16ELj128ELb0ELb0ELb1EEEvllPKT_S5_PKT0_S8_PS3_S9_: ; @_ZN2at6native12_GLOBAL__N_135GammaBetaBackwardCUDAKernelTemplateIffLj64ELj16ELj128ELb0ELb0ELb1EEEvllPKT_S5_PKT0_S8_PS3_S9_
; %bb.0:
	s_load_dwordx8 s[8:15], s[0:1], 0x0
	s_load_dwordx2 s[16:17], s[0:1], 0x28
	s_lshl_b32 s33, s2, 6
	s_mov_b32 s19, 0
	s_lshl_b32 s18, s3, 7
	s_or_b32 s4, s33, 63
	v_mov_b64_e32 v[4:5], s[18:19]
	v_mov_b32_e32 v2, s4
	v_mov_b32_e32 v3, 0
	s_waitcnt lgkmcnt(0)
	v_cmp_gt_i64_e64 s[4:5], s[8:9], v[4:5]
	v_cmp_le_i64_e32 vcc, s[10:11], v[2:3]
	s_nop 0
	v_cndmask_b32_e64 v1, 0, 1, s[4:5]
	v_cmp_ne_u32_e64 s[4:5], 1, v1
	s_cbranch_vccz .LBB149_49
; %bb.1:
	s_and_b64 vcc, exec, s[4:5]
	s_cbranch_vccnz .LBB149_50
; %bb.2:
	v_and_b32_e32 v1, 0x3ff, v0
	v_mov_b32_e32 v2, 0
	v_bfe_u32 v58, v0, 10, 10
	v_add_u32_e32 v4, s33, v1
	v_mov_b32_e32 v5, v2
	v_lshlrev_b32_e32 v20, 3, v58
	v_mov_b32_e32 v21, v2
	v_cmp_gt_i64_e64 s[6:7], s[10:11], v[4:5]
	v_lshlrev_b64 v[22:23], 2, v[4:5]
	v_lshl_add_u64 v[4:5], v[20:21], 0, s[18:19]
	v_mul_lo_u32 v3, s11, v4
	v_mul_lo_u32 v8, s10, v5
	v_mad_u64_u32 v[6:7], s[22:23], s10, v4, 0
	v_add3_u32 v7, v7, v8, v3
	v_lshlrev_b64 v[6:7], 2, v[6:7]
	v_lshl_add_u64 v[24:25], s[12:13], 0, v[6:7]
	v_lshl_add_u64 v[26:27], s[14:15], 0, v[6:7]
	v_lshl_add_u64 v[6:7], v[4:5], 0, 7
	v_mul_lo_u32 v9, s11, v6
	v_mul_lo_u32 v10, s10, v7
	v_mad_u64_u32 v[6:7], s[24:25], s10, v6, 0
	v_add3_u32 v7, v7, v10, v9
	v_lshlrev_b64 v[6:7], 2, v[6:7]
	v_lshl_add_u64 v[28:29], s[12:13], 0, v[6:7]
	v_lshl_add_u64 v[30:31], s[14:15], 0, v[6:7]
	;; [unrolled: 8-line block ×5, first 2 shown]
	v_lshl_add_u64 v[6:7], v[4:5], 0, 3
	v_mul_lo_u32 v9, s11, v6
	v_mul_lo_u32 v10, s10, v7
	v_mad_u64_u32 v[6:7], s[24:25], s10, v6, 0
	v_add3_u32 v7, v7, v10, v9
	s_load_dword s3, s[0:1], 0x44
	v_lshlrev_b64 v[6:7], 2, v[6:7]
	v_lshl_add_u64 v[44:45], s[12:13], 0, v[6:7]
	v_lshl_add_u64 v[46:47], s[14:15], 0, v[6:7]
	;; [unrolled: 1-line block ×3, first 2 shown]
	v_mul_lo_u32 v5, s11, v6
	v_mul_lo_u32 v9, s10, v7
	v_mad_u64_u32 v[6:7], s[24:25], s10, v6, 0
	v_add3_u32 v7, v7, v9, v5
	s_add_u32 s20, s0, 64
	v_lshlrev_b64 v[6:7], 2, v[6:7]
	s_addc_u32 s21, s1, 0
	s_waitcnt lgkmcnt(0)
	s_lshl_b32 s3, s3, 7
	v_lshl_add_u64 v[48:49], s[12:13], 0, v[6:7]
	v_lshl_add_u64 v[50:51], s[14:15], 0, v[6:7]
	v_mov_b64_e32 v[6:7], s[10:11]
	s_mul_i32 s22, s11, s3
	s_mul_hi_u32 s23, s10, s3
	v_mad_u64_u32 v[4:5], s[24:25], s10, v4, v[6:7]
	s_add_i32 s23, s23, s22
	s_mul_i32 s22, s10, s3
	v_add3_u32 v5, v3, v5, v8
	v_mbcnt_lo_u32_b32 v3, -1, 0
	s_lshl_b64 s[22:23], s[22:23], 2
	v_mbcnt_hi_u32_b32 v3, -1, v3
	v_lshlrev_b64 v[4:5], 2, v[4:5]
	s_add_u32 s24, s18, 0x7f
	s_movk_i32 s26, 0xff81
	s_movk_i32 s28, 0xff82
	;; [unrolled: 1-line block ×8, first 2 shown]
	v_lshlrev_b32_e32 v3, 2, v3
	v_lshl_add_u64 v[52:53], s[12:13], 0, v[4:5]
	v_lshl_add_u64 v[54:55], s[14:15], 0, v[4:5]
	s_addc_u32 s25, 0, 0
	s_mov_b32 s27, -1
	s_mov_b32 s29, -1
	;; [unrolled: 1-line block ×8, first 2 shown]
	v_and_b32_e32 v59, 0x100, v3
	s_mov_b64 s[44:45], s[18:19]
	v_mov_b32_e32 v60, 0
.LBB149_3:                              ; =>This Inner Loop Header: Depth=1
	v_mov_b64_e32 v[4:5], s[8:9]
	v_cmp_ge_i64_e32 vcc, s[24:25], v[4:5]
	v_lshl_add_u64 v[56:57], v[20:21], 0, s[24:25]
	s_mov_b64 s[46:47], -1
	s_and_b64 vcc, exec, vcc
                                        ; implicit-def: $vgpr4_vgpr5_vgpr6_vgpr7_vgpr8_vgpr9_vgpr10_vgpr11
                                        ; implicit-def: $vgpr3
                                        ; implicit-def: $vgpr12_vgpr13_vgpr14_vgpr15_vgpr16_vgpr17_vgpr18_vgpr19
                                        ; implicit-def: $vgpr4
	s_cbranch_vccz .LBB149_25
; %bb.4:                                ;   in Loop: Header=BB149_3 Depth=1
	s_load_dword s46, s[20:21], 0xc
	v_mov_b32_e32 v61, 0
	s_waitcnt lgkmcnt(0)
	s_and_b32 s46, s46, 0xffff
	v_mad_u32_u24 v3, v58, s46, v1
	v_and_b32_e32 v4, 63, v3
	v_cmp_gt_u32_e32 vcc, 8, v4
	s_and_saveexec_b64 s[46:47], vcc
	s_cbranch_execz .LBB149_8
; %bb.5:                                ;   in Loop: Header=BB149_3 Depth=1
	v_mov_b32_e32 v5, v2
	v_lshl_add_u64 v[4:5], v[56:57], 0, v[4:5]
	v_lshl_add_u64 v[4:5], v[4:5], 0, s[26:27]
	v_cmp_gt_i64_e32 vcc, s[8:9], v[4:5]
	v_mov_b32_e32 v61, 0
	s_and_saveexec_b64 s[48:49], vcc
	s_cbranch_execz .LBB149_7
; %bb.6:                                ;   in Loop: Header=BB149_3 Depth=1
	v_lshl_add_u64 v[4:5], v[4:5], 2, s[16:17]
	global_load_dword v61, v[4:5], off
.LBB149_7:                              ;   in Loop: Header=BB149_3 Depth=1
	s_or_b64 exec, exec, s[48:49]
.LBB149_8:                              ;   in Loop: Header=BB149_3 Depth=1
	s_or_b64 exec, exec, s[46:47]
	v_lshl_add_u64 v[4:5], v[56:57], 0, s[26:27]
	v_mov_b32_e32 v8, v2
	v_mov_b32_e32 v9, v2
	v_cmp_gt_i64_e32 vcc, s[8:9], v[4:5]
	v_mov_b32_e32 v3, v2
	v_mov_b32_e32 v4, v2
	v_mov_b32_e32 v5, v2
	v_mov_b32_e32 v6, v2
	v_mov_b32_e32 v7, v2
	v_mov_b64_e32 v[18:19], v[8:9]
	v_mov_b64_e32 v[16:17], v[6:7]
	;; [unrolled: 1-line block ×5, first 2 shown]
	s_and_b64 s[48:49], s[6:7], vcc
	v_mov_b64_e32 v[8:9], v[6:7]
	v_mov_b64_e32 v[6:7], v[4:5]
	;; [unrolled: 1-line block ×3, first 2 shown]
	s_and_saveexec_b64 s[46:47], s[48:49]
	s_cbranch_execz .LBB149_10
; %bb.9:                                ;   in Loop: Header=BB149_3 Depth=1
	v_lshl_add_u64 v[4:5], v[24:25], 0, v[22:23]
	v_lshl_add_u64 v[6:7], v[26:27], 0, v[22:23]
	global_load_dword v4, v[4:5], off
	v_mov_b32_e32 v5, v2
	global_load_dword v12, v[6:7], off
	v_mov_b32_e32 v6, v2
	v_mov_b32_e32 v7, v2
	;; [unrolled: 1-line block ×13, first 2 shown]
.LBB149_10:                             ;   in Loop: Header=BB149_3 Depth=1
	s_or_b64 exec, exec, s[46:47]
	v_lshl_add_u64 v[62:63], v[56:57], 0, s[28:29]
	v_cmp_gt_i64_e32 vcc, s[8:9], v[62:63]
	s_and_b64 s[48:49], s[6:7], vcc
	s_and_saveexec_b64 s[46:47], s[48:49]
	s_cbranch_execz .LBB149_12
; %bb.11:                               ;   in Loop: Header=BB149_3 Depth=1
	v_lshl_add_u64 v[62:63], v[52:53], 0, v[22:23]
	global_load_dword v5, v[62:63], off
	v_lshl_add_u64 v[62:63], v[54:55], 0, v[22:23]
	global_load_dword v13, v[62:63], off
.LBB149_12:                             ;   in Loop: Header=BB149_3 Depth=1
	s_or_b64 exec, exec, s[46:47]
	v_lshl_add_u64 v[62:63], v[56:57], 0, s[30:31]
	v_cmp_gt_i64_e32 vcc, s[8:9], v[62:63]
	s_and_b64 s[48:49], s[6:7], vcc
	s_and_saveexec_b64 s[46:47], s[48:49]
	s_cbranch_execz .LBB149_14
; %bb.13:                               ;   in Loop: Header=BB149_3 Depth=1
	v_lshl_add_u64 v[62:63], v[48:49], 0, v[22:23]
	global_load_dword v6, v[62:63], off
	v_lshl_add_u64 v[62:63], v[50:51], 0, v[22:23]
	global_load_dword v14, v[62:63], off
.LBB149_14:                             ;   in Loop: Header=BB149_3 Depth=1
	;; [unrolled: 12-line block ×7, first 2 shown]
	s_or_b64 exec, exec, s[46:47]
	s_waitcnt vmcnt(0)
	ds_bpermute_b32 v3, v59, v61
	ds_bpermute_b32 v62, v59, v61 offset:4
	ds_bpermute_b32 v63, v59, v61 offset:8
	v_mul_f32_e32 v4, v12, v4
	v_pk_mul_f32 v[8:9], v[16:17], v[8:9]
	s_waitcnt lgkmcnt(2)
	v_fma_f32 v16, v4, v3, v60
	v_pk_mul_f32 v[6:7], v[14:15], v[6:7]
	v_mul_f32_e32 v3, v13, v5
	ds_bpermute_b32 v14, v59, v61 offset:12
	ds_bpermute_b32 v15, v59, v61 offset:16
	v_pk_mov_b32 v[12:13], v[2:3], v[6:7] op_sel:[1,0]
	v_pk_mov_b32 v[6:7], v[6:7], v[8:9] op_sel:[1,0]
	s_waitcnt lgkmcnt(2)
	v_pk_mul_f32 v[12:13], v[12:13], v[62:63]
	v_mul_f32_e32 v4, v18, v10
	v_add_f32_e32 v3, v16, v12
	v_add_f32_e32 v3, v3, v13
	ds_bpermute_b32 v12, v59, v61 offset:20
	ds_bpermute_b32 v13, v59, v61 offset:24
	s_waitcnt lgkmcnt(2)
	v_pk_mul_f32 v[6:7], v[6:7], v[14:15]
	s_mov_b64 s[46:47], 0
	v_add_f32_e32 v3, v3, v6
	v_add_f32_e32 v3, v3, v7
	v_pk_mov_b32 v[6:7], v[8:9], v[4:5] op_sel:[1,0]
	ds_bpermute_b32 v4, v59, v61 offset:28
	s_waitcnt lgkmcnt(1)
	v_pk_mul_f32 v[6:7], v[6:7], v[12:13]
	s_nop 0
	v_add_f32_e32 v3, v3, v6
	v_add_f32_e32 v3, v3, v7
.LBB149_25:                             ;   in Loop: Header=BB149_3 Depth=1
	s_and_b64 vcc, exec, s[46:47]
	s_cbranch_vccz .LBB149_40
; %bb.26:                               ;   in Loop: Header=BB149_3 Depth=1
	s_load_dword s46, s[20:21], 0x0
	v_mov_b32_e32 v61, 0
	s_waitcnt lgkmcnt(0)
	s_cmp_lt_u32 s2, s46
	s_cselect_b32 s46, 12, 18
	s_add_u32 s46, s20, s46
	s_addc_u32 s47, s21, 0
	global_load_ushort v3, v2, s[46:47]
	s_waitcnt vmcnt(0)
	v_mad_u32_u24 v3, v58, v3, v1
	v_and_b32_e32 v4, 63, v3
	v_cmp_gt_u32_e32 vcc, 8, v4
	s_and_saveexec_b64 s[46:47], vcc
	s_cbranch_execz .LBB149_30
; %bb.27:                               ;   in Loop: Header=BB149_3 Depth=1
	v_mov_b32_e32 v5, v2
	v_lshl_add_u64 v[4:5], v[56:57], 0, v[4:5]
	v_lshl_add_u64 v[4:5], v[4:5], 0, s[26:27]
	v_cmp_gt_i64_e32 vcc, s[8:9], v[4:5]
	v_mov_b32_e32 v61, 0
	s_and_saveexec_b64 s[48:49], vcc
	s_cbranch_execz .LBB149_29
; %bb.28:                               ;   in Loop: Header=BB149_3 Depth=1
	v_lshl_add_u64 v[4:5], v[4:5], 2, s[16:17]
	global_load_dword v61, v[4:5], off
.LBB149_29:                             ;   in Loop: Header=BB149_3 Depth=1
	s_or_b64 exec, exec, s[48:49]
.LBB149_30:                             ;   in Loop: Header=BB149_3 Depth=1
	s_or_b64 exec, exec, s[46:47]
	v_mov_b32_e32 v8, v2
	v_mov_b32_e32 v9, v2
	;; [unrolled: 1-line block ×7, first 2 shown]
	v_mov_b64_e32 v[18:19], v[8:9]
	v_mov_b64_e32 v[16:17], v[6:7]
	;; [unrolled: 1-line block ×8, first 2 shown]
	s_and_saveexec_b64 s[46:47], s[6:7]
	s_cbranch_execnz .LBB149_42
; %bb.31:                               ;   in Loop: Header=BB149_3 Depth=1
	s_or_b64 exec, exec, s[46:47]
	s_and_saveexec_b64 s[46:47], s[6:7]
	s_cbranch_execnz .LBB149_43
.LBB149_32:                             ;   in Loop: Header=BB149_3 Depth=1
	s_or_b64 exec, exec, s[46:47]
	s_and_saveexec_b64 s[46:47], s[6:7]
	s_cbranch_execnz .LBB149_44
.LBB149_33:                             ;   in Loop: Header=BB149_3 Depth=1
	s_or_b64 exec, exec, s[46:47]
	s_and_saveexec_b64 s[46:47], s[6:7]
	s_cbranch_execnz .LBB149_45
.LBB149_34:                             ;   in Loop: Header=BB149_3 Depth=1
	s_or_b64 exec, exec, s[46:47]
	s_and_saveexec_b64 s[46:47], s[6:7]
	s_cbranch_execnz .LBB149_46
.LBB149_35:                             ;   in Loop: Header=BB149_3 Depth=1
	s_or_b64 exec, exec, s[46:47]
	s_and_saveexec_b64 s[46:47], s[6:7]
	s_cbranch_execnz .LBB149_47
.LBB149_36:                             ;   in Loop: Header=BB149_3 Depth=1
	s_or_b64 exec, exec, s[46:47]
	s_and_saveexec_b64 s[46:47], s[6:7]
	s_cbranch_execnz .LBB149_48
.LBB149_37:                             ;   in Loop: Header=BB149_3 Depth=1
	s_or_b64 exec, exec, s[46:47]
	s_and_saveexec_b64 s[46:47], s[6:7]
	s_cbranch_execz .LBB149_39
.LBB149_38:                             ;   in Loop: Header=BB149_3 Depth=1
	v_lshl_add_u64 v[56:57], v[28:29], 0, v[22:23]
	global_load_dword v11, v[56:57], off
	v_lshl_add_u64 v[56:57], v[30:31], 0, v[22:23]
	global_load_dword v19, v[56:57], off
.LBB149_39:                             ;   in Loop: Header=BB149_3 Depth=1
	s_or_b64 exec, exec, s[46:47]
	s_waitcnt vmcnt(0)
	ds_bpermute_b32 v3, v59, v61
	ds_bpermute_b32 v56, v59, v61 offset:4
	ds_bpermute_b32 v57, v59, v61 offset:8
	v_mul_f32_e32 v4, v12, v4
	v_pk_mul_f32 v[6:7], v[14:15], v[6:7]
	s_waitcnt lgkmcnt(2)
	v_fmac_f32_e32 v60, v4, v3
	v_mul_f32_e32 v3, v13, v5
	v_pk_mov_b32 v[4:5], v[2:3], v[6:7] op_sel:[1,0]
	ds_bpermute_b32 v12, v59, v61 offset:12
	ds_bpermute_b32 v13, v59, v61 offset:16
	s_waitcnt lgkmcnt(2)
	v_pk_mul_f32 v[4:5], v[4:5], v[56:57]
	v_pk_mul_f32 v[8:9], v[16:17], v[8:9]
	v_add_f32_e32 v3, v60, v4
	v_add_f32_e32 v3, v3, v5
	v_pk_mov_b32 v[4:5], v[6:7], v[8:9] op_sel:[1,0]
	ds_bpermute_b32 v6, v59, v61 offset:20
	ds_bpermute_b32 v7, v59, v61 offset:24
	s_waitcnt lgkmcnt(2)
	v_pk_mul_f32 v[4:5], v[4:5], v[12:13]
	v_mul_f32_e32 v10, v18, v10
	v_add_f32_e32 v3, v3, v4
	ds_bpermute_b32 v4, v59, v61 offset:28
	v_pk_mov_b32 v[8:9], v[8:9], v[10:11] op_sel:[1,0]
	v_add_f32_e32 v3, v3, v5
	s_waitcnt lgkmcnt(1)
	v_pk_mul_f32 v[6:7], v[8:9], v[6:7]
	s_nop 0
	v_add_f32_e32 v3, v3, v6
	v_add_f32_e32 v3, v3, v7
.LBB149_40:                             ;   in Loop: Header=BB149_3 Depth=1
	v_mul_f32_e32 v5, v11, v19
	s_add_u32 s44, s44, s3
	s_waitcnt lgkmcnt(0)
	v_fmac_f32_e32 v3, v5, v4
	s_addc_u32 s45, s45, 0
	v_mov_b64_e32 v[4:5], s[8:9]
	s_add_u32 s24, s24, s3
	v_cmp_lt_i64_e32 vcc, s[44:45], v[4:5]
	v_lshl_add_u64 v[24:25], v[24:25], 0, s[22:23]
	v_lshl_add_u64 v[26:27], v[26:27], 0, s[22:23]
	;; [unrolled: 1-line block ×16, first 2 shown]
	s_addc_u32 s25, s25, 0
	s_cbranch_vccz .LBB149_50
; %bb.41:                               ;   in Loop: Header=BB149_3 Depth=1
	v_mov_b32_e32 v60, v3
	s_branch .LBB149_3
.LBB149_42:                             ;   in Loop: Header=BB149_3 Depth=1
	v_lshl_add_u64 v[4:5], v[24:25], 0, v[22:23]
	v_lshl_add_u64 v[6:7], v[26:27], 0, v[22:23]
	global_load_dword v4, v[4:5], off
	v_mov_b32_e32 v5, v2
	global_load_dword v12, v[6:7], off
	v_mov_b32_e32 v6, v2
	v_mov_b32_e32 v7, v2
	;; [unrolled: 1-line block ×13, first 2 shown]
	s_or_b64 exec, exec, s[46:47]
	s_and_saveexec_b64 s[46:47], s[6:7]
	s_cbranch_execz .LBB149_32
.LBB149_43:                             ;   in Loop: Header=BB149_3 Depth=1
	v_lshl_add_u64 v[56:57], v[52:53], 0, v[22:23]
	global_load_dword v5, v[56:57], off
	v_lshl_add_u64 v[56:57], v[54:55], 0, v[22:23]
	global_load_dword v13, v[56:57], off
	s_or_b64 exec, exec, s[46:47]
	s_and_saveexec_b64 s[46:47], s[6:7]
	s_cbranch_execz .LBB149_33
.LBB149_44:                             ;   in Loop: Header=BB149_3 Depth=1
	v_lshl_add_u64 v[56:57], v[48:49], 0, v[22:23]
	global_load_dword v6, v[56:57], off
	v_lshl_add_u64 v[56:57], v[50:51], 0, v[22:23]
	global_load_dword v14, v[56:57], off
	s_or_b64 exec, exec, s[46:47]
	s_and_saveexec_b64 s[46:47], s[6:7]
	s_cbranch_execz .LBB149_34
.LBB149_45:                             ;   in Loop: Header=BB149_3 Depth=1
	v_lshl_add_u64 v[56:57], v[44:45], 0, v[22:23]
	global_load_dword v7, v[56:57], off
	v_lshl_add_u64 v[56:57], v[46:47], 0, v[22:23]
	global_load_dword v15, v[56:57], off
	s_or_b64 exec, exec, s[46:47]
	s_and_saveexec_b64 s[46:47], s[6:7]
	s_cbranch_execz .LBB149_35
.LBB149_46:                             ;   in Loop: Header=BB149_3 Depth=1
	v_lshl_add_u64 v[56:57], v[40:41], 0, v[22:23]
	global_load_dword v8, v[56:57], off
	v_lshl_add_u64 v[56:57], v[42:43], 0, v[22:23]
	global_load_dword v16, v[56:57], off
	s_or_b64 exec, exec, s[46:47]
	s_and_saveexec_b64 s[46:47], s[6:7]
	s_cbranch_execz .LBB149_36
.LBB149_47:                             ;   in Loop: Header=BB149_3 Depth=1
	v_lshl_add_u64 v[56:57], v[36:37], 0, v[22:23]
	global_load_dword v9, v[56:57], off
	v_lshl_add_u64 v[56:57], v[38:39], 0, v[22:23]
	global_load_dword v17, v[56:57], off
	s_or_b64 exec, exec, s[46:47]
	s_and_saveexec_b64 s[46:47], s[6:7]
	s_cbranch_execz .LBB149_37
.LBB149_48:                             ;   in Loop: Header=BB149_3 Depth=1
	v_lshl_add_u64 v[56:57], v[32:33], 0, v[22:23]
	global_load_dword v10, v[56:57], off
	v_lshl_add_u64 v[56:57], v[34:35], 0, v[22:23]
	global_load_dword v18, v[56:57], off
	s_or_b64 exec, exec, s[46:47]
	s_and_saveexec_b64 s[46:47], s[6:7]
	s_cbranch_execnz .LBB149_38
	s_branch .LBB149_39
.LBB149_49:
                                        ; implicit-def: $vgpr3
	s_branch .LBB149_51
.LBB149_50:
	s_cbranch_execnz .LBB149_83
.LBB149_51:
	s_and_b64 vcc, exec, s[4:5]
	v_mov_b32_e32 v3, 0
	s_cbranch_vccnz .LBB149_83
; %bb.52:
	v_mov_b32_e32 v2, 0
	v_bfe_u32 v86, v0, 10, 10
	v_lshlrev_b32_e32 v6, 5, v86
	v_mov_b32_e32 v7, v2
	v_lshl_add_u64 v[6:7], s[18:19], 2, v[6:7]
	v_lshl_add_u64 v[8:9], v[6:7], 0, 4
	v_mov_b64_e32 v[10:11], s[12:13]
	v_lshl_add_u64 v[12:13], v[6:7], 0, 8
	v_lshl_add_u64 v[14:15], v[6:7], 0, 12
	;; [unrolled: 1-line block ×6, first 2 shown]
	v_mad_u64_u32 v[22:23], s[4:5], s10, v8, v[10:11]
	v_mad_u64_u32 v[24:25], s[4:5], s10, v12, v[10:11]
	;; [unrolled: 1-line block ×7, first 2 shown]
	v_mov_b64_e32 v[10:11], s[14:15]
	v_mul_lo_u32 v9, s10, v9
	v_mul_lo_u32 v38, s11, v8
	v_mad_u64_u32 v[36:37], s[4:5], s10, v8, v[10:11]
	v_add3_u32 v23, v38, v23, v9
	v_mul_lo_u32 v13, s10, v13
	v_mul_lo_u32 v40, s11, v12
	v_add3_u32 v37, v38, v37, v9
	v_mad_u64_u32 v[38:39], s[4:5], s10, v12, v[10:11]
	v_add3_u32 v25, v40, v25, v13
	v_mul_lo_u32 v15, s10, v15
	v_mul_lo_u32 v42, s11, v14
	v_add3_u32 v39, v40, v39, v13
	;; [unrolled: 5-line block ×3, first 2 shown]
	v_mad_u64_u32 v[42:43], s[4:5], s10, v16, v[10:11]
	v_lshlrev_b32_e32 v20, 3, v86
	v_mov_b32_e32 v21, v2
	v_add3_u32 v29, v44, v29, v17
	v_mul_lo_u32 v19, s10, v19
	v_mul_lo_u32 v48, s11, v18
	v_mul_lo_u32 v49, s10, v47
	v_mul_lo_u32 v51, s11, v46
	v_add3_u32 v43, v44, v43, v17
	v_mad_u64_u32 v[44:45], s[4:5], s10, v18, v[10:11]
	v_mad_u64_u32 v[46:47], s[4:5], s10, v46, v[10:11]
	v_lshl_add_u64 v[4:5], v[20:21], 0, s[18:19]
	v_add3_u32 v31, v48, v31, v19
	v_add3_u32 v33, v51, v33, v49
	v_mul_lo_u32 v7, s10, v7
	v_mul_lo_u32 v8, s11, v6
	v_add3_u32 v45, v48, v45, v19
	v_add3_u32 v47, v51, v47, v49
	v_mad_u64_u32 v[48:49], s[4:5], s10, v6, v[10:11]
	v_add3_u32 v35, v8, v35, v7
	v_add3_u32 v49, v8, v49, v7
	v_lshl_add_u64 v[6:7], v[4:5], 0, 7
	v_mul_lo_u32 v8, s11, v6
	v_mul_lo_u32 v9, s10, v7
	v_mad_u64_u32 v[6:7], s[4:5], s10, v6, 0
	v_add3_u32 v7, v7, v9, v8
	v_lshl_add_u64 v[8:9], v[4:5], 0, 6
	v_mul_lo_u32 v10, s11, v8
	v_mul_lo_u32 v11, s10, v9
	v_mad_u64_u32 v[8:9], s[4:5], s10, v8, 0
	;; [unrolled: 5-line block ×5, first 2 shown]
	v_add3_u32 v15, v15, v17, v16
	v_lshl_add_u64 v[16:17], v[4:5], 0, 2
	v_mul_lo_u32 v50, s10, v5
	v_mul_lo_u32 v5, s11, v16
	;; [unrolled: 1-line block ×3, first 2 shown]
	v_mad_u64_u32 v[16:17], s[4:5], s10, v16, 0
	v_add3_u32 v17, v17, v18, v5
	v_mov_b64_e32 v[18:19], s[10:11]
	v_mul_lo_u32 v3, s11, v4
	v_mad_u64_u32 v[18:19], s[4:5], s10, v4, v[18:19]
	v_mad_u64_u32 v[4:5], s[4:5], s10, v4, 0
	s_load_dword s3, s[0:1], 0x44
	v_add3_u32 v5, v5, v50, v3
	v_lshlrev_b64 v[4:5], 2, v[4:5]
	v_lshl_add_u64 v[52:53], s[12:13], 0, v[4:5]
	v_lshl_add_u64 v[54:55], s[14:15], 0, v[4:5]
	v_lshlrev_b64 v[4:5], 2, v[6:7]
	v_lshl_add_u64 v[56:57], s[12:13], 0, v[4:5]
	v_lshl_add_u64 v[58:59], s[14:15], 0, v[4:5]
	v_lshlrev_b64 v[4:5], 2, v[8:9]
	s_add_u32 s4, s0, 64
	v_lshl_add_u64 v[60:61], s[12:13], 0, v[4:5]
	v_lshl_add_u64 v[62:63], s[14:15], 0, v[4:5]
	v_lshlrev_b64 v[4:5], 2, v[10:11]
	s_addc_u32 s5, s1, 0
	s_waitcnt lgkmcnt(0)
	s_lshl_b32 s3, s3, 7
	v_lshl_add_u64 v[64:65], s[12:13], 0, v[4:5]
	v_lshl_add_u64 v[66:67], s[14:15], 0, v[4:5]
	v_lshlrev_b64 v[4:5], 2, v[12:13]
	s_mul_i32 s6, s11, s3
	s_mul_hi_u32 s7, s10, s3
	v_lshl_add_u64 v[68:69], s[12:13], 0, v[4:5]
	v_lshl_add_u64 v[70:71], s[14:15], 0, v[4:5]
	v_lshlrev_b64 v[4:5], 2, v[14:15]
	v_add3_u32 v19, v3, v19, v50
	s_add_i32 s7, s7, s6
	s_mul_i32 s6, s10, s3
	v_lshl_add_u64 v[72:73], s[12:13], 0, v[4:5]
	v_lshl_add_u64 v[74:75], s[14:15], 0, v[4:5]
	v_lshlrev_b64 v[4:5], 2, v[16:17]
	v_mbcnt_lo_u32_b32 v3, -1, 0
	v_and_b32_e32 v1, 0x3ff, v0
	s_lshl_b64 s[6:7], s[6:7], 2
	v_lshl_add_u64 v[76:77], s[12:13], 0, v[4:5]
	v_lshl_add_u64 v[78:79], s[14:15], 0, v[4:5]
	v_lshlrev_b64 v[4:5], 2, v[18:19]
	v_mbcnt_hi_u32_b32 v3, -1, v3
	v_add_u32_e32 v50, s33, v1
	v_mov_b32_e32 v51, v2
	s_add_u32 s20, s18, 0x7f
	v_lshl_add_u64 v[80:81], s[12:13], 0, v[4:5]
	v_lshl_add_u64 v[82:83], s[14:15], 0, v[4:5]
	s_movk_i32 s12, 0xff81
	s_movk_i32 s14, 0xff82
	;; [unrolled: 1-line block ×8, first 2 shown]
	v_lshlrev_b32_e32 v3, 2, v3
	v_lshlrev_b64 v[50:51], 2, v[50:51]
	s_addc_u32 s21, 0, 0
	s_mov_b32 s13, -1
	s_mov_b32 s15, -1
	;; [unrolled: 1-line block ×8, first 2 shown]
	v_and_b32_e32 v87, 0x100, v3
	v_mov_b32_e32 v88, 0
.LBB149_53:                             ; =>This Inner Loop Header: Depth=1
	v_mov_b64_e32 v[4:5], s[8:9]
	v_cmp_ge_i64_e32 vcc, s[20:21], v[4:5]
	v_lshl_add_u64 v[84:85], v[20:21], 0, s[20:21]
	s_mov_b64 s[36:37], -1
                                        ; implicit-def: $vgpr3
	s_cbranch_vccz .LBB149_75
; %bb.54:                               ;   in Loop: Header=BB149_53 Depth=1
	s_load_dword s33, s[4:5], 0xc
	v_mov_b32_e32 v89, 0
	s_waitcnt lgkmcnt(0)
	s_and_b32 s33, s33, 0xffff
	v_mad_u32_u24 v3, v86, s33, v1
	v_and_b32_e32 v4, 63, v3
	v_cmp_gt_u32_e32 vcc, 8, v4
	s_and_saveexec_b64 s[36:37], vcc
	s_cbranch_execz .LBB149_58
; %bb.55:                               ;   in Loop: Header=BB149_53 Depth=1
	v_mov_b32_e32 v5, v2
	v_lshl_add_u64 v[4:5], v[84:85], 0, v[4:5]
	v_lshl_add_u64 v[4:5], v[4:5], 0, s[12:13]
	v_cmp_gt_i64_e32 vcc, s[8:9], v[4:5]
	v_mov_b32_e32 v89, 0
	s_and_saveexec_b64 s[38:39], vcc
	s_cbranch_execz .LBB149_57
; %bb.56:                               ;   in Loop: Header=BB149_53 Depth=1
	v_lshl_add_u64 v[4:5], v[4:5], 2, s[16:17]
	global_load_dword v89, v[4:5], off
.LBB149_57:                             ;   in Loop: Header=BB149_53 Depth=1
	s_or_b64 exec, exec, s[38:39]
.LBB149_58:                             ;   in Loop: Header=BB149_53 Depth=1
	s_or_b64 exec, exec, s[36:37]
	v_lshl_add_u64 v[4:5], v[84:85], 0, s[12:13]
	v_mov_b32_e32 v8, v2
	v_mov_b32_e32 v9, v2
	v_cmp_gt_i64_e32 vcc, s[8:9], v[4:5]
	v_mov_b32_e32 v3, v2
	v_mov_b32_e32 v4, v2
	;; [unrolled: 1-line block ×5, first 2 shown]
	v_mov_b64_e32 v[18:19], v[8:9]
	v_mov_b64_e32 v[16:17], v[6:7]
	v_mov_b64_e32 v[14:15], v[4:5]
	v_mov_b64_e32 v[12:13], v[2:3]
	v_mov_b64_e32 v[10:11], v[8:9]
	v_mov_b64_e32 v[8:9], v[6:7]
	v_mov_b64_e32 v[6:7], v[4:5]
	v_mov_b64_e32 v[4:5], v[2:3]
	s_and_saveexec_b64 s[36:37], vcc
	s_cbranch_execz .LBB149_60
; %bb.59:                               ;   in Loop: Header=BB149_53 Depth=1
	v_lshl_add_u64 v[4:5], v[52:53], 0, v[50:51]
	v_lshl_add_u64 v[6:7], v[54:55], 0, v[50:51]
	global_load_dword v4, v[4:5], off
	v_mov_b32_e32 v5, v2
	global_load_dword v12, v[6:7], off
	v_mov_b32_e32 v6, v2
	v_mov_b32_e32 v7, v2
	;; [unrolled: 1-line block ×13, first 2 shown]
.LBB149_60:                             ;   in Loop: Header=BB149_53 Depth=1
	s_or_b64 exec, exec, s[36:37]
	v_lshl_add_u64 v[90:91], v[84:85], 0, s[14:15]
	v_cmp_gt_i64_e32 vcc, s[8:9], v[90:91]
	s_and_saveexec_b64 s[36:37], vcc
	s_cbranch_execz .LBB149_62
; %bb.61:                               ;   in Loop: Header=BB149_53 Depth=1
	v_lshl_add_u64 v[90:91], v[80:81], 0, v[50:51]
	global_load_dword v5, v[90:91], off
	v_lshl_add_u64 v[90:91], v[82:83], 0, v[50:51]
	global_load_dword v13, v[90:91], off
.LBB149_62:                             ;   in Loop: Header=BB149_53 Depth=1
	s_or_b64 exec, exec, s[36:37]
	v_lshl_add_u64 v[90:91], v[84:85], 0, s[22:23]
	v_cmp_gt_i64_e32 vcc, s[8:9], v[90:91]
	s_and_saveexec_b64 s[36:37], vcc
	s_cbranch_execz .LBB149_64
; %bb.63:                               ;   in Loop: Header=BB149_53 Depth=1
	v_lshl_add_u64 v[90:91], v[76:77], 0, v[50:51]
	global_load_dword v6, v[90:91], off
	v_lshl_add_u64 v[90:91], v[78:79], 0, v[50:51]
	global_load_dword v14, v[90:91], off
.LBB149_64:                             ;   in Loop: Header=BB149_53 Depth=1
	;; [unrolled: 11-line block ×7, first 2 shown]
	s_or_b64 exec, exec, s[36:37]
	s_waitcnt vmcnt(0)
	ds_bpermute_b32 v90, v87, v89
	ds_bpermute_b32 v91, v87, v89 offset:4
	v_pk_mul_f32 v[6:7], v[14:15], v[6:7]
	ds_bpermute_b32 v14, v87, v89 offset:8
	ds_bpermute_b32 v15, v87, v89 offset:12
	v_pk_mul_f32 v[4:5], v[12:13], v[4:5]
	ds_bpermute_b32 v12, v87, v89 offset:24
	s_waitcnt lgkmcnt(3)
	v_pk_mul_f32 v[4:5], v[4:5], v[90:91]
	ds_bpermute_b32 v13, v87, v89 offset:28
	v_add_f32_e32 v3, v88, v4
	v_add_f32_e32 v3, v3, v5
	s_waitcnt lgkmcnt(2)
	v_pk_mul_f32 v[4:5], v[6:7], v[14:15]
	ds_bpermute_b32 v6, v87, v89 offset:16
	ds_bpermute_b32 v7, v87, v89 offset:20
	v_pk_mul_f32 v[8:9], v[16:17], v[8:9]
	v_add_f32_e32 v3, v3, v4
	v_add_f32_e32 v3, v3, v5
	v_pk_mul_f32 v[10:11], v[18:19], v[10:11]
	s_waitcnt lgkmcnt(0)
	v_pk_mul_f32 v[4:5], v[8:9], v[6:7]
	s_mov_b64 s[36:37], 0
	v_add_f32_e32 v3, v3, v4
	v_add_f32_e32 v3, v3, v5
	v_pk_mul_f32 v[4:5], v[10:11], v[12:13]
	s_nop 0
	v_add_f32_e32 v3, v3, v4
	v_add_f32_e32 v3, v3, v5
.LBB149_75:                             ;   in Loop: Header=BB149_53 Depth=1
	s_and_b64 vcc, exec, s[36:37]
	s_cbranch_vccz .LBB149_81
; %bb.76:                               ;   in Loop: Header=BB149_53 Depth=1
	s_load_dword s33, s[4:5], 0x0
	s_waitcnt lgkmcnt(0)
	s_cmp_lt_u32 s2, s33
	s_cselect_b32 s33, 12, 18
	s_add_u32 s36, s4, s33
	s_addc_u32 s37, s5, 0
	global_load_ushort v3, v2, s[36:37]
	s_waitcnt vmcnt(0)
	v_mad_u32_u24 v3, v86, v3, v1
	v_and_b32_e32 v4, 63, v3
	v_cmp_gt_u32_e32 vcc, 8, v4
	v_mov_b32_e32 v3, 0
	s_and_saveexec_b64 s[36:37], vcc
	s_cbranch_execz .LBB149_80
; %bb.77:                               ;   in Loop: Header=BB149_53 Depth=1
	v_mov_b32_e32 v5, v2
	v_lshl_add_u64 v[4:5], v[84:85], 0, v[4:5]
	v_lshl_add_u64 v[4:5], v[4:5], 0, s[12:13]
	v_cmp_gt_i64_e32 vcc, s[8:9], v[4:5]
	v_mov_b32_e32 v3, 0
	s_and_saveexec_b64 s[38:39], vcc
	s_cbranch_execz .LBB149_79
; %bb.78:                               ;   in Loop: Header=BB149_53 Depth=1
	v_lshl_add_u64 v[4:5], v[4:5], 2, s[16:17]
	global_load_dword v3, v[4:5], off
.LBB149_79:                             ;   in Loop: Header=BB149_53 Depth=1
	s_or_b64 exec, exec, s[38:39]
.LBB149_80:                             ;   in Loop: Header=BB149_53 Depth=1
	s_or_b64 exec, exec, s[36:37]
	v_lshl_add_u64 v[4:5], v[52:53], 0, v[50:51]
	v_lshl_add_u64 v[8:9], v[22:23], 0, v[50:51]
	global_load_dword v4, v[4:5], off
	v_lshl_add_u64 v[6:7], v[54:55], 0, v[50:51]
	global_load_dword v5, v[8:9], off
	;; [unrolled: 2-line block ×15, first 2 shown]
	s_waitcnt vmcnt(15)
	ds_bpermute_b32 v90, v87, v3 offset:8
	global_load_dword v19, v[84:85], off
	ds_bpermute_b32 v84, v87, v3
	ds_bpermute_b32 v85, v87, v3 offset:4
	ds_bpermute_b32 v91, v87, v3 offset:12
	;; [unrolled: 1-line block ×6, first 2 shown]
	s_waitcnt vmcnt(12)
	v_pk_mul_f32 v[4:5], v[4:5], v[6:7]
	s_waitcnt lgkmcnt(5)
	v_pk_mul_f32 v[4:5], v[4:5], v[84:85]
	s_waitcnt vmcnt(8)
	v_pk_mul_f32 v[6:7], v[8:9], v[10:11]
	v_add_f32_e32 v3, v88, v4
	s_waitcnt lgkmcnt(4)
	v_pk_mul_f32 v[6:7], v[6:7], v[90:91]
	v_add_f32_e32 v3, v3, v5
	v_add_f32_e32 v3, v3, v6
	;; [unrolled: 1-line block ×3, first 2 shown]
	s_waitcnt vmcnt(4)
	v_pk_mul_f32 v[8:9], v[12:13], v[14:15]
	s_waitcnt lgkmcnt(2)
	v_pk_mul_f32 v[8:9], v[8:9], v[92:93]
	s_waitcnt vmcnt(0)
	v_pk_mul_f32 v[10:11], v[16:17], v[18:19]
	v_add_f32_e32 v3, v3, v8
	v_add_f32_e32 v3, v3, v9
	s_waitcnt lgkmcnt(0)
	v_pk_mul_f32 v[4:5], v[10:11], v[94:95]
	s_nop 0
	v_add_f32_e32 v3, v3, v4
	v_add_f32_e32 v3, v3, v5
.LBB149_81:                             ;   in Loop: Header=BB149_53 Depth=1
	s_add_u32 s18, s18, s3
	s_addc_u32 s19, s19, 0
	v_mov_b64_e32 v[4:5], s[8:9]
	s_add_u32 s20, s20, s3
	v_cmp_ge_i64_e32 vcc, s[18:19], v[4:5]
	v_lshl_add_u64 v[52:53], v[52:53], 0, s[6:7]
	v_lshl_add_u64 v[54:55], v[54:55], 0, s[6:7]
	s_addc_u32 s21, s21, 0
	v_lshl_add_u64 v[22:23], v[22:23], 0, s[6:7]
	v_lshl_add_u64 v[24:25], v[24:25], 0, s[6:7]
	;; [unrolled: 1-line block ×28, first 2 shown]
	s_cbranch_vccnz .LBB149_83
; %bb.82:                               ;   in Loop: Header=BB149_53 Depth=1
	v_mov_b32_e32 v88, v3
	s_branch .LBB149_53
.LBB149_83:
	v_and_b32_e32 v1, 0x3ff, v0
	v_bfe_u32 v2, v0, 10, 10
	s_movk_i32 s3, 0x41
	v_mad_u32_u24 v4, v2, s3, v1
	v_bfe_u32 v0, v0, 6, 4
	v_lshl_add_u32 v4, v4, 2, 0
	v_add_u32_e32 v0, v0, v2
	ds_write_b32 v4, v3
	v_mov_b32_e32 v3, 0
	v_cmp_gt_u32_e32 vcc, 64, v0
	ds_write_b32 v4, v3 offset:4160
	s_waitcnt lgkmcnt(0)
	s_barrier
	s_and_saveexec_b64 s[4:5], vcc
	s_cbranch_execz .LBB149_103
; %bb.84:
	s_load_dwordx2 s[4:5], s[0:1], 0x30
	v_and_b32_e32 v2, 63, v1
	v_cmp_gt_u32_e32 vcc, 16, v2
	v_mul_u32_u24_e32 v4, 0x41, v2
                                        ; implicit-def: $vgpr2
	s_and_saveexec_b64 s[0:1], vcc
; %bb.85:
	v_lshlrev_b32_e32 v2, 2, v0
	v_lshlrev_b32_e32 v3, 2, v4
	v_add3_u32 v2, 0, v2, v3
	ds_read_b32 v2, v2
; %bb.86:
	s_or_b64 exec, exec, s[0:1]
	v_mbcnt_lo_u32_b32 v3, -1, 0
	v_mbcnt_hi_u32_b32 v3, -1, v3
	v_and_b32_e32 v5, 64, v3
	v_add_u32_e32 v8, 64, v5
	v_xor_b32_e32 v5, 8, v3
	v_cmp_lt_i32_e64 s[0:1], v5, v8
	v_xor_b32_e32 v7, 4, v3
	v_xor_b32_e32 v9, 2, v3
	v_cndmask_b32_e64 v5, v3, v5, s[0:1]
	v_lshlrev_b32_e32 v5, 2, v5
	s_waitcnt lgkmcnt(0)
	ds_bpermute_b32 v6, v5, v2
	v_cmp_lt_i32_e64 s[0:1], v7, v8
	v_xor_b32_e32 v10, 1, v3
	s_mov_b32 s3, 0
	s_lshl_b64 s[6:7], s[2:3], 6
	s_waitcnt lgkmcnt(0)
	v_add_f32_e32 v2, v2, v6
	v_cndmask_b32_e64 v6, v3, v7, s[0:1]
	v_lshlrev_b32_e32 v6, 2, v6
	ds_bpermute_b32 v7, v6, v2
	v_cmp_lt_i32_e64 s[0:1], v9, v8
	s_cmp_eq_u64 s[4:5], 0
	s_cselect_b64 s[8:9], -1, 0
	s_waitcnt lgkmcnt(0)
	v_add_f32_e32 v2, v2, v7
	v_cndmask_b32_e64 v7, v3, v9, s[0:1]
	v_lshlrev_b32_e32 v7, 2, v7
	ds_bpermute_b32 v9, v7, v2
	v_cmp_lt_i32_e64 s[0:1], v10, v8
	s_waitcnt lgkmcnt(0)
	v_add_f32_e32 v2, v2, v9
	v_cndmask_b32_e64 v3, v3, v10, s[0:1]
	v_lshlrev_b32_e32 v8, 2, v3
	ds_bpermute_b32 v3, v8, v2
	v_cmp_ne_u32_e64 s[0:1], 0, v1
	s_waitcnt lgkmcnt(0)
	v_add_f32_e32 v9, v2, v3
	v_or_b32_e32 v2, s6, v0
	v_mov_b32_e32 v3, s7
	v_cmp_le_i64_e64 s[2:3], s[10:11], v[2:3]
	s_or_b64 s[2:3], s[0:1], s[2:3]
	s_nor_b64 s[12:13], s[8:9], s[2:3]
	s_and_saveexec_b64 s[2:3], s[12:13]
	s_cbranch_execz .LBB149_88
; %bb.87:
	v_lshl_add_u64 v[2:3], v[2:3], 2, s[4:5]
	global_store_dword v[2:3], v9, off
.LBB149_88:
	s_or_b64 exec, exec, s[2:3]
	v_cmp_gt_u32_e64 s[2:3], 48, v0
	s_and_b64 exec, exec, s[2:3]
	s_cbranch_execz .LBB149_103
; %bb.89:
	v_mov_b32_e32 v1, 0
	s_and_saveexec_b64 s[2:3], vcc
; %bb.90:
	v_lshlrev_b32_e32 v2, 2, v0
	v_lshlrev_b32_e32 v3, 2, v4
	v_add3_u32 v2, 0, v2, v3
	ds_read_b32 v9, v2 offset:64
; %bb.91:
	s_or_b64 exec, exec, s[2:3]
	s_waitcnt lgkmcnt(0)
	ds_bpermute_b32 v2, v5, v9
	s_waitcnt lgkmcnt(0)
	v_add_f32_e32 v2, v9, v2
	ds_bpermute_b32 v3, v6, v2
	s_waitcnt lgkmcnt(0)
	v_add_f32_e32 v3, v2, v3
	ds_bpermute_b32 v9, v7, v3
	v_add_u32_e32 v2, 16, v0
	s_waitcnt lgkmcnt(0)
	v_add_f32_e32 v9, v3, v9
	ds_bpermute_b32 v10, v8, v9
	v_mov_b32_e32 v3, v1
	v_lshl_add_u64 v[2:3], s[6:7], 0, v[2:3]
	v_cmp_le_i64_e64 s[2:3], s[10:11], v[2:3]
	s_or_b64 s[2:3], s[0:1], s[2:3]
	s_waitcnt lgkmcnt(0)
	v_add_f32_e32 v2, v9, v10
	s_nor_b64 s[12:13], s[8:9], s[2:3]
	s_and_saveexec_b64 s[2:3], s[12:13]
	s_cbranch_execz .LBB149_93
; %bb.92:
	v_lshl_add_u64 v[10:11], s[6:7], 0, v[0:1]
	v_lshl_add_u64 v[10:11], v[10:11], 2, s[4:5]
	global_store_dword v[10:11], v2, off offset:64
.LBB149_93:
	s_or_b64 exec, exec, s[2:3]
	v_cmp_gt_u32_e64 s[2:3], 32, v0
	s_and_b64 exec, exec, s[2:3]
	s_cbranch_execz .LBB149_103
; %bb.94:
	s_and_saveexec_b64 s[2:3], vcc
; %bb.95:
	v_lshlrev_b32_e32 v2, 2, v0
	v_lshlrev_b32_e32 v3, 2, v4
	v_add3_u32 v2, 0, v2, v3
	ds_read_b32 v2, v2 offset:128
; %bb.96:
	s_or_b64 exec, exec, s[2:3]
	s_waitcnt lgkmcnt(0)
	ds_bpermute_b32 v3, v5, v2
	v_add_u32_e32 v9, 32, v0
	s_waitcnt lgkmcnt(0)
	v_add_f32_e32 v2, v2, v3
	ds_bpermute_b32 v3, v6, v2
	s_waitcnt lgkmcnt(0)
	v_add_f32_e32 v2, v2, v3
	ds_bpermute_b32 v3, v7, v2
	;; [unrolled: 3-line block ×3, first 2 shown]
	v_mov_b32_e32 v3, s7
	v_or_b32_e32 v2, s6, v9
	v_cmp_le_i64_e64 s[2:3], s[10:11], v[2:3]
	s_or_b64 s[2:3], s[0:1], s[2:3]
	s_waitcnt lgkmcnt(0)
	v_add_f32_e32 v2, v10, v11
	s_nor_b64 s[12:13], s[8:9], s[2:3]
	s_and_saveexec_b64 s[2:3], s[12:13]
	s_cbranch_execz .LBB149_98
; %bb.97:
	v_lshl_add_u64 v[10:11], s[6:7], 0, v[0:1]
	v_lshl_add_u64 v[10:11], v[10:11], 2, s[4:5]
	global_store_dword v[10:11], v2, off offset:128
.LBB149_98:
	s_or_b64 exec, exec, s[2:3]
	v_cmp_gt_u32_e64 s[2:3], 16, v0
	s_and_b64 exec, exec, s[2:3]
	s_cbranch_execz .LBB149_103
; %bb.99:
	s_and_saveexec_b64 s[2:3], vcc
; %bb.100:
	v_lshlrev_b32_e32 v2, 2, v0
	v_lshlrev_b32_e32 v3, 2, v4
	v_add3_u32 v2, 0, v2, v3
	ds_read_b32 v2, v2 offset:192
; %bb.101:
	s_or_b64 exec, exec, s[2:3]
	s_waitcnt lgkmcnt(0)
	ds_bpermute_b32 v3, v5, v2
	v_add_u32_e32 v4, 48, v0
	v_or_b32_e32 v4, s6, v4
	v_mov_b32_e32 v5, s7
	v_cmp_le_i64_e32 vcc, s[10:11], v[4:5]
	s_waitcnt lgkmcnt(0)
	v_add_f32_e32 v2, v2, v3
	ds_bpermute_b32 v3, v6, v2
	s_or_b64 s[0:1], s[0:1], vcc
	s_nor_b64 s[0:1], s[8:9], s[0:1]
	s_waitcnt lgkmcnt(0)
	v_add_f32_e32 v2, v2, v3
	ds_bpermute_b32 v3, v7, v2
	s_waitcnt lgkmcnt(0)
	v_add_f32_e32 v2, v2, v3
	ds_bpermute_b32 v3, v8, v2
	s_and_saveexec_b64 s[2:3], s[0:1]
	s_xor_b64 s[2:3], exec, s[2:3]
	s_cbranch_execz .LBB149_103
; %bb.102:
	v_lshl_add_u64 v[0:1], s[6:7], 0, v[0:1]
	s_waitcnt lgkmcnt(0)
	v_add_f32_e32 v2, v2, v3
	v_lshl_add_u64 v[0:1], v[0:1], 2, s[4:5]
	global_store_dword v[0:1], v2, off offset:192
.LBB149_103:
	s_endpgm
	.section	.rodata,"a",@progbits
	.p2align	6, 0x0
	.amdhsa_kernel _ZN2at6native12_GLOBAL__N_135GammaBetaBackwardCUDAKernelTemplateIffLj64ELj16ELj128ELb0ELb0ELb1EEEvllPKT_S5_PKT0_S8_PS3_S9_
		.amdhsa_group_segment_fixed_size 0
		.amdhsa_private_segment_fixed_size 0
		.amdhsa_kernarg_size 320
		.amdhsa_user_sgpr_count 2
		.amdhsa_user_sgpr_dispatch_ptr 0
		.amdhsa_user_sgpr_queue_ptr 0
		.amdhsa_user_sgpr_kernarg_segment_ptr 1
		.amdhsa_user_sgpr_dispatch_id 0
		.amdhsa_user_sgpr_kernarg_preload_length 0
		.amdhsa_user_sgpr_kernarg_preload_offset 0
		.amdhsa_user_sgpr_private_segment_size 0
		.amdhsa_uses_dynamic_stack 0
		.amdhsa_enable_private_segment 0
		.amdhsa_system_sgpr_workgroup_id_x 1
		.amdhsa_system_sgpr_workgroup_id_y 1
		.amdhsa_system_sgpr_workgroup_id_z 0
		.amdhsa_system_sgpr_workgroup_info 0
		.amdhsa_system_vgpr_workitem_id 1
		.amdhsa_next_free_vgpr 96
		.amdhsa_next_free_sgpr 50
		.amdhsa_accum_offset 96
		.amdhsa_reserve_vcc 1
		.amdhsa_float_round_mode_32 0
		.amdhsa_float_round_mode_16_64 0
		.amdhsa_float_denorm_mode_32 3
		.amdhsa_float_denorm_mode_16_64 3
		.amdhsa_dx10_clamp 1
		.amdhsa_ieee_mode 1
		.amdhsa_fp16_overflow 0
		.amdhsa_tg_split 0
		.amdhsa_exception_fp_ieee_invalid_op 0
		.amdhsa_exception_fp_denorm_src 0
		.amdhsa_exception_fp_ieee_div_zero 0
		.amdhsa_exception_fp_ieee_overflow 0
		.amdhsa_exception_fp_ieee_underflow 0
		.amdhsa_exception_fp_ieee_inexact 0
		.amdhsa_exception_int_div_zero 0
	.end_amdhsa_kernel
	.section	.text._ZN2at6native12_GLOBAL__N_135GammaBetaBackwardCUDAKernelTemplateIffLj64ELj16ELj128ELb0ELb0ELb1EEEvllPKT_S5_PKT0_S8_PS3_S9_,"axG",@progbits,_ZN2at6native12_GLOBAL__N_135GammaBetaBackwardCUDAKernelTemplateIffLj64ELj16ELj128ELb0ELb0ELb1EEEvllPKT_S5_PKT0_S8_PS3_S9_,comdat
.Lfunc_end149:
	.size	_ZN2at6native12_GLOBAL__N_135GammaBetaBackwardCUDAKernelTemplateIffLj64ELj16ELj128ELb0ELb0ELb1EEEvllPKT_S5_PKT0_S8_PS3_S9_, .Lfunc_end149-_ZN2at6native12_GLOBAL__N_135GammaBetaBackwardCUDAKernelTemplateIffLj64ELj16ELj128ELb0ELb0ELb1EEEvllPKT_S5_PKT0_S8_PS3_S9_
                                        ; -- End function
	.set _ZN2at6native12_GLOBAL__N_135GammaBetaBackwardCUDAKernelTemplateIffLj64ELj16ELj128ELb0ELb0ELb1EEEvllPKT_S5_PKT0_S8_PS3_S9_.num_vgpr, 96
	.set _ZN2at6native12_GLOBAL__N_135GammaBetaBackwardCUDAKernelTemplateIffLj64ELj16ELj128ELb0ELb0ELb1EEEvllPKT_S5_PKT0_S8_PS3_S9_.num_agpr, 0
	.set _ZN2at6native12_GLOBAL__N_135GammaBetaBackwardCUDAKernelTemplateIffLj64ELj16ELj128ELb0ELb0ELb1EEEvllPKT_S5_PKT0_S8_PS3_S9_.numbered_sgpr, 50
	.set _ZN2at6native12_GLOBAL__N_135GammaBetaBackwardCUDAKernelTemplateIffLj64ELj16ELj128ELb0ELb0ELb1EEEvllPKT_S5_PKT0_S8_PS3_S9_.num_named_barrier, 0
	.set _ZN2at6native12_GLOBAL__N_135GammaBetaBackwardCUDAKernelTemplateIffLj64ELj16ELj128ELb0ELb0ELb1EEEvllPKT_S5_PKT0_S8_PS3_S9_.private_seg_size, 0
	.set _ZN2at6native12_GLOBAL__N_135GammaBetaBackwardCUDAKernelTemplateIffLj64ELj16ELj128ELb0ELb0ELb1EEEvllPKT_S5_PKT0_S8_PS3_S9_.uses_vcc, 1
	.set _ZN2at6native12_GLOBAL__N_135GammaBetaBackwardCUDAKernelTemplateIffLj64ELj16ELj128ELb0ELb0ELb1EEEvllPKT_S5_PKT0_S8_PS3_S9_.uses_flat_scratch, 0
	.set _ZN2at6native12_GLOBAL__N_135GammaBetaBackwardCUDAKernelTemplateIffLj64ELj16ELj128ELb0ELb0ELb1EEEvllPKT_S5_PKT0_S8_PS3_S9_.has_dyn_sized_stack, 0
	.set _ZN2at6native12_GLOBAL__N_135GammaBetaBackwardCUDAKernelTemplateIffLj64ELj16ELj128ELb0ELb0ELb1EEEvllPKT_S5_PKT0_S8_PS3_S9_.has_recursion, 0
	.set _ZN2at6native12_GLOBAL__N_135GammaBetaBackwardCUDAKernelTemplateIffLj64ELj16ELj128ELb0ELb0ELb1EEEvllPKT_S5_PKT0_S8_PS3_S9_.has_indirect_call, 0
	.section	.AMDGPU.csdata,"",@progbits
; Kernel info:
; codeLenInByte = 6612
; TotalNumSgprs: 56
; NumVgprs: 96
; NumAgprs: 0
; TotalNumVgprs: 96
; ScratchSize: 0
; MemoryBound: 0
; FloatMode: 240
; IeeeMode: 1
; LDSByteSize: 0 bytes/workgroup (compile time only)
; SGPRBlocks: 6
; VGPRBlocks: 11
; NumSGPRsForWavesPerEU: 56
; NumVGPRsForWavesPerEU: 96
; AccumOffset: 96
; Occupancy: 5
; WaveLimiterHint : 0
; COMPUTE_PGM_RSRC2:SCRATCH_EN: 0
; COMPUTE_PGM_RSRC2:USER_SGPR: 2
; COMPUTE_PGM_RSRC2:TRAP_HANDLER: 0
; COMPUTE_PGM_RSRC2:TGID_X_EN: 1
; COMPUTE_PGM_RSRC2:TGID_Y_EN: 1
; COMPUTE_PGM_RSRC2:TGID_Z_EN: 0
; COMPUTE_PGM_RSRC2:TIDIG_COMP_CNT: 1
; COMPUTE_PGM_RSRC3_GFX90A:ACCUM_OFFSET: 23
; COMPUTE_PGM_RSRC3_GFX90A:TG_SPLIT: 0
	.section	.text._ZN2at6native12_GLOBAL__N_135GammaBetaBackwardCUDAKernelTemplateIffLj64ELj16ELj256ELb0ELb1ELb1EEEvllPKT_S5_PKT0_S8_PS3_S9_,"axG",@progbits,_ZN2at6native12_GLOBAL__N_135GammaBetaBackwardCUDAKernelTemplateIffLj64ELj16ELj256ELb0ELb1ELb1EEEvllPKT_S5_PKT0_S8_PS3_S9_,comdat
	.globl	_ZN2at6native12_GLOBAL__N_135GammaBetaBackwardCUDAKernelTemplateIffLj64ELj16ELj256ELb0ELb1ELb1EEEvllPKT_S5_PKT0_S8_PS3_S9_ ; -- Begin function _ZN2at6native12_GLOBAL__N_135GammaBetaBackwardCUDAKernelTemplateIffLj64ELj16ELj256ELb0ELb1ELb1EEEvllPKT_S5_PKT0_S8_PS3_S9_
	.p2align	8
	.type	_ZN2at6native12_GLOBAL__N_135GammaBetaBackwardCUDAKernelTemplateIffLj64ELj16ELj256ELb0ELb1ELb1EEEvllPKT_S5_PKT0_S8_PS3_S9_,@function
_ZN2at6native12_GLOBAL__N_135GammaBetaBackwardCUDAKernelTemplateIffLj64ELj16ELj256ELb0ELb1ELb1EEEvllPKT_S5_PKT0_S8_PS3_S9_: ; @_ZN2at6native12_GLOBAL__N_135GammaBetaBackwardCUDAKernelTemplateIffLj64ELj16ELj256ELb0ELb1ELb1EEEvllPKT_S5_PKT0_S8_PS3_S9_
; %bb.0:
	s_load_dwordx4 s[4:7], s[0:1], 0x0
	s_lshl_b32 s14, s3, 8
	s_mov_b32 s15, 0
	v_mov_b64_e32 v[2:3], s[14:15]
	v_bfe_u32 v36, v0, 10, 10
	s_waitcnt lgkmcnt(0)
	v_cmp_gt_i64_e32 vcc, s[4:5], v[2:3]
	s_cbranch_vccnz .LBB150_2
; %bb.1:
	s_mov_b64 s[8:9], 0
	v_bfe_u32 v2, v0, 10, 10
	s_branch .LBB150_3
.LBB150_2:
	s_mov_b64 s[8:9], -1
                                        ; implicit-def: $vgpr2
.LBB150_3:
	s_load_dwordx2 s[12:13], s[0:1], 0x30
	v_and_b32_e32 v34, 0x3ff, v0
	v_mov_b32_e32 v1, 0
	s_andn2_b64 vcc, exec, s[8:9]
	v_mbcnt_lo_u32_b32 v35, -1, 0
	s_cbranch_vccnz .LBB150_11
; %bb.4:
	s_load_dword s3, s[0:1], 0x4c
	s_load_dword s16, s[0:1], 0x44
	s_load_dwordx2 s[18:19], s[0:1], 0x28
	s_load_dwordx4 s[8:11], s[0:1], 0x10
	v_lshlrev_b32_e32 v0, 4, v36
	s_waitcnt lgkmcnt(0)
	s_and_b32 s0, s3, 0xffff
	v_mad_u32_u24 v1, v36, s0, v34
	v_and_b32_e32 v2, 63, v1
	v_mov_b32_e32 v1, 0
	v_mov_b32_e32 v3, v1
	v_lshl_add_u64 v[8:9], v[0:1], 0, s[14:15]
	v_cmp_gt_u32_e64 s[0:1], 16, v2
	v_mbcnt_hi_u32_b32 v4, -1, v35
	s_lshl_b32 s16, s16, 8
	v_lshl_add_u64 v[2:3], v[8:9], 0, v[2:3]
	v_mul_lo_u32 v0, s7, v8
	v_mul_lo_u32 v10, s6, v9
	v_mad_u64_u32 v[8:9], s[20:21], s6, v8, 0
	v_lshl_add_u32 v6, s2, 6, v34
	v_mov_b32_e32 v7, v1
	v_lshlrev_b32_e32 v4, 2, v4
	s_mul_i32 s3, s7, s16
	s_mul_hi_u32 s20, s6, s16
	s_mov_b32 s17, 0
	v_and_b32_e32 v37, 0x100, v4
	v_add3_u32 v9, v9, v10, v0
	v_lshlrev_b64 v[6:7], 2, v[6:7]
	s_add_i32 s21, s20, s3
	s_mul_i32 s20, s6, s16
	v_or_b32_e32 v38, 28, v37
	v_or_b32_e32 v39, 32, v37
	;; [unrolled: 1-line block ×9, first 2 shown]
	v_lshl_add_u64 v[4:5], v[2:3], 2, s[18:19]
	s_lshl_b64 s[18:19], s[16:17], 2
	v_lshl_add_u64 v[6:7], v[8:9], 2, v[6:7]
	s_lshl_b64 s[20:21], s[20:21], 2
	s_lshl_b64 s[6:7], s[6:7], 2
	v_mov_b64_e32 v[8:9], s[4:5]
	s_branch .LBB150_7
.LBB150_5:                              ;   in Loop: Header=BB150_7 Depth=1
	s_or_b64 exec, exec, s[24:25]
.LBB150_6:                              ;   in Loop: Header=BB150_7 Depth=1
	s_or_b64 exec, exec, s[22:23]
	v_lshl_add_u64 v[16:17], s[8:9], 0, v[6:7]
	v_lshl_add_u64 v[20:21], v[16:17], 0, s[6:7]
	;; [unrolled: 1-line block ×5, first 2 shown]
	global_load_dword v10, v[12:13], off
	v_lshl_add_u64 v[12:13], v[12:13], 0, s[6:7]
	v_lshl_add_u64 v[14:15], v[12:13], 0, s[6:7]
	global_load_dword v11, v[12:13], off
	v_lshl_add_u64 v[18:19], s[10:11], 0, v[6:7]
	global_load_dword v12, v[14:15], off
	v_lshl_add_u64 v[14:15], v[14:15], 0, s[6:7]
	v_lshl_add_u64 v[26:27], v[14:15], 0, s[6:7]
	global_load_dword v13, v[14:15], off
	v_lshl_add_u64 v[22:23], v[18:19], 0, s[6:7]
	global_load_dword v14, v[26:27], off
	;; [unrolled: 2-line block ×3, first 2 shown]
	global_load_dword v47, v[16:17], off
	global_load_dword v52, v[18:19], off
	v_lshl_add_u64 v[16:17], v[26:27], 0, s[6:7]
	v_lshl_add_u64 v[28:29], v[22:23], 0, s[6:7]
	global_load_dword v18, v[16:17], off
	v_lshl_add_u64 v[16:17], v[16:17], 0, s[6:7]
	v_lshl_add_u64 v[32:33], v[28:29], 0, s[6:7]
	;; [unrolled: 1-line block ×4, first 2 shown]
	global_load_dword v19, v[16:17], off
	s_nop 0
	global_load_dword v16, v[50:51], off
	global_load_dword v26, v[48:49], off
	;; [unrolled: 1-line block ×4, first 2 shown]
	v_lshl_add_u64 v[20:21], v[48:49], 0, s[6:7]
	global_load_dword v56, v[24:25], off
	global_load_dword v57, v[28:29], off
	;; [unrolled: 1-line block ×5, first 2 shown]
	v_lshl_add_u64 v[20:21], v[20:21], 0, s[6:7]
	global_load_dword v32, v[20:21], off
	v_lshl_add_u64 v[20:21], v[20:21], 0, s[6:7]
	global_load_dword v33, v[20:21], off
	;; [unrolled: 2-line block ×4, first 2 shown]
	v_lshl_add_u64 v[20:21], v[20:21], 0, s[6:7]
	v_lshl_add_u64 v[24:25], v[20:21], 0, s[6:7]
	global_load_dword v28, v[20:21], off
	global_load_dword v29, v[24:25], off
	v_lshl_add_u64 v[48:49], v[24:25], 0, s[6:7]
	v_lshl_add_u64 v[22:23], v[50:51], 0, s[6:7]
	global_load_dword v24, v[48:49], off
	v_lshl_add_u64 v[48:49], v[48:49], 0, s[6:7]
	global_load_dword v17, v[22:23], off
	;; [unrolled: 2-line block ×3, first 2 shown]
	global_load_dword v20, v[22:23], off
	v_lshl_add_u64 v[22:23], v[22:23], 0, s[6:7]
	v_lshl_add_u64 v[48:49], v[48:49], 0, s[6:7]
	global_load_dword v21, v[22:23], off
	s_waitcnt vmcnt(30)
	ds_bpermute_b32 v53, v37, v0
	global_load_dword v22, v[48:49], off
	v_lshl_add_u64 v[48:49], v[48:49], 0, s[6:7]
	global_load_dword v23, v[48:49], off
	v_or_b32_e32 v60, 4, v37
	v_or_b32_e32 v61, 8, v37
	;; [unrolled: 1-line block ×5, first 2 shown]
	ds_bpermute_b32 v48, v48, v0
	ds_bpermute_b32 v49, v49, v0
	v_or_b32_e32 v50, 24, v37
	ds_bpermute_b32 v50, v50, v0
	ds_bpermute_b32 v51, v38, v0
	s_add_u32 s14, s14, s16
	s_addc_u32 s15, s15, 0
	v_cmp_lt_i64_e32 vcc, s[14:15], v[8:9]
	v_lshl_add_u64 v[4:5], v[4:5], 0, s[18:19]
	v_lshl_add_u64 v[2:3], v[2:3], 0, s[16:17]
	;; [unrolled: 1-line block ×3, first 2 shown]
	s_and_b64 vcc, exec, vcc
	s_waitcnt vmcnt(24)
	v_mul_f32_e32 v47, v47, v52
	s_waitcnt lgkmcnt(4)
	v_fmac_f32_e32 v1, v47, v53
	ds_bpermute_b32 v47, v60, v0
	ds_bpermute_b32 v60, v61, v0
	;; [unrolled: 1-line block ×5, first 2 shown]
	s_waitcnt vmcnt(18)
	v_mul_f32_e32 v54, v54, v55
	s_waitcnt lgkmcnt(4)
	v_fmac_f32_e32 v1, v54, v47
	s_waitcnt vmcnt(16)
	v_mul_f32_e32 v47, v56, v57
	s_waitcnt lgkmcnt(3)
	v_fmac_f32_e32 v1, v47, v60
	s_waitcnt vmcnt(14)
	v_mul_f32_e32 v47, v58, v59
	s_waitcnt vmcnt(13)
	v_pk_mul_f32 v[10:11], v[10:11], v[26:27]
	s_waitcnt lgkmcnt(2)
	v_fmac_f32_e32 v1, v47, v61
	v_pk_mul_f32 v[10:11], v[10:11], v[48:49]
	s_waitcnt vmcnt(11)
	v_pk_mul_f32 v[12:13], v[12:13], v[32:33]
	v_add_f32_e32 v1, v1, v10
	ds_bpermute_b32 v54, v41, v0
	v_add_f32_e32 v1, v1, v11
	v_pk_mul_f32 v[10:11], v[12:13], v[50:51]
	ds_bpermute_b32 v55, v42, v0
	v_add_f32_e32 v1, v1, v10
	s_waitcnt vmcnt(9)
	v_pk_mul_f32 v[12:13], v[14:15], v[30:31]
	v_add_f32_e32 v1, v1, v11
	s_waitcnt lgkmcnt(2)
	v_pk_mul_f32 v[10:11], v[12:13], v[52:53]
	ds_bpermute_b32 v12, v43, v0
	v_add_f32_e32 v1, v1, v10
	ds_bpermute_b32 v13, v44, v0
	v_add_f32_e32 v1, v1, v11
	s_waitcnt vmcnt(7)
	v_pk_mul_f32 v[10:11], v[18:19], v[28:29]
	ds_bpermute_b32 v14, v45, v0
	s_waitcnt lgkmcnt(3)
	v_pk_mul_f32 v[10:11], v[10:11], v[54:55]
	ds_bpermute_b32 v15, v46, v0
	v_add_f32_e32 v1, v1, v10
	v_add_f32_e32 v18, v1, v11
	s_waitcnt vmcnt(4)
	v_pk_mul_f32 v[10:11], v[16:17], v[24:25]
	s_waitcnt lgkmcnt(2)
	v_pk_mul_f32 v[0:1], v[10:11], v[12:13]
	s_nop 0
	v_add_f32_e32 v0, v18, v0
	v_add_f32_e32 v10, v0, v1
	s_waitcnt vmcnt(0)
	v_pk_mul_f32 v[0:1], v[20:21], v[22:23]
	s_waitcnt lgkmcnt(0)
	v_pk_mul_f32 v[0:1], v[0:1], v[14:15]
	s_nop 0
	v_add_f32_e32 v0, v10, v0
	v_add_f32_e32 v1, v0, v1
	s_cbranch_vccz .LBB150_10
.LBB150_7:                              ; =>This Inner Loop Header: Depth=1
	v_mov_b32_e32 v0, 0
	s_and_saveexec_b64 s[22:23], s[0:1]
	s_cbranch_execz .LBB150_6
; %bb.8:                                ;   in Loop: Header=BB150_7 Depth=1
	v_cmp_gt_i64_e32 vcc, s[4:5], v[2:3]
	v_mov_b32_e32 v0, 0
	s_and_saveexec_b64 s[24:25], vcc
	s_cbranch_execz .LBB150_5
; %bb.9:                                ;   in Loop: Header=BB150_7 Depth=1
	global_load_dword v0, v[4:5], off
	s_branch .LBB150_5
.LBB150_10:
	v_mov_b32_e32 v2, v36
.LBB150_11:
	s_movk_i32 s0, 0x41
	v_mad_u32_u24 v0, v2, s0, v34
	v_lshl_add_u32 v0, v0, 2, 0
	ds_write_b32 v0, v1
	v_mov_b32_e32 v1, 0
	ds_write_b32 v0, v1 offset:4160
	v_lshrrev_b32_e32 v0, 6, v34
	v_add_u32_e32 v0, v0, v2
	v_cmp_gt_u32_e32 vcc, 64, v0
	s_waitcnt lgkmcnt(0)
	s_barrier
	s_and_saveexec_b64 s[0:1], vcc
	s_cbranch_execz .LBB150_31
; %bb.12:
	v_and_b32_e32 v1, 63, v34
	v_cmp_gt_u32_e32 vcc, 16, v1
	v_mul_u32_u24_e32 v2, 0x41, v1
                                        ; implicit-def: $vgpr1
	s_and_saveexec_b64 s[0:1], vcc
; %bb.13:
	v_lshlrev_b32_e32 v1, 2, v0
	v_lshlrev_b32_e32 v3, 2, v2
	v_add3_u32 v1, 0, v1, v3
	ds_read_b32 v1, v1
; %bb.14:
	s_or_b64 exec, exec, s[0:1]
	v_mbcnt_hi_u32_b32 v6, -1, v35
	v_and_b32_e32 v3, 64, v6
	v_add_u32_e32 v7, 64, v3
	v_xor_b32_e32 v3, 8, v6
	v_cmp_lt_i32_e64 s[0:1], v3, v7
	v_xor_b32_e32 v5, 4, v6
	v_xor_b32_e32 v8, 2, v6
	v_cndmask_b32_e64 v3, v6, v3, s[0:1]
	v_lshlrev_b32_e32 v3, 2, v3
	s_waitcnt lgkmcnt(0)
	ds_bpermute_b32 v4, v3, v1
	v_cmp_lt_i32_e64 s[0:1], v5, v7
	s_cmp_lg_u64 s[12:13], 0
	s_mov_b32 s3, 0
	s_cselect_b64 s[6:7], -1, 0
	s_waitcnt lgkmcnt(0)
	v_add_f32_e32 v1, v1, v4
	v_cndmask_b32_e64 v4, v6, v5, s[0:1]
	v_lshlrev_b32_e32 v4, 2, v4
	ds_bpermute_b32 v5, v4, v1
	v_cmp_lt_i32_e64 s[0:1], v8, v7
	s_waitcnt lgkmcnt(0)
	v_add_f32_e32 v1, v1, v5
	v_cndmask_b32_e64 v5, v6, v8, s[0:1]
	v_lshlrev_b32_e32 v5, 2, v5
	ds_bpermute_b32 v8, v5, v1
	v_cmp_eq_u32_e64 s[0:1], 0, v34
	s_waitcnt lgkmcnt(0)
	v_add_f32_e32 v1, v1, v8
	v_xor_b32_e32 v8, 1, v6
	v_cmp_lt_i32_e64 s[4:5], v8, v7
	s_nop 1
	v_cndmask_b32_e64 v6, v6, v8, s[4:5]
	v_lshlrev_b32_e32 v6, 2, v6
	ds_bpermute_b32 v7, v6, v1
	s_and_b64 s[4:5], s[0:1], s[6:7]
	s_lshl_b64 s[0:1], s[2:3], 8
	s_add_u32 s2, s12, s0
	s_addc_u32 s3, s13, s1
	s_waitcnt lgkmcnt(0)
	v_add_f32_e32 v7, v1, v7
	s_and_saveexec_b64 s[0:1], s[4:5]
	s_cbranch_execz .LBB150_16
; %bb.15:
	v_mov_b32_e32 v1, 0
	v_lshl_add_u64 v[8:9], v[0:1], 2, s[2:3]
	global_store_dword v[8:9], v7, off
.LBB150_16:
	s_or_b64 exec, exec, s[0:1]
	v_cmp_gt_u32_e64 s[0:1], 48, v0
	s_and_b64 exec, exec, s[0:1]
	s_cbranch_execz .LBB150_31
; %bb.17:
	s_and_saveexec_b64 s[0:1], vcc
; %bb.18:
	v_lshlrev_b32_e32 v1, 2, v0
	v_lshlrev_b32_e32 v7, 2, v2
	v_add3_u32 v1, 0, v1, v7
	ds_read_b32 v7, v1 offset:64
; %bb.19:
	s_or_b64 exec, exec, s[0:1]
	s_waitcnt lgkmcnt(0)
	ds_bpermute_b32 v1, v3, v7
	s_waitcnt lgkmcnt(0)
	v_add_f32_e32 v1, v7, v1
	ds_bpermute_b32 v7, v4, v1
	s_waitcnt lgkmcnt(0)
	v_add_f32_e32 v1, v1, v7
	;; [unrolled: 3-line block ×4, first 2 shown]
	s_and_saveexec_b64 s[0:1], s[4:5]
	s_cbranch_execz .LBB150_21
; %bb.20:
	v_mov_b32_e32 v1, 0
	v_lshl_add_u64 v[8:9], v[0:1], 2, s[2:3]
	global_store_dword v[8:9], v7, off offset:64
.LBB150_21:
	s_or_b64 exec, exec, s[0:1]
	v_cmp_gt_u32_e64 s[0:1], 32, v0
	s_and_b64 exec, exec, s[0:1]
	s_cbranch_execz .LBB150_31
; %bb.22:
	s_and_saveexec_b64 s[0:1], vcc
; %bb.23:
	v_lshlrev_b32_e32 v1, 2, v0
	v_lshlrev_b32_e32 v7, 2, v2
	v_add3_u32 v1, 0, v1, v7
	ds_read_b32 v7, v1 offset:128
; %bb.24:
	s_or_b64 exec, exec, s[0:1]
	s_waitcnt lgkmcnt(0)
	ds_bpermute_b32 v1, v3, v7
	s_waitcnt lgkmcnt(0)
	v_add_f32_e32 v1, v7, v1
	ds_bpermute_b32 v7, v4, v1
	s_waitcnt lgkmcnt(0)
	v_add_f32_e32 v1, v1, v7
	;; [unrolled: 3-line block ×4, first 2 shown]
	s_and_saveexec_b64 s[0:1], s[4:5]
	s_cbranch_execz .LBB150_26
; %bb.25:
	v_mov_b32_e32 v1, 0
	v_lshl_add_u64 v[8:9], v[0:1], 2, s[2:3]
	global_store_dword v[8:9], v7, off offset:128
.LBB150_26:
	s_or_b64 exec, exec, s[0:1]
	v_cmp_gt_u32_e64 s[0:1], 16, v0
	s_and_b64 exec, exec, s[0:1]
	s_cbranch_execz .LBB150_31
; %bb.27:
	s_and_saveexec_b64 s[0:1], vcc
; %bb.28:
	v_lshlrev_b32_e32 v1, 2, v0
	v_lshlrev_b32_e32 v2, 2, v2
	v_add3_u32 v1, 0, v1, v2
	ds_read_b32 v7, v1 offset:192
; %bb.29:
	s_or_b64 exec, exec, s[0:1]
	s_waitcnt lgkmcnt(0)
	ds_bpermute_b32 v1, v3, v7
	s_waitcnt lgkmcnt(0)
	v_add_f32_e32 v1, v7, v1
	ds_bpermute_b32 v2, v4, v1
	s_waitcnt lgkmcnt(0)
	v_add_f32_e32 v1, v1, v2
	;; [unrolled: 3-line block ×3, first 2 shown]
	ds_bpermute_b32 v2, v6, v1
	s_and_saveexec_b64 s[0:1], s[4:5]
	s_xor_b64 s[0:1], exec, s[0:1]
	s_cbranch_execz .LBB150_31
; %bb.30:
	s_waitcnt lgkmcnt(0)
	v_add_f32_e32 v2, v1, v2
	v_mov_b32_e32 v1, 0
	v_lshl_add_u64 v[0:1], v[0:1], 2, s[2:3]
	global_store_dword v[0:1], v2, off offset:192
.LBB150_31:
	s_endpgm
	.section	.rodata,"a",@progbits
	.p2align	6, 0x0
	.amdhsa_kernel _ZN2at6native12_GLOBAL__N_135GammaBetaBackwardCUDAKernelTemplateIffLj64ELj16ELj256ELb0ELb1ELb1EEEvllPKT_S5_PKT0_S8_PS3_S9_
		.amdhsa_group_segment_fixed_size 0
		.amdhsa_private_segment_fixed_size 0
		.amdhsa_kernarg_size 320
		.amdhsa_user_sgpr_count 2
		.amdhsa_user_sgpr_dispatch_ptr 0
		.amdhsa_user_sgpr_queue_ptr 0
		.amdhsa_user_sgpr_kernarg_segment_ptr 1
		.amdhsa_user_sgpr_dispatch_id 0
		.amdhsa_user_sgpr_kernarg_preload_length 0
		.amdhsa_user_sgpr_kernarg_preload_offset 0
		.amdhsa_user_sgpr_private_segment_size 0
		.amdhsa_uses_dynamic_stack 0
		.amdhsa_enable_private_segment 0
		.amdhsa_system_sgpr_workgroup_id_x 1
		.amdhsa_system_sgpr_workgroup_id_y 1
		.amdhsa_system_sgpr_workgroup_id_z 0
		.amdhsa_system_sgpr_workgroup_info 0
		.amdhsa_system_vgpr_workitem_id 1
		.amdhsa_next_free_vgpr 63
		.amdhsa_next_free_sgpr 26
		.amdhsa_accum_offset 64
		.amdhsa_reserve_vcc 1
		.amdhsa_float_round_mode_32 0
		.amdhsa_float_round_mode_16_64 0
		.amdhsa_float_denorm_mode_32 3
		.amdhsa_float_denorm_mode_16_64 3
		.amdhsa_dx10_clamp 1
		.amdhsa_ieee_mode 1
		.amdhsa_fp16_overflow 0
		.amdhsa_tg_split 0
		.amdhsa_exception_fp_ieee_invalid_op 0
		.amdhsa_exception_fp_denorm_src 0
		.amdhsa_exception_fp_ieee_div_zero 0
		.amdhsa_exception_fp_ieee_overflow 0
		.amdhsa_exception_fp_ieee_underflow 0
		.amdhsa_exception_fp_ieee_inexact 0
		.amdhsa_exception_int_div_zero 0
	.end_amdhsa_kernel
	.section	.text._ZN2at6native12_GLOBAL__N_135GammaBetaBackwardCUDAKernelTemplateIffLj64ELj16ELj256ELb0ELb1ELb1EEEvllPKT_S5_PKT0_S8_PS3_S9_,"axG",@progbits,_ZN2at6native12_GLOBAL__N_135GammaBetaBackwardCUDAKernelTemplateIffLj64ELj16ELj256ELb0ELb1ELb1EEEvllPKT_S5_PKT0_S8_PS3_S9_,comdat
.Lfunc_end150:
	.size	_ZN2at6native12_GLOBAL__N_135GammaBetaBackwardCUDAKernelTemplateIffLj64ELj16ELj256ELb0ELb1ELb1EEEvllPKT_S5_PKT0_S8_PS3_S9_, .Lfunc_end150-_ZN2at6native12_GLOBAL__N_135GammaBetaBackwardCUDAKernelTemplateIffLj64ELj16ELj256ELb0ELb1ELb1EEEvllPKT_S5_PKT0_S8_PS3_S9_
                                        ; -- End function
	.set _ZN2at6native12_GLOBAL__N_135GammaBetaBackwardCUDAKernelTemplateIffLj64ELj16ELj256ELb0ELb1ELb1EEEvllPKT_S5_PKT0_S8_PS3_S9_.num_vgpr, 63
	.set _ZN2at6native12_GLOBAL__N_135GammaBetaBackwardCUDAKernelTemplateIffLj64ELj16ELj256ELb0ELb1ELb1EEEvllPKT_S5_PKT0_S8_PS3_S9_.num_agpr, 0
	.set _ZN2at6native12_GLOBAL__N_135GammaBetaBackwardCUDAKernelTemplateIffLj64ELj16ELj256ELb0ELb1ELb1EEEvllPKT_S5_PKT0_S8_PS3_S9_.numbered_sgpr, 26
	.set _ZN2at6native12_GLOBAL__N_135GammaBetaBackwardCUDAKernelTemplateIffLj64ELj16ELj256ELb0ELb1ELb1EEEvllPKT_S5_PKT0_S8_PS3_S9_.num_named_barrier, 0
	.set _ZN2at6native12_GLOBAL__N_135GammaBetaBackwardCUDAKernelTemplateIffLj64ELj16ELj256ELb0ELb1ELb1EEEvllPKT_S5_PKT0_S8_PS3_S9_.private_seg_size, 0
	.set _ZN2at6native12_GLOBAL__N_135GammaBetaBackwardCUDAKernelTemplateIffLj64ELj16ELj256ELb0ELb1ELb1EEEvllPKT_S5_PKT0_S8_PS3_S9_.uses_vcc, 1
	.set _ZN2at6native12_GLOBAL__N_135GammaBetaBackwardCUDAKernelTemplateIffLj64ELj16ELj256ELb0ELb1ELb1EEEvllPKT_S5_PKT0_S8_PS3_S9_.uses_flat_scratch, 0
	.set _ZN2at6native12_GLOBAL__N_135GammaBetaBackwardCUDAKernelTemplateIffLj64ELj16ELj256ELb0ELb1ELb1EEEvllPKT_S5_PKT0_S8_PS3_S9_.has_dyn_sized_stack, 0
	.set _ZN2at6native12_GLOBAL__N_135GammaBetaBackwardCUDAKernelTemplateIffLj64ELj16ELj256ELb0ELb1ELb1EEEvllPKT_S5_PKT0_S8_PS3_S9_.has_recursion, 0
	.set _ZN2at6native12_GLOBAL__N_135GammaBetaBackwardCUDAKernelTemplateIffLj64ELj16ELj256ELb0ELb1ELb1EEEvllPKT_S5_PKT0_S8_PS3_S9_.has_indirect_call, 0
	.section	.AMDGPU.csdata,"",@progbits
; Kernel info:
; codeLenInByte = 2196
; TotalNumSgprs: 32
; NumVgprs: 63
; NumAgprs: 0
; TotalNumVgprs: 63
; ScratchSize: 0
; MemoryBound: 0
; FloatMode: 240
; IeeeMode: 1
; LDSByteSize: 0 bytes/workgroup (compile time only)
; SGPRBlocks: 3
; VGPRBlocks: 7
; NumSGPRsForWavesPerEU: 32
; NumVGPRsForWavesPerEU: 63
; AccumOffset: 64
; Occupancy: 8
; WaveLimiterHint : 0
; COMPUTE_PGM_RSRC2:SCRATCH_EN: 0
; COMPUTE_PGM_RSRC2:USER_SGPR: 2
; COMPUTE_PGM_RSRC2:TRAP_HANDLER: 0
; COMPUTE_PGM_RSRC2:TGID_X_EN: 1
; COMPUTE_PGM_RSRC2:TGID_Y_EN: 1
; COMPUTE_PGM_RSRC2:TGID_Z_EN: 0
; COMPUTE_PGM_RSRC2:TIDIG_COMP_CNT: 1
; COMPUTE_PGM_RSRC3_GFX90A:ACCUM_OFFSET: 15
; COMPUTE_PGM_RSRC3_GFX90A:TG_SPLIT: 0
	.section	.text._ZN2at6native12_GLOBAL__N_135GammaBetaBackwardCUDAKernelTemplateIffLj64ELj16ELj256ELb0ELb0ELb1EEEvllPKT_S5_PKT0_S8_PS3_S9_,"axG",@progbits,_ZN2at6native12_GLOBAL__N_135GammaBetaBackwardCUDAKernelTemplateIffLj64ELj16ELj256ELb0ELb0ELb1EEEvllPKT_S5_PKT0_S8_PS3_S9_,comdat
	.globl	_ZN2at6native12_GLOBAL__N_135GammaBetaBackwardCUDAKernelTemplateIffLj64ELj16ELj256ELb0ELb0ELb1EEEvllPKT_S5_PKT0_S8_PS3_S9_ ; -- Begin function _ZN2at6native12_GLOBAL__N_135GammaBetaBackwardCUDAKernelTemplateIffLj64ELj16ELj256ELb0ELb0ELb1EEEvllPKT_S5_PKT0_S8_PS3_S9_
	.p2align	8
	.type	_ZN2at6native12_GLOBAL__N_135GammaBetaBackwardCUDAKernelTemplateIffLj64ELj16ELj256ELb0ELb0ELb1EEEvllPKT_S5_PKT0_S8_PS3_S9_,@function
_ZN2at6native12_GLOBAL__N_135GammaBetaBackwardCUDAKernelTemplateIffLj64ELj16ELj256ELb0ELb0ELb1EEEvllPKT_S5_PKT0_S8_PS3_S9_: ; @_ZN2at6native12_GLOBAL__N_135GammaBetaBackwardCUDAKernelTemplateIffLj64ELj16ELj256ELb0ELb0ELb1EEEvllPKT_S5_PKT0_S8_PS3_S9_
; %bb.0:
	s_load_dwordx8 s[8:15], s[0:1], 0x0
	s_load_dwordx2 s[16:17], s[0:1], 0x28
	s_lshl_b32 s33, s2, 6
	s_mov_b32 s19, 0
	s_lshl_b32 s18, s3, 8
	v_mov_b32_e32 v73, v0
	s_or_b32 s4, s33, 63
	v_mov_b64_e32 v[0:1], s[18:19]
	v_mov_b32_e32 v2, s4
	v_mov_b32_e32 v3, 0
	s_waitcnt lgkmcnt(0)
	v_cmp_gt_i64_e64 s[4:5], s[8:9], v[0:1]
	v_cmp_le_i64_e32 vcc, s[10:11], v[2:3]
	s_nop 0
	v_cndmask_b32_e64 v0, 0, 1, s[4:5]
	v_cmp_ne_u32_e64 s[4:5], 1, v0
	s_cbranch_vccz .LBB151_81
; %bb.1:
	s_and_b64 vcc, exec, s[4:5]
	s_cbranch_vccnz .LBB151_83
; %bb.2:
	v_mov_b32_e32 v2, 0
	v_bfe_u32 v105, v73, 10, 10
	v_and_b32_e32 v104, 0x3ff, v73
	v_lshlrev_b32_e32 v36, 4, v105
	v_mov_b32_e32 v37, v2
	v_add_u32_e32 v0, s33, v104
	v_mov_b32_e32 v1, v2
	v_lshl_add_u64 v[4:5], v[36:37], 0, s[18:19]
	v_cmp_gt_i64_e64 s[6:7], s[10:11], v[0:1]
	v_lshlrev_b64 v[38:39], 2, v[0:1]
	v_mul_lo_u32 v3, s11, v4
	v_mul_lo_u32 v8, s10, v5
	v_mad_u64_u32 v[0:1], s[22:23], s10, v4, 0
	v_add3_u32 v1, v1, v8, v3
	v_lshlrev_b64 v[0:1], 2, v[0:1]
	v_lshl_add_u64 v[40:41], s[12:13], 0, v[0:1]
	v_lshl_add_u64 v[42:43], s[14:15], 0, v[0:1]
	v_lshl_add_u64 v[0:1], v[4:5], 0, 15
	v_mul_lo_u32 v6, s11, v0
	v_mul_lo_u32 v7, s10, v1
	v_mad_u64_u32 v[0:1], s[24:25], s10, v0, 0
	v_add3_u32 v1, v1, v7, v6
	v_lshlrev_b64 v[0:1], 2, v[0:1]
	v_lshl_add_u64 v[44:45], s[12:13], 0, v[0:1]
	v_lshl_add_u64 v[46:47], s[14:15], 0, v[0:1]
	v_lshl_add_u64 v[0:1], v[4:5], 0, 14
	;; [unrolled: 8-line block ×8, first 2 shown]
	v_mul_lo_u32 v6, s11, v0
	v_mul_lo_u32 v7, s10, v1
	v_mad_u64_u32 v[0:1], s[24:25], s10, v0, 0
	v_add3_u32 v1, v1, v7, v6
	v_lshlrev_b64 v[0:1], 2, v[0:1]
	v_mov_b32_e32 v112, v73
	v_lshl_add_u64 v[72:73], s[12:13], 0, v[0:1]
	v_lshl_add_u64 v[74:75], s[14:15], 0, v[0:1]
	v_lshl_add_u64 v[0:1], v[4:5], 0, 7
	v_mul_lo_u32 v6, s11, v0
	v_mul_lo_u32 v7, s10, v1
	v_mad_u64_u32 v[0:1], s[24:25], s10, v0, 0
	v_add3_u32 v1, v1, v7, v6
	v_lshlrev_b64 v[0:1], 2, v[0:1]
	v_lshl_add_u64 v[76:77], s[12:13], 0, v[0:1]
	v_lshl_add_u64 v[78:79], s[14:15], 0, v[0:1]
	v_lshl_add_u64 v[0:1], v[4:5], 0, 6
	v_mul_lo_u32 v6, s11, v0
	v_mul_lo_u32 v7, s10, v1
	v_mad_u64_u32 v[0:1], s[24:25], s10, v0, 0
	v_add3_u32 v1, v1, v7, v6
	v_lshlrev_b64 v[0:1], 2, v[0:1]
	;; [unrolled: 8-line block ×3, first 2 shown]
	v_lshl_add_u64 v[84:85], s[12:13], 0, v[0:1]
	v_lshl_add_u64 v[86:87], s[14:15], 0, v[0:1]
	;; [unrolled: 1-line block ×3, first 2 shown]
	v_mul_lo_u32 v6, s11, v0
	v_mul_lo_u32 v7, s10, v1
	v_mad_u64_u32 v[0:1], s[24:25], s10, v0, 0
	v_add3_u32 v1, v1, v7, v6
	v_lshl_add_u64 v[6:7], v[4:5], 0, 3
	v_mul_lo_u32 v9, s11, v6
	v_mul_lo_u32 v10, s10, v7
	v_mad_u64_u32 v[6:7], s[24:25], s10, v6, 0
	v_add3_u32 v7, v7, v10, v9
	s_load_dword s3, s[0:1], 0x44
	v_lshlrev_b64 v[6:7], 2, v[6:7]
	v_lshl_add_u64 v[90:91], s[12:13], 0, v[6:7]
	v_lshl_add_u64 v[92:93], s[14:15], 0, v[6:7]
	;; [unrolled: 1-line block ×3, first 2 shown]
	v_mul_lo_u32 v5, s11, v6
	v_mul_lo_u32 v9, s10, v7
	v_mad_u64_u32 v[6:7], s[24:25], s10, v6, 0
	v_add3_u32 v7, v7, v9, v5
	s_add_u32 s20, s0, 64
	v_lshlrev_b64 v[6:7], 2, v[6:7]
	s_addc_u32 s21, s1, 0
	s_waitcnt lgkmcnt(0)
	s_lshl_b32 s3, s3, 8
	v_lshl_add_u64 v[94:95], s[12:13], 0, v[6:7]
	v_lshl_add_u64 v[96:97], s[14:15], 0, v[6:7]
	v_mov_b64_e32 v[6:7], s[10:11]
	s_mul_i32 s22, s11, s3
	s_mul_hi_u32 s23, s10, s3
	v_mad_u64_u32 v[4:5], s[24:25], s10, v4, v[6:7]
	s_add_i32 s23, s23, s22
	s_mul_i32 s22, s10, s3
	v_add3_u32 v5, v3, v5, v8
	v_mbcnt_lo_u32_b32 v3, -1, 0
	s_lshl_b64 s[22:23], s[22:23], 2
	v_mbcnt_hi_u32_b32 v3, -1, v3
	v_lshlrev_b64 v[0:1], 2, v[0:1]
	v_lshlrev_b64 v[4:5], 2, v[4:5]
	s_add_u32 s24, s18, 0xff
	s_movk_i32 s26, 0xff01
	s_movk_i32 s28, 0xff02
	;; [unrolled: 1-line block ×16, first 2 shown]
	v_lshlrev_b32_e32 v3, 2, v3
	v_lshl_add_u64 v[88:89], s[12:13], 0, v[0:1]
	v_lshl_add_u64 v[0:1], s[14:15], 0, v[0:1]
	;; [unrolled: 1-line block ×4, first 2 shown]
	s_addc_u32 s25, 0, 0
	s_mov_b32 s27, -1
	s_mov_b32 s29, -1
	;; [unrolled: 1-line block ×16, first 2 shown]
	v_and_b32_e32 v106, 0x100, v3
	s_mov_b64 s[60:61], s[18:19]
	v_mov_b32_e32 v107, 0
.LBB151_3:                              ; =>This Inner Loop Header: Depth=1
	v_mov_b64_e32 v[4:5], s[8:9]
	v_cmp_ge_i64_e32 vcc, s[24:25], v[4:5]
	v_lshl_add_u64 v[102:103], v[36:37], 0, s[24:25]
	s_mov_b64 s[62:63], -1
	s_and_b64 vcc, exec, vcc
                                        ; implicit-def: $vgpr4_vgpr5_vgpr6_vgpr7_vgpr8_vgpr9_vgpr10_vgpr11_vgpr12_vgpr13_vgpr14_vgpr15_vgpr16_vgpr17_vgpr18_vgpr19
                                        ; implicit-def: $vgpr3
                                        ; implicit-def: $vgpr20_vgpr21_vgpr22_vgpr23_vgpr24_vgpr25_vgpr26_vgpr27_vgpr28_vgpr29_vgpr30_vgpr31_vgpr32_vgpr33_vgpr34_vgpr35
                                        ; implicit-def: $vgpr4
	s_cbranch_vccz .LBB151_41
; %bb.4:                                ;   in Loop: Header=BB151_3 Depth=1
	s_load_dword s62, s[20:21], 0xc
	v_mov_b32_e32 v108, 0
	s_waitcnt lgkmcnt(0)
	s_and_b32 s62, s62, 0xffff
	v_mad_u32_u24 v3, v105, s62, v104
	v_and_b32_e32 v4, 63, v3
	v_cmp_gt_u32_e32 vcc, 16, v4
	s_and_saveexec_b64 s[62:63], vcc
	s_cbranch_execz .LBB151_8
; %bb.5:                                ;   in Loop: Header=BB151_3 Depth=1
	v_mov_b32_e32 v5, v2
	v_lshl_add_u64 v[4:5], v[102:103], 0, v[4:5]
	v_lshl_add_u64 v[4:5], v[4:5], 0, s[26:27]
	v_cmp_gt_i64_e32 vcc, s[8:9], v[4:5]
	v_mov_b32_e32 v108, 0
	s_and_saveexec_b64 s[64:65], vcc
	s_cbranch_execz .LBB151_7
; %bb.6:                                ;   in Loop: Header=BB151_3 Depth=1
	v_lshl_add_u64 v[4:5], v[4:5], 2, s[16:17]
	global_load_dword v108, v[4:5], off
.LBB151_7:                              ;   in Loop: Header=BB151_3 Depth=1
	s_or_b64 exec, exec, s[64:65]
.LBB151_8:                              ;   in Loop: Header=BB151_3 Depth=1
	s_or_b64 exec, exec, s[62:63]
	v_lshl_add_u64 v[4:5], v[102:103], 0, s[26:27]
	v_mov_b32_e32 v16, v2
	v_mov_b32_e32 v17, v2
	v_cmp_gt_i64_e32 vcc, s[8:9], v[4:5]
	v_mov_b32_e32 v3, v2
	v_mov_b32_e32 v4, v2
	;; [unrolled: 1-line block ×13, first 2 shown]
	v_mov_b64_e32 v[34:35], v[16:17]
	v_mov_b64_e32 v[32:33], v[14:15]
	v_mov_b64_e32 v[30:31], v[12:13]
	v_mov_b64_e32 v[28:29], v[10:11]
	v_mov_b64_e32 v[26:27], v[8:9]
	v_mov_b64_e32 v[24:25], v[6:7]
	v_mov_b64_e32 v[22:23], v[4:5]
	v_mov_b64_e32 v[20:21], v[2:3]
	v_mov_b64_e32 v[18:19], v[16:17]
	s_and_b64 s[64:65], s[6:7], vcc
	v_mov_b64_e32 v[16:17], v[14:15]
	v_mov_b64_e32 v[14:15], v[12:13]
	;; [unrolled: 1-line block ×7, first 2 shown]
	s_and_saveexec_b64 s[62:63], s[64:65]
	s_cbranch_execz .LBB151_10
; %bb.9:                                ;   in Loop: Header=BB151_3 Depth=1
	v_lshl_add_u64 v[4:5], v[40:41], 0, v[38:39]
	v_lshl_add_u64 v[6:7], v[42:43], 0, v[38:39]
	global_load_dword v4, v[4:5], off
	v_mov_b32_e32 v5, v2
	global_load_dword v20, v[6:7], off
	v_mov_b32_e32 v6, v2
	v_mov_b32_e32 v7, v2
	v_mov_b32_e32 v8, v2
	v_mov_b32_e32 v9, v2
	v_mov_b32_e32 v10, v2
	v_mov_b32_e32 v11, v2
	v_mov_b32_e32 v12, v2
	v_mov_b32_e32 v13, v2
	v_mov_b32_e32 v14, v2
	v_mov_b32_e32 v15, v2
	v_mov_b32_e32 v16, v2
	v_mov_b32_e32 v17, v2
	v_mov_b32_e32 v18, v2
	v_mov_b32_e32 v19, v2
	v_mov_b32_e32 v21, v2
	v_mov_b32_e32 v22, v2
	v_mov_b32_e32 v23, v2
	v_mov_b32_e32 v24, v2
	v_mov_b32_e32 v25, v2
	v_mov_b32_e32 v26, v2
	v_mov_b32_e32 v27, v2
	v_mov_b32_e32 v28, v2
	v_mov_b32_e32 v29, v2
	v_mov_b32_e32 v30, v2
	v_mov_b32_e32 v31, v2
	v_mov_b32_e32 v32, v2
	v_mov_b32_e32 v33, v2
	v_mov_b32_e32 v34, v2
	v_mov_b32_e32 v35, v2
.LBB151_10:                             ;   in Loop: Header=BB151_3 Depth=1
	s_or_b64 exec, exec, s[62:63]
	v_lshl_add_u64 v[110:111], v[102:103], 0, s[28:29]
	v_cmp_gt_i64_e32 vcc, s[8:9], v[110:111]
	s_and_b64 s[64:65], s[6:7], vcc
	s_and_saveexec_b64 s[62:63], s[64:65]
	s_cbranch_execz .LBB151_12
; %bb.11:                               ;   in Loop: Header=BB151_3 Depth=1
	v_lshl_add_u64 v[110:111], v[98:99], 0, v[38:39]
	global_load_dword v5, v[110:111], off
	v_lshl_add_u64 v[110:111], v[100:101], 0, v[38:39]
	global_load_dword v21, v[110:111], off
.LBB151_12:                             ;   in Loop: Header=BB151_3 Depth=1
	s_or_b64 exec, exec, s[62:63]
	v_lshl_add_u64 v[110:111], v[102:103], 0, s[30:31]
	v_cmp_gt_i64_e32 vcc, s[8:9], v[110:111]
	s_and_b64 s[64:65], s[6:7], vcc
	s_and_saveexec_b64 s[62:63], s[64:65]
	s_cbranch_execz .LBB151_14
; %bb.13:                               ;   in Loop: Header=BB151_3 Depth=1
	v_lshl_add_u64 v[110:111], v[94:95], 0, v[38:39]
	global_load_dword v6, v[110:111], off
	v_lshl_add_u64 v[110:111], v[96:97], 0, v[38:39]
	global_load_dword v22, v[110:111], off
.LBB151_14:                             ;   in Loop: Header=BB151_3 Depth=1
	;; [unrolled: 12-line block ×15, first 2 shown]
	s_or_b64 exec, exec, s[62:63]
	s_waitcnt vmcnt(0)
	ds_bpermute_b32 v3, v106, v108
	ds_bpermute_b32 v109, v106, v108 offset:4
	v_mul_f32_e32 v4, v20, v4
	ds_bpermute_b32 v20, v106, v108 offset:8
	v_mul_f32_e32 v5, v21, v5
	s_waitcnt lgkmcnt(2)
	v_fma_f32 v110, v4, v3, v107
	s_waitcnt lgkmcnt(1)
	v_fmac_f32_e32 v110, v5, v109
	ds_bpermute_b32 v4, v106, v108 offset:12
	ds_bpermute_b32 v5, v106, v108 offset:16
	v_mul_f32_e32 v3, v22, v6
	s_waitcnt lgkmcnt(2)
	v_fmac_f32_e32 v110, v3, v20
	v_pk_mul_f32 v[8:9], v[24:25], v[8:9]
	v_mul_f32_e32 v3, v23, v7
	v_pk_mov_b32 v[20:21], v[2:3], v[8:9] op_sel:[1,0]
	v_pk_mul_f32 v[10:11], v[26:27], v[10:11]
	s_waitcnt lgkmcnt(0)
	v_pk_mul_f32 v[4:5], v[20:21], v[4:5]
	ds_bpermute_b32 v20, v106, v108 offset:20
	ds_bpermute_b32 v21, v106, v108 offset:24
	v_add_f32_e32 v3, v110, v4
	v_add_f32_e32 v3, v3, v5
	v_pk_mov_b32 v[4:5], v[8:9], v[10:11] op_sel:[1,0]
	ds_bpermute_b32 v8, v106, v108 offset:28
	ds_bpermute_b32 v9, v106, v108 offset:32
	s_waitcnt lgkmcnt(2)
	v_pk_mul_f32 v[4:5], v[4:5], v[20:21]
	v_pk_mul_f32 v[12:13], v[28:29], v[12:13]
	v_add_f32_e32 v3, v3, v4
	v_add_f32_e32 v3, v3, v5
	v_pk_mov_b32 v[4:5], v[10:11], v[12:13] op_sel:[1,0]
	v_pk_mul_f32 v[14:15], v[30:31], v[14:15]
	s_waitcnt lgkmcnt(0)
	v_pk_mul_f32 v[4:5], v[4:5], v[8:9]
	ds_bpermute_b32 v8, v106, v108 offset:36
	ds_bpermute_b32 v9, v106, v108 offset:40
	v_add_f32_e32 v3, v3, v4
	ds_bpermute_b32 v10, v106, v108 offset:44
	ds_bpermute_b32 v11, v106, v108 offset:48
	v_add_f32_e32 v3, v3, v5
	v_pk_mov_b32 v[4:5], v[12:13], v[14:15] op_sel:[1,0]
	v_pk_mul_f32 v[16:17], v[32:33], v[16:17]
	s_waitcnt lgkmcnt(2)
	v_pk_mul_f32 v[4:5], v[4:5], v[8:9]
	ds_bpermute_b32 v8, v106, v108 offset:52
	v_add_f32_e32 v3, v3, v4
	ds_bpermute_b32 v9, v106, v108 offset:56
	v_add_f32_e32 v3, v3, v5
	v_pk_mov_b32 v[4:5], v[14:15], v[16:17] op_sel:[1,0]
	v_mul_f32_e32 v6, v34, v18
	s_waitcnt lgkmcnt(2)
	v_pk_mul_f32 v[4:5], v[4:5], v[10:11]
	v_pk_mov_b32 v[6:7], v[16:17], v[6:7] op_sel:[1,0]
	v_add_f32_e32 v3, v3, v4
	ds_bpermute_b32 v4, v106, v108 offset:60
	v_add_f32_e32 v3, v3, v5
	s_waitcnt lgkmcnt(1)
	v_pk_mul_f32 v[6:7], v[6:7], v[8:9]
	s_mov_b64 s[62:63], 0
	v_add_f32_e32 v3, v3, v6
	v_add_f32_e32 v3, v3, v7
.LBB151_41:                             ;   in Loop: Header=BB151_3 Depth=1
	s_and_b64 vcc, exec, s[62:63]
	s_cbranch_vccz .LBB151_64
; %bb.42:                               ;   in Loop: Header=BB151_3 Depth=1
	s_load_dword s62, s[20:21], 0x0
	v_mov_b32_e32 v108, 0
	s_waitcnt lgkmcnt(0)
	s_cmp_lt_u32 s2, s62
	s_cselect_b32 s62, 12, 18
	s_add_u32 s62, s20, s62
	s_addc_u32 s63, s21, 0
	global_load_ushort v3, v2, s[62:63]
	s_waitcnt vmcnt(0)
	v_mad_u32_u24 v3, v105, v3, v104
	v_and_b32_e32 v4, 63, v3
	v_cmp_gt_u32_e32 vcc, 16, v4
	s_and_saveexec_b64 s[62:63], vcc
	s_cbranch_execz .LBB151_46
; %bb.43:                               ;   in Loop: Header=BB151_3 Depth=1
	v_mov_b32_e32 v5, v2
	v_lshl_add_u64 v[4:5], v[102:103], 0, v[4:5]
	v_lshl_add_u64 v[4:5], v[4:5], 0, s[26:27]
	v_cmp_gt_i64_e32 vcc, s[8:9], v[4:5]
	v_mov_b32_e32 v108, 0
	s_and_saveexec_b64 s[64:65], vcc
	s_cbranch_execz .LBB151_45
; %bb.44:                               ;   in Loop: Header=BB151_3 Depth=1
	v_lshl_add_u64 v[4:5], v[4:5], 2, s[16:17]
	global_load_dword v108, v[4:5], off
.LBB151_45:                             ;   in Loop: Header=BB151_3 Depth=1
	s_or_b64 exec, exec, s[64:65]
.LBB151_46:                             ;   in Loop: Header=BB151_3 Depth=1
	s_or_b64 exec, exec, s[62:63]
	v_mov_b32_e32 v16, v2
	v_mov_b32_e32 v17, v2
	;; [unrolled: 1-line block ×15, first 2 shown]
	v_mov_b64_e32 v[34:35], v[16:17]
	v_mov_b64_e32 v[32:33], v[14:15]
	;; [unrolled: 1-line block ×16, first 2 shown]
	s_and_saveexec_b64 s[62:63], s[6:7]
	s_cbranch_execnz .LBB151_66
; %bb.47:                               ;   in Loop: Header=BB151_3 Depth=1
	s_or_b64 exec, exec, s[62:63]
	s_and_saveexec_b64 s[62:63], s[6:7]
	s_cbranch_execnz .LBB151_67
.LBB151_48:                             ;   in Loop: Header=BB151_3 Depth=1
	s_or_b64 exec, exec, s[62:63]
	s_and_saveexec_b64 s[62:63], s[6:7]
	s_cbranch_execnz .LBB151_68
.LBB151_49:                             ;   in Loop: Header=BB151_3 Depth=1
	s_or_b64 exec, exec, s[62:63]
	s_and_saveexec_b64 s[62:63], s[6:7]
	s_cbranch_execnz .LBB151_69
.LBB151_50:                             ;   in Loop: Header=BB151_3 Depth=1
	s_or_b64 exec, exec, s[62:63]
	s_and_saveexec_b64 s[62:63], s[6:7]
	s_cbranch_execnz .LBB151_70
.LBB151_51:                             ;   in Loop: Header=BB151_3 Depth=1
	s_or_b64 exec, exec, s[62:63]
	s_and_saveexec_b64 s[62:63], s[6:7]
	s_cbranch_execnz .LBB151_71
.LBB151_52:                             ;   in Loop: Header=BB151_3 Depth=1
	s_or_b64 exec, exec, s[62:63]
	s_and_saveexec_b64 s[62:63], s[6:7]
	s_cbranch_execnz .LBB151_72
.LBB151_53:                             ;   in Loop: Header=BB151_3 Depth=1
	s_or_b64 exec, exec, s[62:63]
	s_and_saveexec_b64 s[62:63], s[6:7]
	s_cbranch_execnz .LBB151_73
.LBB151_54:                             ;   in Loop: Header=BB151_3 Depth=1
	s_or_b64 exec, exec, s[62:63]
	s_and_saveexec_b64 s[62:63], s[6:7]
	s_cbranch_execnz .LBB151_74
.LBB151_55:                             ;   in Loop: Header=BB151_3 Depth=1
	s_or_b64 exec, exec, s[62:63]
	s_and_saveexec_b64 s[62:63], s[6:7]
	s_cbranch_execnz .LBB151_75
.LBB151_56:                             ;   in Loop: Header=BB151_3 Depth=1
	s_or_b64 exec, exec, s[62:63]
	s_and_saveexec_b64 s[62:63], s[6:7]
	s_cbranch_execnz .LBB151_76
.LBB151_57:                             ;   in Loop: Header=BB151_3 Depth=1
	s_or_b64 exec, exec, s[62:63]
	s_and_saveexec_b64 s[62:63], s[6:7]
	s_cbranch_execnz .LBB151_77
.LBB151_58:                             ;   in Loop: Header=BB151_3 Depth=1
	s_or_b64 exec, exec, s[62:63]
	s_and_saveexec_b64 s[62:63], s[6:7]
	s_cbranch_execnz .LBB151_78
.LBB151_59:                             ;   in Loop: Header=BB151_3 Depth=1
	s_or_b64 exec, exec, s[62:63]
	s_and_saveexec_b64 s[62:63], s[6:7]
	s_cbranch_execnz .LBB151_79
.LBB151_60:                             ;   in Loop: Header=BB151_3 Depth=1
	s_or_b64 exec, exec, s[62:63]
	s_and_saveexec_b64 s[62:63], s[6:7]
	s_cbranch_execnz .LBB151_80
.LBB151_61:                             ;   in Loop: Header=BB151_3 Depth=1
	s_or_b64 exec, exec, s[62:63]
	s_and_saveexec_b64 s[62:63], s[6:7]
	s_cbranch_execz .LBB151_63
.LBB151_62:                             ;   in Loop: Header=BB151_3 Depth=1
	v_lshl_add_u64 v[102:103], v[44:45], 0, v[38:39]
	global_load_dword v19, v[102:103], off
	v_lshl_add_u64 v[102:103], v[46:47], 0, v[38:39]
	global_load_dword v35, v[102:103], off
.LBB151_63:                             ;   in Loop: Header=BB151_3 Depth=1
	s_or_b64 exec, exec, s[62:63]
	s_waitcnt vmcnt(0)
	ds_bpermute_b32 v3, v106, v108
	ds_bpermute_b32 v102, v106, v108 offset:4
	v_mul_f32_e32 v4, v20, v4
	ds_bpermute_b32 v20, v106, v108 offset:8
	v_mul_f32_e32 v5, v21, v5
	s_waitcnt lgkmcnt(2)
	v_fmac_f32_e32 v107, v4, v3
	s_waitcnt lgkmcnt(1)
	v_fmac_f32_e32 v107, v5, v102
	ds_bpermute_b32 v4, v106, v108 offset:12
	ds_bpermute_b32 v5, v106, v108 offset:16
	v_mul_f32_e32 v3, v22, v6
	s_waitcnt lgkmcnt(2)
	v_fmac_f32_e32 v107, v3, v20
	v_pk_mul_f32 v[8:9], v[24:25], v[8:9]
	v_mul_f32_e32 v3, v23, v7
	v_pk_mov_b32 v[20:21], v[2:3], v[8:9] op_sel:[1,0]
	v_pk_mul_f32 v[10:11], v[26:27], v[10:11]
	s_waitcnt lgkmcnt(0)
	v_pk_mul_f32 v[4:5], v[20:21], v[4:5]
	ds_bpermute_b32 v20, v106, v108 offset:20
	ds_bpermute_b32 v21, v106, v108 offset:24
	v_add_f32_e32 v3, v107, v4
	v_add_f32_e32 v3, v3, v5
	v_pk_mov_b32 v[4:5], v[8:9], v[10:11] op_sel:[1,0]
	ds_bpermute_b32 v8, v106, v108 offset:28
	ds_bpermute_b32 v9, v106, v108 offset:32
	s_waitcnt lgkmcnt(2)
	v_pk_mul_f32 v[4:5], v[4:5], v[20:21]
	v_pk_mul_f32 v[12:13], v[28:29], v[12:13]
	v_add_f32_e32 v3, v3, v4
	v_add_f32_e32 v3, v3, v5
	v_pk_mov_b32 v[4:5], v[10:11], v[12:13] op_sel:[1,0]
	v_pk_mul_f32 v[14:15], v[30:31], v[14:15]
	s_waitcnt lgkmcnt(0)
	v_pk_mul_f32 v[4:5], v[4:5], v[8:9]
	ds_bpermute_b32 v8, v106, v108 offset:36
	ds_bpermute_b32 v9, v106, v108 offset:40
	v_add_f32_e32 v3, v3, v4
	ds_bpermute_b32 v10, v106, v108 offset:44
	ds_bpermute_b32 v11, v106, v108 offset:48
	v_add_f32_e32 v3, v3, v5
	v_pk_mov_b32 v[4:5], v[12:13], v[14:15] op_sel:[1,0]
	v_pk_mul_f32 v[16:17], v[32:33], v[16:17]
	s_waitcnt lgkmcnt(2)
	v_pk_mul_f32 v[4:5], v[4:5], v[8:9]
	ds_bpermute_b32 v8, v106, v108 offset:52
	v_add_f32_e32 v3, v3, v4
	ds_bpermute_b32 v9, v106, v108 offset:56
	v_add_f32_e32 v3, v3, v5
	v_pk_mov_b32 v[4:5], v[14:15], v[16:17] op_sel:[1,0]
	v_mul_f32_e32 v6, v34, v18
	s_waitcnt lgkmcnt(2)
	v_pk_mul_f32 v[4:5], v[4:5], v[10:11]
	v_pk_mov_b32 v[6:7], v[16:17], v[6:7] op_sel:[1,0]
	v_add_f32_e32 v3, v3, v4
	ds_bpermute_b32 v4, v106, v108 offset:60
	v_add_f32_e32 v3, v3, v5
	s_waitcnt lgkmcnt(1)
	v_pk_mul_f32 v[6:7], v[6:7], v[8:9]
	s_nop 0
	v_add_f32_e32 v3, v3, v6
	v_add_f32_e32 v3, v3, v7
.LBB151_64:                             ;   in Loop: Header=BB151_3 Depth=1
	v_mul_f32_e32 v5, v19, v35
	s_add_u32 s60, s60, s3
	s_waitcnt lgkmcnt(0)
	v_fmac_f32_e32 v3, v5, v4
	s_addc_u32 s61, s61, 0
	v_mov_b64_e32 v[4:5], s[8:9]
	s_add_u32 s24, s24, s3
	v_cmp_lt_i64_e32 vcc, s[60:61], v[4:5]
	v_lshl_add_u64 v[40:41], v[40:41], 0, s[22:23]
	v_lshl_add_u64 v[42:43], v[42:43], 0, s[22:23]
	;; [unrolled: 1-line block ×32, first 2 shown]
	s_addc_u32 s25, s25, 0
	s_cbranch_vccz .LBB151_82
; %bb.65:                               ;   in Loop: Header=BB151_3 Depth=1
	v_mov_b32_e32 v107, v3
	s_branch .LBB151_3
.LBB151_66:                             ;   in Loop: Header=BB151_3 Depth=1
	v_lshl_add_u64 v[4:5], v[40:41], 0, v[38:39]
	v_lshl_add_u64 v[6:7], v[42:43], 0, v[38:39]
	global_load_dword v4, v[4:5], off
	v_mov_b32_e32 v5, v2
	global_load_dword v20, v[6:7], off
	v_mov_b32_e32 v6, v2
	v_mov_b32_e32 v7, v2
	;; [unrolled: 1-line block ×29, first 2 shown]
	s_or_b64 exec, exec, s[62:63]
	s_and_saveexec_b64 s[62:63], s[6:7]
	s_cbranch_execz .LBB151_48
.LBB151_67:                             ;   in Loop: Header=BB151_3 Depth=1
	v_lshl_add_u64 v[102:103], v[98:99], 0, v[38:39]
	global_load_dword v5, v[102:103], off
	v_lshl_add_u64 v[102:103], v[100:101], 0, v[38:39]
	global_load_dword v21, v[102:103], off
	s_or_b64 exec, exec, s[62:63]
	s_and_saveexec_b64 s[62:63], s[6:7]
	s_cbranch_execz .LBB151_49
.LBB151_68:                             ;   in Loop: Header=BB151_3 Depth=1
	v_lshl_add_u64 v[102:103], v[94:95], 0, v[38:39]
	global_load_dword v6, v[102:103], off
	v_lshl_add_u64 v[102:103], v[96:97], 0, v[38:39]
	global_load_dword v22, v[102:103], off
	s_or_b64 exec, exec, s[62:63]
	s_and_saveexec_b64 s[62:63], s[6:7]
	s_cbranch_execz .LBB151_50
.LBB151_69:                             ;   in Loop: Header=BB151_3 Depth=1
	v_lshl_add_u64 v[102:103], v[90:91], 0, v[38:39]
	global_load_dword v7, v[102:103], off
	v_lshl_add_u64 v[102:103], v[92:93], 0, v[38:39]
	global_load_dword v23, v[102:103], off
	s_or_b64 exec, exec, s[62:63]
	s_and_saveexec_b64 s[62:63], s[6:7]
	s_cbranch_execz .LBB151_51
.LBB151_70:                             ;   in Loop: Header=BB151_3 Depth=1
	v_lshl_add_u64 v[102:103], v[88:89], 0, v[38:39]
	global_load_dword v8, v[102:103], off
	v_lshl_add_u64 v[102:103], v[0:1], 0, v[38:39]
	global_load_dword v24, v[102:103], off
	s_or_b64 exec, exec, s[62:63]
	s_and_saveexec_b64 s[62:63], s[6:7]
	s_cbranch_execz .LBB151_52
.LBB151_71:                             ;   in Loop: Header=BB151_3 Depth=1
	v_lshl_add_u64 v[102:103], v[84:85], 0, v[38:39]
	global_load_dword v9, v[102:103], off
	v_lshl_add_u64 v[102:103], v[86:87], 0, v[38:39]
	global_load_dword v25, v[102:103], off
	s_or_b64 exec, exec, s[62:63]
	s_and_saveexec_b64 s[62:63], s[6:7]
	s_cbranch_execz .LBB151_53
.LBB151_72:                             ;   in Loop: Header=BB151_3 Depth=1
	v_lshl_add_u64 v[102:103], v[80:81], 0, v[38:39]
	global_load_dword v10, v[102:103], off
	v_lshl_add_u64 v[102:103], v[82:83], 0, v[38:39]
	global_load_dword v26, v[102:103], off
	s_or_b64 exec, exec, s[62:63]
	s_and_saveexec_b64 s[62:63], s[6:7]
	s_cbranch_execz .LBB151_54
.LBB151_73:                             ;   in Loop: Header=BB151_3 Depth=1
	v_lshl_add_u64 v[102:103], v[76:77], 0, v[38:39]
	global_load_dword v11, v[102:103], off
	v_lshl_add_u64 v[102:103], v[78:79], 0, v[38:39]
	global_load_dword v27, v[102:103], off
	s_or_b64 exec, exec, s[62:63]
	s_and_saveexec_b64 s[62:63], s[6:7]
	s_cbranch_execz .LBB151_55
.LBB151_74:                             ;   in Loop: Header=BB151_3 Depth=1
	v_lshl_add_u64 v[102:103], v[72:73], 0, v[38:39]
	global_load_dword v12, v[102:103], off
	v_lshl_add_u64 v[102:103], v[74:75], 0, v[38:39]
	global_load_dword v28, v[102:103], off
	s_or_b64 exec, exec, s[62:63]
	s_and_saveexec_b64 s[62:63], s[6:7]
	s_cbranch_execz .LBB151_56
.LBB151_75:                             ;   in Loop: Header=BB151_3 Depth=1
	v_lshl_add_u64 v[102:103], v[68:69], 0, v[38:39]
	global_load_dword v13, v[102:103], off
	v_lshl_add_u64 v[102:103], v[70:71], 0, v[38:39]
	global_load_dword v29, v[102:103], off
	s_or_b64 exec, exec, s[62:63]
	s_and_saveexec_b64 s[62:63], s[6:7]
	s_cbranch_execz .LBB151_57
.LBB151_76:                             ;   in Loop: Header=BB151_3 Depth=1
	v_lshl_add_u64 v[102:103], v[64:65], 0, v[38:39]
	global_load_dword v14, v[102:103], off
	v_lshl_add_u64 v[102:103], v[66:67], 0, v[38:39]
	global_load_dword v30, v[102:103], off
	s_or_b64 exec, exec, s[62:63]
	s_and_saveexec_b64 s[62:63], s[6:7]
	s_cbranch_execz .LBB151_58
.LBB151_77:                             ;   in Loop: Header=BB151_3 Depth=1
	v_lshl_add_u64 v[102:103], v[60:61], 0, v[38:39]
	global_load_dword v15, v[102:103], off
	v_lshl_add_u64 v[102:103], v[62:63], 0, v[38:39]
	global_load_dword v31, v[102:103], off
	s_or_b64 exec, exec, s[62:63]
	s_and_saveexec_b64 s[62:63], s[6:7]
	s_cbranch_execz .LBB151_59
.LBB151_78:                             ;   in Loop: Header=BB151_3 Depth=1
	v_lshl_add_u64 v[102:103], v[56:57], 0, v[38:39]
	global_load_dword v16, v[102:103], off
	v_lshl_add_u64 v[102:103], v[58:59], 0, v[38:39]
	global_load_dword v32, v[102:103], off
	s_or_b64 exec, exec, s[62:63]
	s_and_saveexec_b64 s[62:63], s[6:7]
	s_cbranch_execz .LBB151_60
.LBB151_79:                             ;   in Loop: Header=BB151_3 Depth=1
	v_lshl_add_u64 v[102:103], v[52:53], 0, v[38:39]
	global_load_dword v17, v[102:103], off
	v_lshl_add_u64 v[102:103], v[54:55], 0, v[38:39]
	global_load_dword v33, v[102:103], off
	s_or_b64 exec, exec, s[62:63]
	s_and_saveexec_b64 s[62:63], s[6:7]
	s_cbranch_execz .LBB151_61
.LBB151_80:                             ;   in Loop: Header=BB151_3 Depth=1
	v_lshl_add_u64 v[102:103], v[48:49], 0, v[38:39]
	global_load_dword v18, v[102:103], off
	v_lshl_add_u64 v[102:103], v[50:51], 0, v[38:39]
	global_load_dword v34, v[102:103], off
	s_or_b64 exec, exec, s[62:63]
	s_and_saveexec_b64 s[62:63], s[6:7]
	s_cbranch_execnz .LBB151_62
	s_branch .LBB151_63
.LBB151_81:
                                        ; implicit-def: $vgpr3
	s_branch .LBB151_84
.LBB151_82:
	v_mov_b32_e32 v73, v112
.LBB151_83:
	s_cbranch_execnz .LBB151_132
.LBB151_84:
	s_and_b64 vcc, exec, s[4:5]
	v_mov_b32_e32 v3, 0
	s_cbranch_vccnz .LBB151_132
; %bb.85:
	v_mov_b32_e32 v35, v73
	v_mov_b32_e32 v2, 0
	v_bfe_u32 v25, v35, 10, 10
	v_lshlrev_b32_e32 v0, 6, v25
	v_mov_b32_e32 v1, v2
	v_lshl_add_u64 v[0:1], s[18:19], 2, v[0:1]
	v_lshl_add_u64 v[6:7], v[0:1], 0, 4
	v_mov_b64_e32 v[4:5], s[12:13]
	v_mad_u64_u32 v[8:9], s[4:5], s10, v6, v[4:5]
	v_mul_lo_u32 v3, s10, v7
	v_mul_lo_u32 v7, s11, v6
	v_add3_u32 v9, v7, v9, v3
	scratch_store_dwordx2 off, v[8:9], off  ; 8-byte Folded Spill
	v_lshl_add_u64 v[8:9], v[0:1], 0, 8
	v_mad_u64_u32 v[10:11], s[4:5], s10, v8, v[4:5]
	v_mul_lo_u32 v9, s10, v9
	v_mul_lo_u32 v20, s11, v8
	v_add3_u32 v11, v20, v11, v9
	scratch_store_dwordx2 off, v[10:11], off offset:8 ; 8-byte Folded Spill
	v_lshl_add_u64 v[10:11], v[0:1], 0, 12
	v_mad_u64_u32 v[12:13], s[4:5], s10, v10, v[4:5]
	v_mul_lo_u32 v11, s10, v11
	v_mul_lo_u32 v21, s11, v10
	v_add3_u32 v13, v21, v13, v11
	scratch_store_dwordx2 off, v[12:13], off offset:16 ; 8-byte Folded Spill
	;; [unrolled: 6-line block ×5, first 2 shown]
	v_mov_b64_e32 v[18:19], s[14:15]
	v_mad_u64_u32 v[26:27], s[4:5], s10, v6, v[18:19]
	v_add3_u32 v27, v7, v27, v3
	scratch_store_dwordx2 off, v[26:27], off offset:48 ; 8-byte Folded Spill
	v_mad_u64_u32 v[26:27], s[4:5], s10, v8, v[18:19]
	v_lshl_add_u64 v[6:7], v[0:1], 0, 28
	v_add3_u32 v27, v20, v27, v9
	scratch_store_dwordx2 off, v[26:27], off offset:56 ; 8-byte Folded Spill
	v_mad_u64_u32 v[8:9], s[4:5], s10, v6, v[4:5]
	v_mad_u64_u32 v[26:27], s[4:5], s10, v10, v[18:19]
	v_mul_lo_u32 v3, s10, v7
	v_mul_lo_u32 v7, s11, v6
	v_add3_u32 v27, v21, v27, v11
	v_add3_u32 v9, v7, v9, v3
	v_mad_u64_u32 v[10:11], s[4:5], s10, v14, v[18:19]
	scratch_store_dwordx2 off, v[8:9], off offset:64 ; 8-byte Folded Spill
	v_mad_u64_u32 v[8:9], s[4:5], s10, v12, v[18:19]
	v_add3_u32 v11, v23, v11, v15
	v_add3_u32 v9, v22, v9, v13
	scratch_store_dwordx2 off, v[10:11], off offset:88 ; 8-byte Folded Spill
	v_mad_u64_u32 v[10:11], s[4:5], s10, v16, v[18:19]
	scratch_store_dwordx2 off, v[8:9], off offset:80 ; 8-byte Folded Spill
	v_lshl_add_u64 v[8:9], v[0:1], 0, 32
	v_add3_u32 v11, v24, v11, v17
	v_mad_u64_u32 v[12:13], s[4:5], s10, v8, v[4:5]
	scratch_store_dwordx2 off, v[10:11], off offset:104 ; 8-byte Folded Spill
	v_mul_lo_u32 v9, s10, v9
	v_mul_lo_u32 v10, s11, v8
	v_add3_u32 v13, v10, v13, v9
	scratch_store_dwordx2 off, v[12:13], off offset:96 ; 8-byte Folded Spill
	v_mad_u64_u32 v[12:13], s[4:5], s10, v6, v[18:19]
	v_add3_u32 v13, v7, v13, v3
	scratch_store_dwordx2 off, v[12:13], off offset:112 ; 8-byte Folded Spill
	v_lshl_add_u64 v[6:7], v[0:1], 0, 36
	v_mad_u64_u32 v[12:13], s[4:5], s10, v8, v[18:19]
	v_add3_u32 v13, v10, v13, v9
	v_mul_lo_u32 v3, s10, v7
	v_mul_lo_u32 v7, s11, v6
	v_mad_u64_u32 v[8:9], s[4:5], s10, v6, v[4:5]
	v_add3_u32 v9, v7, v9, v3
	scratch_store_dwordx2 off, v[8:9], off offset:128 ; 8-byte Folded Spill
	v_mad_u64_u32 v[8:9], s[4:5], s10, v6, v[18:19]
	v_add3_u32 v9, v7, v9, v3
	v_lshl_add_u64 v[6:7], v[0:1], 0, 40
	scratch_store_dwordx2 off, v[8:9], off offset:136 ; 8-byte Folded Spill
	v_mul_lo_u32 v3, s10, v7
	v_mul_lo_u32 v7, s11, v6
	v_mad_u64_u32 v[8:9], s[4:5], s10, v6, v[4:5]
	v_add3_u32 v9, v7, v9, v3
	scratch_store_dwordx2 off, v[8:9], off offset:144 ; 8-byte Folded Spill
	v_mad_u64_u32 v[8:9], s[4:5], s10, v6, v[18:19]
	v_add3_u32 v9, v7, v9, v3
	v_lshl_add_u64 v[6:7], v[0:1], 0, 44
	v_mul_lo_u32 v3, s10, v7
	v_mul_lo_u32 v7, s11, v6
	v_mad_u64_u32 v[76:77], s[4:5], s10, v6, v[4:5]
	v_mad_u64_u32 v[78:79], s[4:5], s10, v6, v[18:19]
	v_add3_u32 v77, v7, v77, v3
	v_add3_u32 v79, v7, v79, v3
	v_lshl_add_u64 v[6:7], v[0:1], 0, 48
	v_mul_lo_u32 v3, s10, v7
	v_mul_lo_u32 v7, s11, v6
	v_mad_u64_u32 v[80:81], s[4:5], s10, v6, v[4:5]
	v_mad_u64_u32 v[82:83], s[4:5], s10, v6, v[18:19]
	v_add3_u32 v81, v7, v81, v3
	;; [unrolled: 7-line block ×3, first 2 shown]
	v_add3_u32 v87, v7, v87, v3
	v_lshl_add_u64 v[6:7], v[0:1], 0, 56
	v_lshl_add_u64 v[0:1], v[0:1], 0, 60
	v_mad_u64_u32 v[92:93], s[4:5], s10, v0, v[4:5]
	v_mad_u64_u32 v[94:95], s[4:5], s10, v0, v[18:19]
	v_mul_lo_u32 v1, s10, v1
	v_mul_lo_u32 v0, s11, v0
	;; [unrolled: 1-line block ×4, first 2 shown]
	v_mad_u64_u32 v[88:89], s[4:5], s10, v6, v[4:5]
	v_mad_u64_u32 v[90:91], s[4:5], s10, v6, v[18:19]
	v_add3_u32 v93, v0, v93, v1
	v_add3_u32 v95, v0, v95, v1
	v_lshlrev_b32_e32 v0, 4, v25
	v_mov_b32_e32 v1, v2
	v_add3_u32 v89, v7, v89, v3
	v_add3_u32 v91, v7, v91, v3
	v_lshl_add_u64 v[6:7], v[0:1], 0, s[18:19]
	scratch_store_dwordx2 off, v[0:1], off offset:160 ; 8-byte Folded Spill
	v_lshl_add_u64 v[0:1], v[6:7], 0, 15
	v_mul_lo_u32 v3, s11, v0
	v_mul_lo_u32 v4, s10, v1
	v_mad_u64_u32 v[0:1], s[4:5], s10, v0, 0
	v_add3_u32 v1, v1, v4, v3
	v_lshl_add_u64 v[4:5], v[6:7], 0, 14
	scratch_store_dwordx2 off, v[8:9], off offset:152 ; 8-byte Folded Spill
	v_mul_lo_u32 v3, s11, v4
	v_mul_lo_u32 v8, s10, v5
	v_mad_u64_u32 v[4:5], s[4:5], s10, v4, 0
	v_add3_u32 v5, v5, v8, v3
	v_lshl_add_u64 v[8:9], v[6:7], 0, 13
	v_mul_lo_u32 v3, s11, v8
	v_mul_lo_u32 v10, s10, v9
	v_mad_u64_u32 v[8:9], s[4:5], s10, v8, 0
	v_add3_u32 v9, v9, v10, v3
	v_lshl_add_u64 v[10:11], v[6:7], 0, 12
	scratch_store_dwordx2 off, v[12:13], off offset:120 ; 8-byte Folded Spill
	v_mul_lo_u32 v3, s11, v10
	v_mul_lo_u32 v12, s10, v11
	v_mad_u64_u32 v[10:11], s[4:5], s10, v10, 0
	v_add3_u32 v11, v11, v12, v3
	v_lshl_add_u64 v[12:13], v[6:7], 0, 11
	v_mul_lo_u32 v3, s11, v12
	v_mul_lo_u32 v14, s10, v13
	v_mad_u64_u32 v[12:13], s[4:5], s10, v12, 0
	v_add3_u32 v13, v13, v14, v3
	v_lshl_add_u64 v[14:15], v[6:7], 0, 10
	;; [unrolled: 5-line block ×7, first 2 shown]
	scratch_store_dwordx2 off, v[26:27], off offset:72 ; 8-byte Folded Spill
	v_mul_lo_u32 v3, s11, v24
	v_mul_lo_u32 v26, s10, v25
	v_mad_u64_u32 v[24:25], s[4:5], s10, v24, 0
	v_add3_u32 v25, v25, v26, v3
	v_lshl_add_u64 v[26:27], v[6:7], 0, 4
	v_mul_lo_u32 v3, s11, v26
	v_mul_lo_u32 v28, s10, v27
	v_mad_u64_u32 v[26:27], s[4:5], s10, v26, 0
	v_add3_u32 v27, v27, v28, v3
	v_lshl_add_u64 v[28:29], v[6:7], 0, 3
	v_mul_lo_u32 v3, s11, v28
	v_mul_lo_u32 v30, s10, v29
	v_mad_u64_u32 v[28:29], s[4:5], s10, v28, 0
	v_add3_u32 v29, v29, v30, v3
	v_lshl_add_u64 v[30:31], v[6:7], 0, 2
	s_load_dword s3, s[0:1], 0x44
	v_lshlrev_b64 v[0:1], 2, v[0:1]
	v_mul_lo_u32 v3, s11, v30
	v_mul_lo_u32 v32, s10, v31
	v_mad_u64_u32 v[30:31], s[4:5], s10, v30, 0
	v_lshl_add_u64 v[104:105], s[12:13], 0, v[0:1]
	v_lshl_add_u64 v[106:107], s[14:15], 0, v[0:1]
	v_lshlrev_b64 v[0:1], 2, v[4:5]
	v_lshlrev_b64 v[4:5], 2, v[18:19]
	v_add3_u32 v31, v31, v32, v3
	v_mov_b64_e32 v[32:33], s[10:11]
	v_lshl_add_u64 v[36:37], s[12:13], 0, v[4:5]
	v_lshl_add_u64 v[38:39], s[14:15], 0, v[4:5]
	v_lshlrev_b64 v[4:5], 2, v[20:21]
	v_mad_u64_u32 v[32:33], s[4:5], s10, v6, v[32:33]
	v_mul_lo_u32 v3, s11, v6
	v_mul_lo_u32 v34, s10, v7
	v_mad_u64_u32 v[6:7], s[4:5], s10, v6, 0
	v_lshl_add_u64 v[40:41], s[12:13], 0, v[4:5]
	v_lshl_add_u64 v[42:43], s[14:15], 0, v[4:5]
	v_lshlrev_b64 v[4:5], 2, v[22:23]
	s_add_u32 s4, s0, 64
	v_lshl_add_u64 v[108:109], s[12:13], 0, v[0:1]
	v_lshl_add_u64 v[110:111], s[14:15], 0, v[0:1]
	v_lshlrev_b64 v[0:1], 2, v[8:9]
	v_lshl_add_u64 v[44:45], s[12:13], 0, v[4:5]
	v_lshl_add_u64 v[46:47], s[14:15], 0, v[4:5]
	v_lshlrev_b64 v[4:5], 2, v[24:25]
	s_addc_u32 s5, s1, 0
	s_waitcnt lgkmcnt(0)
	s_lshl_b32 s3, s3, 8
	v_lshl_add_u64 v[112:113], s[12:13], 0, v[0:1]
	v_lshl_add_u64 v[114:115], s[14:15], 0, v[0:1]
	v_lshlrev_b64 v[0:1], 2, v[10:11]
	v_lshl_add_u64 v[48:49], s[12:13], 0, v[4:5]
	v_lshl_add_u64 v[50:51], s[14:15], 0, v[4:5]
	v_lshlrev_b64 v[4:5], 2, v[26:27]
	v_add3_u32 v7, v7, v34, v3
	v_add3_u32 v33, v3, v33, v34
	v_and_b32_e32 v3, 0x3ff, v35
	s_mul_i32 s6, s11, s3
	s_mul_hi_u32 s7, s10, s3
	v_lshl_add_u64 v[116:117], s[12:13], 0, v[0:1]
	v_lshl_add_u64 v[118:119], s[14:15], 0, v[0:1]
	v_lshlrev_b64 v[0:1], 2, v[12:13]
	v_lshl_add_u64 v[52:53], s[12:13], 0, v[4:5]
	v_lshl_add_u64 v[54:55], s[14:15], 0, v[4:5]
	v_lshlrev_b64 v[4:5], 2, v[28:29]
	scratch_store_dword off, v3, off offset:168 ; 4-byte Folded Spill
	v_add_u32_e32 v34, s33, v3
	s_add_i32 s7, s7, s6
	s_mul_i32 s6, s10, s3
	v_lshl_add_u64 v[120:121], s[12:13], 0, v[0:1]
	v_lshl_add_u64 v[122:123], s[14:15], 0, v[0:1]
	v_lshlrev_b64 v[0:1], 2, v[14:15]
	v_lshl_add_u64 v[56:57], s[12:13], 0, v[4:5]
	v_lshl_add_u64 v[58:59], s[14:15], 0, v[4:5]
	v_lshlrev_b64 v[4:5], 2, v[30:31]
	v_mbcnt_lo_u32_b32 v3, -1, 0
	v_lshlrev_b64 v[6:7], 2, v[6:7]
	s_lshl_b64 s[6:7], s[6:7], 2
	v_lshl_add_u64 v[124:125], s[12:13], 0, v[0:1]
	v_lshl_add_u64 v[126:127], s[14:15], 0, v[0:1]
	v_lshlrev_b64 v[0:1], 2, v[16:17]
	v_lshl_add_u64 v[60:61], s[12:13], 0, v[4:5]
	v_lshl_add_u64 v[62:63], s[14:15], 0, v[4:5]
	v_lshlrev_b64 v[4:5], 2, v[32:33]
	v_mbcnt_hi_u32_b32 v3, -1, v3
	v_mov_b32_e32 v35, v2
	v_lshl_add_u64 v[100:101], s[12:13], 0, v[6:7]
	v_lshl_add_u64 v[102:103], s[14:15], 0, v[6:7]
	s_add_u32 s20, s18, 0xff
	v_lshl_add_u64 v[96:97], s[12:13], 0, v[0:1]
	v_lshl_add_u64 v[0:1], s[14:15], 0, v[0:1]
	;; [unrolled: 1-line block ×4, first 2 shown]
	s_movk_i32 s12, 0xff01
	s_movk_i32 s14, 0xff02
	;; [unrolled: 1-line block ×16, first 2 shown]
	v_lshlrev_b32_e32 v3, 2, v3
	v_lshlrev_b64 v[98:99], 2, v[34:35]
	s_addc_u32 s21, 0, 0
	s_mov_b32 s13, -1
	s_mov_b32 s15, -1
	;; [unrolled: 1-line block ×16, first 2 shown]
	v_and_b32_e32 v70, 0x100, v3
	v_mov_b32_e32 v71, 0
.LBB151_86:                             ; =>This Inner Loop Header: Depth=1
	v_mov_b64_e32 v[4:5], s[8:9]
	v_cmp_ge_i64_e32 vcc, s[20:21], v[4:5]
	scratch_load_dwordx2 v[4:5], off, off offset:160 ; 8-byte Folded Reload
	s_mov_b64 s[52:53], -1
                                        ; implicit-def: $vgpr3
	s_waitcnt vmcnt(0)
	v_lshl_add_u64 v[68:69], v[4:5], 0, s[20:21]
	s_cbranch_vccz .LBB151_124
; %bb.87:                               ;   in Loop: Header=BB151_86 Depth=1
	scratch_load_dword v4, off, off offset:168 ; 4-byte Folded Reload
	s_load_dword s33, s[4:5], 0xc
	v_bfe_u32 v3, v73, 10, 10
	v_mov_b32_e32 v72, 0
	s_waitcnt lgkmcnt(0)
	s_and_b32 s33, s33, 0xffff
	s_waitcnt vmcnt(0)
	v_mad_u32_u24 v3, v3, s33, v4
	v_and_b32_e32 v4, 63, v3
	v_cmp_gt_u32_e32 vcc, 16, v4
	s_and_saveexec_b64 s[52:53], vcc
	s_cbranch_execz .LBB151_91
; %bb.88:                               ;   in Loop: Header=BB151_86 Depth=1
	v_mov_b32_e32 v5, v2
	v_lshl_add_u64 v[4:5], v[68:69], 0, v[4:5]
	v_lshl_add_u64 v[4:5], v[4:5], 0, s[12:13]
	v_cmp_gt_i64_e32 vcc, s[8:9], v[4:5]
	v_mov_b32_e32 v72, 0
	s_and_saveexec_b64 s[54:55], vcc
	s_cbranch_execz .LBB151_90
; %bb.89:                               ;   in Loop: Header=BB151_86 Depth=1
	v_lshl_add_u64 v[4:5], v[4:5], 2, s[16:17]
	global_load_dword v72, v[4:5], off
.LBB151_90:                             ;   in Loop: Header=BB151_86 Depth=1
	s_or_b64 exec, exec, s[54:55]
.LBB151_91:                             ;   in Loop: Header=BB151_86 Depth=1
	s_or_b64 exec, exec, s[52:53]
	v_lshl_add_u64 v[4:5], v[68:69], 0, s[12:13]
	v_mov_b32_e32 v16, v2
	v_mov_b32_e32 v17, v2
	v_cmp_gt_i64_e32 vcc, s[8:9], v[4:5]
	v_mov_b32_e32 v3, v2
	v_mov_b32_e32 v4, v2
	;; [unrolled: 1-line block ×13, first 2 shown]
	v_mov_b64_e32 v[34:35], v[16:17]
	v_mov_b64_e32 v[32:33], v[14:15]
	;; [unrolled: 1-line block ×16, first 2 shown]
	s_and_saveexec_b64 s[52:53], vcc
	s_cbranch_execz .LBB151_93
; %bb.92:                               ;   in Loop: Header=BB151_86 Depth=1
	v_lshl_add_u64 v[4:5], v[100:101], 0, v[98:99]
	v_lshl_add_u64 v[6:7], v[102:103], 0, v[98:99]
	global_load_dword v4, v[4:5], off
	v_mov_b32_e32 v5, v2
	global_load_dword v20, v[6:7], off
	v_mov_b32_e32 v6, v2
	v_mov_b32_e32 v7, v2
	;; [unrolled: 1-line block ×29, first 2 shown]
.LBB151_93:                             ;   in Loop: Header=BB151_86 Depth=1
	s_or_b64 exec, exec, s[52:53]
	v_lshl_add_u64 v[74:75], v[68:69], 0, s[14:15]
	v_cmp_gt_i64_e32 vcc, s[8:9], v[74:75]
	s_and_saveexec_b64 s[52:53], vcc
	s_cbranch_execz .LBB151_95
; %bb.94:                               ;   in Loop: Header=BB151_86 Depth=1
	v_lshl_add_u64 v[74:75], v[64:65], 0, v[98:99]
	global_load_dword v5, v[74:75], off
	v_lshl_add_u64 v[74:75], v[66:67], 0, v[98:99]
	global_load_dword v21, v[74:75], off
.LBB151_95:                             ;   in Loop: Header=BB151_86 Depth=1
	s_or_b64 exec, exec, s[52:53]
	v_lshl_add_u64 v[74:75], v[68:69], 0, s[22:23]
	v_cmp_gt_i64_e32 vcc, s[8:9], v[74:75]
	s_and_saveexec_b64 s[52:53], vcc
	s_cbranch_execz .LBB151_97
; %bb.96:                               ;   in Loop: Header=BB151_86 Depth=1
	v_lshl_add_u64 v[74:75], v[60:61], 0, v[98:99]
	global_load_dword v6, v[74:75], off
	v_lshl_add_u64 v[74:75], v[62:63], 0, v[98:99]
	global_load_dword v22, v[74:75], off
.LBB151_97:                             ;   in Loop: Header=BB151_86 Depth=1
	;; [unrolled: 11-line block ×3, first 2 shown]
	s_or_b64 exec, exec, s[52:53]
	v_lshl_add_u64 v[74:75], v[68:69], 0, s[26:27]
	v_cmp_gt_i64_e32 vcc, s[8:9], v[74:75]
	s_and_saveexec_b64 s[52:53], vcc
	s_cbranch_execz .LBB151_101
; %bb.100:                              ;   in Loop: Header=BB151_86 Depth=1
	v_lshl_add_u64 v[74:75], v[52:53], 0, v[98:99]
	global_load_dword v8, v[74:75], off
	v_lshl_add_u64 v[74:75], v[54:55], 0, v[98:99]
	global_load_dword v24, v[74:75], off
.LBB151_101:                            ;   in Loop: Header=BB151_86 Depth=1
	s_or_b64 exec, exec, s[52:53]
	v_lshl_add_u64 v[74:75], v[68:69], 0, s[28:29]
	v_cmp_gt_i64_e32 vcc, s[8:9], v[74:75]
	s_and_saveexec_b64 s[52:53], vcc
	s_cbranch_execz .LBB151_103
; %bb.102:                              ;   in Loop: Header=BB151_86 Depth=1
	v_lshl_add_u64 v[74:75], v[48:49], 0, v[98:99]
	global_load_dword v9, v[74:75], off
	v_lshl_add_u64 v[74:75], v[50:51], 0, v[98:99]
	global_load_dword v25, v[74:75], off
.LBB151_103:                            ;   in Loop: Header=BB151_86 Depth=1
	;; [unrolled: 11-line block ×12, first 2 shown]
	s_or_b64 exec, exec, s[52:53]
	s_waitcnt vmcnt(0)
	ds_bpermute_b32 v3, v70, v72
	v_mul_f32_e32 v4, v20, v4
	v_mul_f32_e32 v5, v21, v5
	v_pk_mul_f32 v[8:9], v[24:25], v[8:9]
	v_pk_mul_f32 v[10:11], v[26:27], v[10:11]
	s_waitcnt lgkmcnt(0)
	v_fma_f32 v3, v4, v3, v71
	ds_bpermute_b32 v4, v70, v72 offset:4
	v_pk_mul_f32 v[12:13], v[28:29], v[12:13]
	v_pk_mul_f32 v[14:15], v[30:31], v[14:15]
	;; [unrolled: 1-line block ×3, first 2 shown]
	s_mov_b64 s[52:53], 0
	s_waitcnt lgkmcnt(0)
	v_fmac_f32_e32 v3, v5, v4
	ds_bpermute_b32 v4, v70, v72 offset:8
	v_mul_f32_e32 v5, v22, v6
	ds_bpermute_b32 v6, v70, v72 offset:16
	s_waitcnt lgkmcnt(1)
	v_fmac_f32_e32 v3, v5, v4
	ds_bpermute_b32 v4, v70, v72 offset:12
	v_mul_f32_e32 v5, v23, v7
	ds_bpermute_b32 v7, v70, v72 offset:20
	s_waitcnt lgkmcnt(1)
	v_fmac_f32_e32 v3, v5, v4
	v_pk_mul_f32 v[4:5], v[34:35], v[18:19]
	s_waitcnt lgkmcnt(0)
	v_pk_mul_f32 v[6:7], v[8:9], v[6:7]
	s_nop 0
	v_add_f32_e32 v3, v3, v6
	v_add_f32_e32 v3, v3, v7
	ds_bpermute_b32 v6, v70, v72 offset:24
	ds_bpermute_b32 v7, v70, v72 offset:28
	s_waitcnt lgkmcnt(0)
	v_pk_mul_f32 v[6:7], v[10:11], v[6:7]
	s_nop 0
	v_add_f32_e32 v3, v3, v6
	v_add_f32_e32 v3, v3, v7
	ds_bpermute_b32 v6, v70, v72 offset:32
	ds_bpermute_b32 v7, v70, v72 offset:36
	s_waitcnt lgkmcnt(0)
	v_pk_mul_f32 v[6:7], v[12:13], v[6:7]
	s_nop 0
	v_add_f32_e32 v3, v3, v6
	v_add_f32_e32 v3, v3, v7
	ds_bpermute_b32 v6, v70, v72 offset:40
	ds_bpermute_b32 v7, v70, v72 offset:44
	s_waitcnt lgkmcnt(0)
	v_pk_mul_f32 v[6:7], v[14:15], v[6:7]
	s_nop 0
	v_add_f32_e32 v3, v3, v6
	v_add_f32_e32 v3, v3, v7
	ds_bpermute_b32 v6, v70, v72 offset:48
	ds_bpermute_b32 v7, v70, v72 offset:52
	s_waitcnt lgkmcnt(0)
	v_pk_mul_f32 v[6:7], v[16:17], v[6:7]
	s_nop 0
	v_add_f32_e32 v3, v3, v6
	v_add_f32_e32 v3, v3, v7
	ds_bpermute_b32 v6, v70, v72 offset:56
	ds_bpermute_b32 v7, v70, v72 offset:60
	s_waitcnt lgkmcnt(0)
	v_pk_mul_f32 v[4:5], v[4:5], v[6:7]
	s_nop 0
	v_add_f32_e32 v3, v3, v4
	v_add_f32_e32 v3, v3, v5
.LBB151_124:                            ;   in Loop: Header=BB151_86 Depth=1
	s_and_b64 vcc, exec, s[52:53]
	s_cbranch_vccz .LBB151_130
; %bb.125:                              ;   in Loop: Header=BB151_86 Depth=1
	s_load_dword s33, s[4:5], 0x0
	scratch_load_dword v5, off, off offset:168 ; 4-byte Folded Reload
	v_bfe_u32 v4, v73, 10, 10
	s_waitcnt lgkmcnt(0)
	s_cmp_lt_u32 s2, s33
	s_cselect_b32 s33, 12, 18
	s_add_u32 s52, s4, s33
	s_addc_u32 s53, s5, 0
	global_load_ushort v3, v2, s[52:53]
	s_waitcnt vmcnt(0)
	v_mad_u32_u24 v3, v4, v3, v5
	v_and_b32_e32 v4, 63, v3
	v_cmp_gt_u32_e32 vcc, 16, v4
	v_mov_b32_e32 v3, 0
	s_and_saveexec_b64 s[52:53], vcc
	s_cbranch_execz .LBB151_129
; %bb.126:                              ;   in Loop: Header=BB151_86 Depth=1
	v_mov_b32_e32 v5, v2
	v_lshl_add_u64 v[4:5], v[68:69], 0, v[4:5]
	v_lshl_add_u64 v[4:5], v[4:5], 0, s[12:13]
	v_cmp_gt_i64_e32 vcc, s[8:9], v[4:5]
	v_mov_b32_e32 v3, 0
	s_and_saveexec_b64 s[54:55], vcc
	s_cbranch_execz .LBB151_128
; %bb.127:                              ;   in Loop: Header=BB151_86 Depth=1
	v_lshl_add_u64 v[4:5], v[4:5], 2, s[16:17]
	global_load_dword v3, v[4:5], off
.LBB151_128:                            ;   in Loop: Header=BB151_86 Depth=1
	s_or_b64 exec, exec, s[54:55]
.LBB151_129:                            ;   in Loop: Header=BB151_86 Depth=1
	s_or_b64 exec, exec, s[52:53]
	v_lshl_add_u64 v[4:5], v[100:101], 0, v[98:99]
	global_load_dword v30, v[4:5], off
	v_lshl_add_u64 v[4:5], v[102:103], 0, v[98:99]
	global_load_dword v31, v[4:5], off
	s_nop 0
	scratch_load_dwordx2 v[4:5], off, off   ; 8-byte Folded Reload
	v_lshl_add_u64 v[28:29], v[92:93], 0, v[98:99]
	v_lshl_add_u64 v[6:7], v[90:91], 0, v[98:99]
	s_waitcnt vmcnt(0)
	v_lshl_add_u64 v[4:5], v[4:5], 0, v[98:99]
	global_load_dword v32, v[4:5], off
	s_nop 0
	scratch_load_dwordx2 v[4:5], off, off offset:48 ; 8-byte Folded Reload
	s_waitcnt vmcnt(0)
	v_lshl_add_u64 v[4:5], v[4:5], 0, v[98:99]
	global_load_dword v33, v[4:5], off
	s_nop 0
	scratch_load_dwordx2 v[4:5], off, off offset:8 ; 8-byte Folded Reload
	;; [unrolled: 5-line block ×10, first 2 shown]
	s_waitcnt vmcnt(1)
	v_pk_mul_f32 v[20:21], v[20:21], v[22:23]
	s_waitcnt vmcnt(0)
	v_lshl_add_u64 v[4:5], v[4:5], 0, v[98:99]
	global_load_dword v24, v[4:5], off
	s_nop 0
	scratch_load_dwordx2 v[4:5], off, off offset:104 ; 8-byte Folded Reload
	s_waitcnt vmcnt(0)
	v_lshl_add_u64 v[4:5], v[4:5], 0, v[98:99]
	global_load_dword v26, v[4:5], off
	s_nop 0
	scratch_load_dwordx2 v[4:5], off, off offset:64 ; 8-byte Folded Reload
	;; [unrolled: 5-line block ×4, first 2 shown]
	s_waitcnt vmcnt(1)
	v_pk_mul_f32 v[22:23], v[24:25], v[26:27]
	s_waitcnt vmcnt(0)
	v_lshl_add_u64 v[4:5], v[4:5], 0, v[98:99]
	global_load_dword v16, v[4:5], off
	s_nop 0
	scratch_load_dwordx2 v[4:5], off, off offset:120 ; 8-byte Folded Reload
	s_waitcnt vmcnt(0)
	v_lshl_add_u64 v[4:5], v[4:5], 0, v[98:99]
	global_load_dword v18, v[4:5], off
	s_nop 0
	scratch_load_dwordx2 v[4:5], off, off offset:128 ; 8-byte Folded Reload
	;; [unrolled: 5-line block ×4, first 2 shown]
	s_waitcnt vmcnt(1)
	v_pk_mul_f32 v[16:17], v[16:17], v[18:19]
	s_waitcnt vmcnt(0)
	v_lshl_add_u64 v[4:5], v[4:5], 0, v[98:99]
	global_load_dword v12, v[4:5], off
	s_nop 0
	scratch_load_dwordx2 v[4:5], off, off offset:152 ; 8-byte Folded Reload
	s_waitcnt vmcnt(0)
	v_lshl_add_u64 v[4:5], v[4:5], 0, v[98:99]
	global_load_dword v14, v[4:5], off
	v_lshl_add_u64 v[4:5], v[76:77], 0, v[98:99]
	global_load_dword v13, v[4:5], off
	;; [unrolled: 2-line block ×8, first 2 shown]
	s_waitcnt vmcnt(5)
	v_pk_mul_f32 v[12:13], v[12:13], v[14:15]
	global_load_dword v5, v[28:29], off
	v_lshl_add_u64 v[28:29], v[94:95], 0, v[98:99]
	global_load_dword v6, v[6:7], off
	s_waitcnt vmcnt(3)
	v_pk_mul_f32 v[8:9], v[8:9], v[10:11]
	global_load_dword v7, v[28:29], off
	ds_bpermute_b32 v28, v70, v3
	v_mul_f32_e32 v29, v30, v31
	s_waitcnt lgkmcnt(0)
	v_fmac_f32_e32 v71, v29, v28
	ds_bpermute_b32 v28, v70, v3 offset:4
	v_mul_f32_e32 v29, v32, v33
	s_waitcnt lgkmcnt(0)
	v_fmac_f32_e32 v71, v29, v28
	ds_bpermute_b32 v28, v70, v3 offset:8
	;; [unrolled: 4-line block ×4, first 2 shown]
	ds_bpermute_b32 v29, v70, v3 offset:20
	s_waitcnt lgkmcnt(0)
	v_pk_mul_f32 v[20:21], v[20:21], v[28:29]
	s_nop 0
	v_add_f32_e32 v20, v71, v20
	v_add_f32_e32 v28, v20, v21
	ds_bpermute_b32 v20, v70, v3 offset:24
	ds_bpermute_b32 v21, v70, v3 offset:28
	s_waitcnt lgkmcnt(0)
	v_pk_mul_f32 v[20:21], v[22:23], v[20:21]
	s_nop 0
	v_add_f32_e32 v20, v28, v20
	v_add_f32_e32 v22, v20, v21
	ds_bpermute_b32 v20, v70, v3 offset:32
	ds_bpermute_b32 v21, v70, v3 offset:36
	s_waitcnt lgkmcnt(0)
	v_pk_mul_f32 v[16:17], v[16:17], v[20:21]
	s_nop 0
	v_add_f32_e32 v16, v22, v16
	v_add_f32_e32 v18, v16, v17
	ds_bpermute_b32 v16, v70, v3 offset:40
	ds_bpermute_b32 v17, v70, v3 offset:44
	s_waitcnt lgkmcnt(0)
	v_pk_mul_f32 v[12:13], v[12:13], v[16:17]
	s_nop 0
	v_add_f32_e32 v12, v18, v12
	v_add_f32_e32 v14, v12, v13
	ds_bpermute_b32 v12, v70, v3 offset:48
	ds_bpermute_b32 v13, v70, v3 offset:52
	s_waitcnt lgkmcnt(0)
	v_pk_mul_f32 v[8:9], v[8:9], v[12:13]
	s_nop 0
	v_add_f32_e32 v8, v14, v8
	v_add_f32_e32 v10, v8, v9
	ds_bpermute_b32 v8, v70, v3 offset:56
	ds_bpermute_b32 v9, v70, v3 offset:60
	s_waitcnt vmcnt(0)
	v_pk_mul_f32 v[4:5], v[4:5], v[6:7]
	s_waitcnt lgkmcnt(0)
	v_pk_mul_f32 v[4:5], v[4:5], v[8:9]
	s_nop 0
	v_add_f32_e32 v3, v10, v4
	v_add_f32_e32 v3, v3, v5
.LBB151_130:                            ;   in Loop: Header=BB151_86 Depth=1
	s_add_u32 s18, s18, s3
	s_addc_u32 s19, s19, 0
	v_mov_b64_e32 v[4:5], s[8:9]
	v_cmp_ge_i64_e32 vcc, s[18:19], v[4:5]
	scratch_load_dwordx2 v[4:5], off, off   ; 8-byte Folded Reload
	s_add_u32 s20, s20, s3
	v_lshl_add_u64 v[100:101], v[100:101], 0, s[6:7]
	v_lshl_add_u64 v[102:103], v[102:103], 0, s[6:7]
	s_addc_u32 s21, s21, 0
	v_lshl_add_u64 v[76:77], v[76:77], 0, s[6:7]
	v_lshl_add_u64 v[80:81], v[80:81], 0, s[6:7]
	v_lshl_add_u64 v[84:85], v[84:85], 0, s[6:7]
	v_lshl_add_u64 v[88:89], v[88:89], 0, s[6:7]
	v_lshl_add_u64 v[92:93], v[92:93], 0, s[6:7]
	v_lshl_add_u64 v[78:79], v[78:79], 0, s[6:7]
	v_lshl_add_u64 v[82:83], v[82:83], 0, s[6:7]
	v_lshl_add_u64 v[86:87], v[86:87], 0, s[6:7]
	v_lshl_add_u64 v[90:91], v[90:91], 0, s[6:7]
	v_lshl_add_u64 v[94:95], v[94:95], 0, s[6:7]
	v_lshl_add_u64 v[104:105], v[104:105], 0, s[6:7]
	v_lshl_add_u64 v[106:107], v[106:107], 0, s[6:7]
	v_lshl_add_u64 v[108:109], v[108:109], 0, s[6:7]
	v_lshl_add_u64 v[110:111], v[110:111], 0, s[6:7]
	v_lshl_add_u64 v[112:113], v[112:113], 0, s[6:7]
	v_lshl_add_u64 v[114:115], v[114:115], 0, s[6:7]
	v_lshl_add_u64 v[116:117], v[116:117], 0, s[6:7]
	v_lshl_add_u64 v[118:119], v[118:119], 0, s[6:7]
	v_lshl_add_u64 v[120:121], v[120:121], 0, s[6:7]
	v_lshl_add_u64 v[122:123], v[122:123], 0, s[6:7]
	v_lshl_add_u64 v[124:125], v[124:125], 0, s[6:7]
	v_lshl_add_u64 v[126:127], v[126:127], 0, s[6:7]
	v_lshl_add_u64 v[96:97], v[96:97], 0, s[6:7]
	v_lshl_add_u64 v[0:1], v[0:1], 0, s[6:7]
	v_lshl_add_u64 v[36:37], v[36:37], 0, s[6:7]
	v_lshl_add_u64 v[38:39], v[38:39], 0, s[6:7]
	v_lshl_add_u64 v[40:41], v[40:41], 0, s[6:7]
	v_lshl_add_u64 v[42:43], v[42:43], 0, s[6:7]
	v_lshl_add_u64 v[44:45], v[44:45], 0, s[6:7]
	v_lshl_add_u64 v[46:47], v[46:47], 0, s[6:7]
	v_lshl_add_u64 v[48:49], v[48:49], 0, s[6:7]
	v_lshl_add_u64 v[50:51], v[50:51], 0, s[6:7]
	v_lshl_add_u64 v[52:53], v[52:53], 0, s[6:7]
	v_lshl_add_u64 v[54:55], v[54:55], 0, s[6:7]
	v_lshl_add_u64 v[56:57], v[56:57], 0, s[6:7]
	v_lshl_add_u64 v[58:59], v[58:59], 0, s[6:7]
	v_lshl_add_u64 v[60:61], v[60:61], 0, s[6:7]
	v_lshl_add_u64 v[62:63], v[62:63], 0, s[6:7]
	v_lshl_add_u64 v[64:65], v[64:65], 0, s[6:7]
	v_lshl_add_u64 v[66:67], v[66:67], 0, s[6:7]
	s_and_b64 vcc, exec, vcc
	s_waitcnt vmcnt(0)
	v_lshl_add_u64 v[4:5], v[4:5], 0, s[6:7]
	scratch_store_dwordx2 off, v[4:5], off  ; 8-byte Folded Spill
	scratch_load_dwordx2 v[4:5], off, off offset:8 ; 8-byte Folded Reload
	s_waitcnt vmcnt(0)
	v_lshl_add_u64 v[4:5], v[4:5], 0, s[6:7]
	scratch_store_dwordx2 off, v[4:5], off offset:8 ; 8-byte Folded Spill
	scratch_load_dwordx2 v[4:5], off, off offset:16 ; 8-byte Folded Reload
	s_waitcnt vmcnt(0)
	v_lshl_add_u64 v[4:5], v[4:5], 0, s[6:7]
	scratch_store_dwordx2 off, v[4:5], off offset:16 ; 8-byte Folded Spill
	scratch_load_dwordx2 v[4:5], off, off offset:24 ; 8-byte Folded Reload
	s_waitcnt vmcnt(0)
	v_lshl_add_u64 v[4:5], v[4:5], 0, s[6:7]
	scratch_store_dwordx2 off, v[4:5], off offset:24 ; 8-byte Folded Spill
	scratch_load_dwordx2 v[4:5], off, off offset:32 ; 8-byte Folded Reload
	s_waitcnt vmcnt(0)
	v_lshl_add_u64 v[4:5], v[4:5], 0, s[6:7]
	scratch_store_dwordx2 off, v[4:5], off offset:32 ; 8-byte Folded Spill
	scratch_load_dwordx2 v[4:5], off, off offset:40 ; 8-byte Folded Reload
	s_waitcnt vmcnt(0)
	v_lshl_add_u64 v[4:5], v[4:5], 0, s[6:7]
	scratch_store_dwordx2 off, v[4:5], off offset:40 ; 8-byte Folded Spill
	scratch_load_dwordx2 v[4:5], off, off offset:64 ; 8-byte Folded Reload
	s_waitcnt vmcnt(0)
	v_lshl_add_u64 v[4:5], v[4:5], 0, s[6:7]
	scratch_store_dwordx2 off, v[4:5], off offset:64 ; 8-byte Folded Spill
	scratch_load_dwordx2 v[4:5], off, off offset:96 ; 8-byte Folded Reload
	s_waitcnt vmcnt(0)
	v_lshl_add_u64 v[4:5], v[4:5], 0, s[6:7]
	scratch_store_dwordx2 off, v[4:5], off offset:96 ; 8-byte Folded Spill
	scratch_load_dwordx2 v[4:5], off, off offset:128 ; 8-byte Folded Reload
	s_waitcnt vmcnt(0)
	v_lshl_add_u64 v[4:5], v[4:5], 0, s[6:7]
	scratch_store_dwordx2 off, v[4:5], off offset:128 ; 8-byte Folded Spill
	scratch_load_dwordx2 v[4:5], off, off offset:144 ; 8-byte Folded Reload
	s_waitcnt vmcnt(0)
	v_lshl_add_u64 v[4:5], v[4:5], 0, s[6:7]
	scratch_store_dwordx2 off, v[4:5], off offset:144 ; 8-byte Folded Spill
	scratch_load_dwordx2 v[4:5], off, off offset:48 ; 8-byte Folded Reload
	s_waitcnt vmcnt(0)
	v_lshl_add_u64 v[4:5], v[4:5], 0, s[6:7]
	scratch_store_dwordx2 off, v[4:5], off offset:48 ; 8-byte Folded Spill
	scratch_load_dwordx2 v[4:5], off, off offset:56 ; 8-byte Folded Reload
	s_waitcnt vmcnt(0)
	v_lshl_add_u64 v[4:5], v[4:5], 0, s[6:7]
	scratch_store_dwordx2 off, v[4:5], off offset:56 ; 8-byte Folded Spill
	scratch_load_dwordx2 v[4:5], off, off offset:72 ; 8-byte Folded Reload
	s_waitcnt vmcnt(0)
	v_lshl_add_u64 v[4:5], v[4:5], 0, s[6:7]
	scratch_store_dwordx2 off, v[4:5], off offset:72 ; 8-byte Folded Spill
	scratch_load_dwordx2 v[4:5], off, off offset:80 ; 8-byte Folded Reload
	s_waitcnt vmcnt(0)
	v_lshl_add_u64 v[4:5], v[4:5], 0, s[6:7]
	scratch_store_dwordx2 off, v[4:5], off offset:80 ; 8-byte Folded Spill
	scratch_load_dwordx2 v[4:5], off, off offset:88 ; 8-byte Folded Reload
	s_waitcnt vmcnt(0)
	v_lshl_add_u64 v[4:5], v[4:5], 0, s[6:7]
	scratch_store_dwordx2 off, v[4:5], off offset:88 ; 8-byte Folded Spill
	scratch_load_dwordx2 v[4:5], off, off offset:104 ; 8-byte Folded Reload
	s_waitcnt vmcnt(0)
	v_lshl_add_u64 v[4:5], v[4:5], 0, s[6:7]
	scratch_store_dwordx2 off, v[4:5], off offset:104 ; 8-byte Folded Spill
	scratch_load_dwordx2 v[4:5], off, off offset:112 ; 8-byte Folded Reload
	s_waitcnt vmcnt(0)
	v_lshl_add_u64 v[4:5], v[4:5], 0, s[6:7]
	scratch_store_dwordx2 off, v[4:5], off offset:112 ; 8-byte Folded Spill
	scratch_load_dwordx2 v[4:5], off, off offset:120 ; 8-byte Folded Reload
	s_waitcnt vmcnt(0)
	v_lshl_add_u64 v[4:5], v[4:5], 0, s[6:7]
	scratch_store_dwordx2 off, v[4:5], off offset:120 ; 8-byte Folded Spill
	scratch_load_dwordx2 v[4:5], off, off offset:136 ; 8-byte Folded Reload
	s_waitcnt vmcnt(0)
	v_lshl_add_u64 v[4:5], v[4:5], 0, s[6:7]
	scratch_store_dwordx2 off, v[4:5], off offset:136 ; 8-byte Folded Spill
	scratch_load_dwordx2 v[4:5], off, off offset:152 ; 8-byte Folded Reload
	s_waitcnt vmcnt(0)
	v_lshl_add_u64 v[4:5], v[4:5], 0, s[6:7]
	scratch_store_dwordx2 off, v[4:5], off offset:152 ; 8-byte Folded Spill
	s_cbranch_vccnz .LBB151_132
; %bb.131:                              ;   in Loop: Header=BB151_86 Depth=1
	v_mov_b32_e32 v71, v3
	s_branch .LBB151_86
.LBB151_132:
	v_and_b32_e32 v1, 0x3ff, v73
	v_bfe_u32 v0, v73, 10, 10
	s_movk_i32 s3, 0x41
	v_mad_u32_u24 v2, v0, s3, v1
	v_lshl_add_u32 v2, v2, 2, 0
	ds_write_b32 v2, v3
	v_mov_b32_e32 v3, 0
	ds_write_b32 v2, v3 offset:4160
	v_bfe_u32 v2, v73, 6, 4
	v_add_u32_e32 v0, v2, v0
	v_cmp_gt_u32_e32 vcc, 64, v0
	s_waitcnt lgkmcnt(0)
	s_barrier
	s_and_saveexec_b64 s[4:5], vcc
	s_cbranch_execz .LBB151_152
; %bb.133:
	s_load_dwordx2 s[4:5], s[0:1], 0x30
	v_and_b32_e32 v2, 63, v1
	v_cmp_gt_u32_e32 vcc, 16, v2
	v_mul_u32_u24_e32 v4, 0x41, v2
                                        ; implicit-def: $vgpr2
	s_and_saveexec_b64 s[0:1], vcc
; %bb.134:
	v_lshlrev_b32_e32 v2, 2, v0
	v_lshlrev_b32_e32 v3, 2, v4
	v_add3_u32 v2, 0, v2, v3
	ds_read_b32 v2, v2
; %bb.135:
	s_or_b64 exec, exec, s[0:1]
	v_mbcnt_lo_u32_b32 v3, -1, 0
	v_mbcnt_hi_u32_b32 v3, -1, v3
	v_and_b32_e32 v5, 64, v3
	v_add_u32_e32 v8, 64, v5
	v_xor_b32_e32 v5, 8, v3
	v_cmp_lt_i32_e64 s[0:1], v5, v8
	v_xor_b32_e32 v7, 4, v3
	v_xor_b32_e32 v9, 2, v3
	v_cndmask_b32_e64 v5, v3, v5, s[0:1]
	v_lshlrev_b32_e32 v5, 2, v5
	s_waitcnt lgkmcnt(0)
	ds_bpermute_b32 v6, v5, v2
	v_cmp_lt_i32_e64 s[0:1], v7, v8
	v_xor_b32_e32 v10, 1, v3
	s_mov_b32 s3, 0
	s_lshl_b64 s[6:7], s[2:3], 6
	s_waitcnt lgkmcnt(0)
	v_add_f32_e32 v2, v2, v6
	v_cndmask_b32_e64 v6, v3, v7, s[0:1]
	v_lshlrev_b32_e32 v6, 2, v6
	ds_bpermute_b32 v7, v6, v2
	v_cmp_lt_i32_e64 s[0:1], v9, v8
	s_cmp_eq_u64 s[4:5], 0
	s_cselect_b64 s[8:9], -1, 0
	s_waitcnt lgkmcnt(0)
	v_add_f32_e32 v2, v2, v7
	v_cndmask_b32_e64 v7, v3, v9, s[0:1]
	v_lshlrev_b32_e32 v7, 2, v7
	ds_bpermute_b32 v9, v7, v2
	v_cmp_lt_i32_e64 s[0:1], v10, v8
	s_waitcnt lgkmcnt(0)
	v_add_f32_e32 v2, v2, v9
	v_cndmask_b32_e64 v3, v3, v10, s[0:1]
	v_lshlrev_b32_e32 v8, 2, v3
	ds_bpermute_b32 v3, v8, v2
	v_cmp_ne_u32_e64 s[0:1], 0, v1
	s_waitcnt lgkmcnt(0)
	v_add_f32_e32 v9, v2, v3
	v_or_b32_e32 v2, s6, v0
	v_mov_b32_e32 v3, s7
	v_cmp_le_i64_e64 s[2:3], s[10:11], v[2:3]
	s_or_b64 s[2:3], s[0:1], s[2:3]
	s_nor_b64 s[12:13], s[8:9], s[2:3]
	s_and_saveexec_b64 s[2:3], s[12:13]
	s_cbranch_execz .LBB151_137
; %bb.136:
	v_lshl_add_u64 v[2:3], v[2:3], 2, s[4:5]
	global_store_dword v[2:3], v9, off
.LBB151_137:
	s_or_b64 exec, exec, s[2:3]
	v_cmp_gt_u32_e64 s[2:3], 48, v0
	s_and_b64 exec, exec, s[2:3]
	s_cbranch_execz .LBB151_152
; %bb.138:
	v_mov_b32_e32 v1, 0
	s_and_saveexec_b64 s[2:3], vcc
; %bb.139:
	v_lshlrev_b32_e32 v2, 2, v0
	v_lshlrev_b32_e32 v3, 2, v4
	v_add3_u32 v2, 0, v2, v3
	ds_read_b32 v9, v2 offset:64
; %bb.140:
	s_or_b64 exec, exec, s[2:3]
	s_waitcnt lgkmcnt(0)
	ds_bpermute_b32 v2, v5, v9
	s_waitcnt lgkmcnt(0)
	v_add_f32_e32 v2, v9, v2
	ds_bpermute_b32 v3, v6, v2
	s_waitcnt lgkmcnt(0)
	v_add_f32_e32 v3, v2, v3
	ds_bpermute_b32 v9, v7, v3
	v_add_u32_e32 v2, 16, v0
	s_waitcnt lgkmcnt(0)
	v_add_f32_e32 v9, v3, v9
	ds_bpermute_b32 v10, v8, v9
	v_mov_b32_e32 v3, v1
	v_lshl_add_u64 v[2:3], s[6:7], 0, v[2:3]
	v_cmp_le_i64_e64 s[2:3], s[10:11], v[2:3]
	s_or_b64 s[2:3], s[0:1], s[2:3]
	s_waitcnt lgkmcnt(0)
	v_add_f32_e32 v2, v9, v10
	s_nor_b64 s[12:13], s[8:9], s[2:3]
	s_and_saveexec_b64 s[2:3], s[12:13]
	s_cbranch_execz .LBB151_142
; %bb.141:
	v_lshl_add_u64 v[10:11], s[6:7], 0, v[0:1]
	v_lshl_add_u64 v[10:11], v[10:11], 2, s[4:5]
	global_store_dword v[10:11], v2, off offset:64
.LBB151_142:
	s_or_b64 exec, exec, s[2:3]
	v_cmp_gt_u32_e64 s[2:3], 32, v0
	s_and_b64 exec, exec, s[2:3]
	s_cbranch_execz .LBB151_152
; %bb.143:
	s_and_saveexec_b64 s[2:3], vcc
; %bb.144:
	v_lshlrev_b32_e32 v2, 2, v0
	v_lshlrev_b32_e32 v3, 2, v4
	v_add3_u32 v2, 0, v2, v3
	ds_read_b32 v2, v2 offset:128
; %bb.145:
	s_or_b64 exec, exec, s[2:3]
	s_waitcnt lgkmcnt(0)
	ds_bpermute_b32 v3, v5, v2
	v_add_u32_e32 v9, 32, v0
	s_waitcnt lgkmcnt(0)
	v_add_f32_e32 v2, v2, v3
	ds_bpermute_b32 v3, v6, v2
	s_waitcnt lgkmcnt(0)
	v_add_f32_e32 v2, v2, v3
	ds_bpermute_b32 v3, v7, v2
	;; [unrolled: 3-line block ×3, first 2 shown]
	v_mov_b32_e32 v3, s7
	v_or_b32_e32 v2, s6, v9
	v_cmp_le_i64_e64 s[2:3], s[10:11], v[2:3]
	s_or_b64 s[2:3], s[0:1], s[2:3]
	s_waitcnt lgkmcnt(0)
	v_add_f32_e32 v2, v10, v11
	s_nor_b64 s[12:13], s[8:9], s[2:3]
	s_and_saveexec_b64 s[2:3], s[12:13]
	s_cbranch_execz .LBB151_147
; %bb.146:
	v_lshl_add_u64 v[10:11], s[6:7], 0, v[0:1]
	v_lshl_add_u64 v[10:11], v[10:11], 2, s[4:5]
	global_store_dword v[10:11], v2, off offset:128
.LBB151_147:
	s_or_b64 exec, exec, s[2:3]
	v_cmp_gt_u32_e64 s[2:3], 16, v0
	s_and_b64 exec, exec, s[2:3]
	s_cbranch_execz .LBB151_152
; %bb.148:
	s_and_saveexec_b64 s[2:3], vcc
; %bb.149:
	v_lshlrev_b32_e32 v2, 2, v0
	v_lshlrev_b32_e32 v3, 2, v4
	v_add3_u32 v2, 0, v2, v3
	ds_read_b32 v2, v2 offset:192
; %bb.150:
	s_or_b64 exec, exec, s[2:3]
	s_waitcnt lgkmcnt(0)
	ds_bpermute_b32 v3, v5, v2
	v_add_u32_e32 v4, 48, v0
	v_or_b32_e32 v4, s6, v4
	v_mov_b32_e32 v5, s7
	v_cmp_le_i64_e32 vcc, s[10:11], v[4:5]
	s_waitcnt lgkmcnt(0)
	v_add_f32_e32 v2, v2, v3
	ds_bpermute_b32 v3, v6, v2
	s_or_b64 s[0:1], s[0:1], vcc
	s_nor_b64 s[0:1], s[8:9], s[0:1]
	s_waitcnt lgkmcnt(0)
	v_add_f32_e32 v2, v2, v3
	ds_bpermute_b32 v3, v7, v2
	s_waitcnt lgkmcnt(0)
	v_add_f32_e32 v2, v2, v3
	ds_bpermute_b32 v3, v8, v2
	s_and_saveexec_b64 s[2:3], s[0:1]
	s_xor_b64 s[2:3], exec, s[2:3]
	s_cbranch_execz .LBB151_152
; %bb.151:
	v_lshl_add_u64 v[0:1], s[6:7], 0, v[0:1]
	s_waitcnt lgkmcnt(0)
	v_add_f32_e32 v2, v2, v3
	v_lshl_add_u64 v[0:1], v[0:1], 2, s[4:5]
	global_store_dword v[0:1], v2, off offset:192
.LBB151_152:
	s_endpgm
	.section	.rodata,"a",@progbits
	.p2align	6, 0x0
	.amdhsa_kernel _ZN2at6native12_GLOBAL__N_135GammaBetaBackwardCUDAKernelTemplateIffLj64ELj16ELj256ELb0ELb0ELb1EEEvllPKT_S5_PKT0_S8_PS3_S9_
		.amdhsa_group_segment_fixed_size 0
		.amdhsa_private_segment_fixed_size 176
		.amdhsa_kernarg_size 320
		.amdhsa_user_sgpr_count 2
		.amdhsa_user_sgpr_dispatch_ptr 0
		.amdhsa_user_sgpr_queue_ptr 0
		.amdhsa_user_sgpr_kernarg_segment_ptr 1
		.amdhsa_user_sgpr_dispatch_id 0
		.amdhsa_user_sgpr_kernarg_preload_length 0
		.amdhsa_user_sgpr_kernarg_preload_offset 0
		.amdhsa_user_sgpr_private_segment_size 0
		.amdhsa_uses_dynamic_stack 0
		.amdhsa_enable_private_segment 1
		.amdhsa_system_sgpr_workgroup_id_x 1
		.amdhsa_system_sgpr_workgroup_id_y 1
		.amdhsa_system_sgpr_workgroup_id_z 0
		.amdhsa_system_sgpr_workgroup_info 0
		.amdhsa_system_vgpr_workitem_id 1
		.amdhsa_next_free_vgpr 128
		.amdhsa_next_free_sgpr 66
		.amdhsa_accum_offset 128
		.amdhsa_reserve_vcc 1
		.amdhsa_float_round_mode_32 0
		.amdhsa_float_round_mode_16_64 0
		.amdhsa_float_denorm_mode_32 3
		.amdhsa_float_denorm_mode_16_64 3
		.amdhsa_dx10_clamp 1
		.amdhsa_ieee_mode 1
		.amdhsa_fp16_overflow 0
		.amdhsa_tg_split 0
		.amdhsa_exception_fp_ieee_invalid_op 0
		.amdhsa_exception_fp_denorm_src 0
		.amdhsa_exception_fp_ieee_div_zero 0
		.amdhsa_exception_fp_ieee_overflow 0
		.amdhsa_exception_fp_ieee_underflow 0
		.amdhsa_exception_fp_ieee_inexact 0
		.amdhsa_exception_int_div_zero 0
	.end_amdhsa_kernel
	.section	.text._ZN2at6native12_GLOBAL__N_135GammaBetaBackwardCUDAKernelTemplateIffLj64ELj16ELj256ELb0ELb0ELb1EEEvllPKT_S5_PKT0_S8_PS3_S9_,"axG",@progbits,_ZN2at6native12_GLOBAL__N_135GammaBetaBackwardCUDAKernelTemplateIffLj64ELj16ELj256ELb0ELb0ELb1EEEvllPKT_S5_PKT0_S8_PS3_S9_,comdat
.Lfunc_end151:
	.size	_ZN2at6native12_GLOBAL__N_135GammaBetaBackwardCUDAKernelTemplateIffLj64ELj16ELj256ELb0ELb0ELb1EEEvllPKT_S5_PKT0_S8_PS3_S9_, .Lfunc_end151-_ZN2at6native12_GLOBAL__N_135GammaBetaBackwardCUDAKernelTemplateIffLj64ELj16ELj256ELb0ELb0ELb1EEEvllPKT_S5_PKT0_S8_PS3_S9_
                                        ; -- End function
	.set _ZN2at6native12_GLOBAL__N_135GammaBetaBackwardCUDAKernelTemplateIffLj64ELj16ELj256ELb0ELb0ELb1EEEvllPKT_S5_PKT0_S8_PS3_S9_.num_vgpr, 128
	.set _ZN2at6native12_GLOBAL__N_135GammaBetaBackwardCUDAKernelTemplateIffLj64ELj16ELj256ELb0ELb0ELb1EEEvllPKT_S5_PKT0_S8_PS3_S9_.num_agpr, 0
	.set _ZN2at6native12_GLOBAL__N_135GammaBetaBackwardCUDAKernelTemplateIffLj64ELj16ELj256ELb0ELb0ELb1EEEvllPKT_S5_PKT0_S8_PS3_S9_.numbered_sgpr, 66
	.set _ZN2at6native12_GLOBAL__N_135GammaBetaBackwardCUDAKernelTemplateIffLj64ELj16ELj256ELb0ELb0ELb1EEEvllPKT_S5_PKT0_S8_PS3_S9_.num_named_barrier, 0
	.set _ZN2at6native12_GLOBAL__N_135GammaBetaBackwardCUDAKernelTemplateIffLj64ELj16ELj256ELb0ELb0ELb1EEEvllPKT_S5_PKT0_S8_PS3_S9_.private_seg_size, 176
	.set _ZN2at6native12_GLOBAL__N_135GammaBetaBackwardCUDAKernelTemplateIffLj64ELj16ELj256ELb0ELb0ELb1EEEvllPKT_S5_PKT0_S8_PS3_S9_.uses_vcc, 1
	.set _ZN2at6native12_GLOBAL__N_135GammaBetaBackwardCUDAKernelTemplateIffLj64ELj16ELj256ELb0ELb0ELb1EEEvllPKT_S5_PKT0_S8_PS3_S9_.uses_flat_scratch, 0
	.set _ZN2at6native12_GLOBAL__N_135GammaBetaBackwardCUDAKernelTemplateIffLj64ELj16ELj256ELb0ELb0ELb1EEEvllPKT_S5_PKT0_S8_PS3_S9_.has_dyn_sized_stack, 0
	.set _ZN2at6native12_GLOBAL__N_135GammaBetaBackwardCUDAKernelTemplateIffLj64ELj16ELj256ELb0ELb0ELb1EEEvllPKT_S5_PKT0_S8_PS3_S9_.has_recursion, 0
	.set _ZN2at6native12_GLOBAL__N_135GammaBetaBackwardCUDAKernelTemplateIffLj64ELj16ELj256ELb0ELb0ELb1EEEvllPKT_S5_PKT0_S8_PS3_S9_.has_indirect_call, 0
	.section	.AMDGPU.csdata,"",@progbits
; Kernel info:
; codeLenInByte = 12352
; TotalNumSgprs: 72
; NumVgprs: 128
; NumAgprs: 0
; TotalNumVgprs: 128
; ScratchSize: 176
; MemoryBound: 0
; FloatMode: 240
; IeeeMode: 1
; LDSByteSize: 0 bytes/workgroup (compile time only)
; SGPRBlocks: 8
; VGPRBlocks: 15
; NumSGPRsForWavesPerEU: 72
; NumVGPRsForWavesPerEU: 128
; AccumOffset: 128
; Occupancy: 4
; WaveLimiterHint : 0
; COMPUTE_PGM_RSRC2:SCRATCH_EN: 1
; COMPUTE_PGM_RSRC2:USER_SGPR: 2
; COMPUTE_PGM_RSRC2:TRAP_HANDLER: 0
; COMPUTE_PGM_RSRC2:TGID_X_EN: 1
; COMPUTE_PGM_RSRC2:TGID_Y_EN: 1
; COMPUTE_PGM_RSRC2:TGID_Z_EN: 0
; COMPUTE_PGM_RSRC2:TIDIG_COMP_CNT: 1
; COMPUTE_PGM_RSRC3_GFX90A:ACCUM_OFFSET: 31
; COMPUTE_PGM_RSRC3_GFX90A:TG_SPLIT: 0
	.section	.text._ZN2at6native12_GLOBAL__N_135GammaBetaBackwardCUDAKernelTemplateIffLj32ELj1ELj32ELb1ELb1ELb1EEEvllPKT_S5_PKT0_S8_PS3_S9_,"axG",@progbits,_ZN2at6native12_GLOBAL__N_135GammaBetaBackwardCUDAKernelTemplateIffLj32ELj1ELj32ELb1ELb1ELb1EEEvllPKT_S5_PKT0_S8_PS3_S9_,comdat
	.globl	_ZN2at6native12_GLOBAL__N_135GammaBetaBackwardCUDAKernelTemplateIffLj32ELj1ELj32ELb1ELb1ELb1EEEvllPKT_S5_PKT0_S8_PS3_S9_ ; -- Begin function _ZN2at6native12_GLOBAL__N_135GammaBetaBackwardCUDAKernelTemplateIffLj32ELj1ELj32ELb1ELb1ELb1EEEvllPKT_S5_PKT0_S8_PS3_S9_
	.p2align	8
	.type	_ZN2at6native12_GLOBAL__N_135GammaBetaBackwardCUDAKernelTemplateIffLj32ELj1ELj32ELb1ELb1ELb1EEEvllPKT_S5_PKT0_S8_PS3_S9_,@function
_ZN2at6native12_GLOBAL__N_135GammaBetaBackwardCUDAKernelTemplateIffLj32ELj1ELj32ELb1ELb1ELb1EEEvllPKT_S5_PKT0_S8_PS3_S9_: ; @_ZN2at6native12_GLOBAL__N_135GammaBetaBackwardCUDAKernelTemplateIffLj32ELj1ELj32ELb1ELb1ELb1EEEvllPKT_S5_PKT0_S8_PS3_S9_
; %bb.0:
	s_load_dwordx4 s[8:11], s[0:1], 0x0
	s_load_dwordx2 s[16:17], s[0:1], 0x30
	s_lshl_b32 s18, s3, 5
	s_mov_b32 s19, 0
	v_mov_b64_e32 v[2:3], s[18:19]
	s_waitcnt lgkmcnt(0)
	v_cmp_le_i64_e32 vcc, s[8:9], v[2:3]
	s_mov_b32 s6, s3
	v_mov_b32_e32 v11, 0
	v_bfe_u32 v2, v0, 10, 10
	s_cbranch_vccnz .LBB152_7
; %bb.1:
	s_load_dword s3, s[0:1], 0x4c
	s_load_dword s7, s[0:1], 0x44
	s_load_dwordx4 s[12:15], s[0:1], 0x10
	s_load_dwordx2 s[22:23], s[0:1], 0x28
	v_and_b32_e32 v1, 0x3ff, v0
	s_waitcnt lgkmcnt(0)
	s_and_b32 s3, s3, 0xffff
	v_mad_u32_u24 v3, v2, s3, v1
	v_lshlrev_b32_e32 v10, 5, v2
	v_mov_b32_e32 v11, 0
	v_lshl_or_b32 v8, s2, 5, v1
	v_mbcnt_lo_u32_b32 v1, -1, 0
	v_and_b32_e32 v4, 63, v3
	v_mov_b32_e32 v5, v11
	v_mbcnt_hi_u32_b32 v1, -1, v1
	s_lshl_b32 s20, s7, 5
	v_lshl_add_u64 v[12:13], v[10:11], 0, s[18:19]
	v_cmp_gt_u32_e64 s[4:5], 32, v4
	v_mov_b32_e32 v9, v11
	v_lshlrev_b32_e32 v1, 2, v1
	v_lshl_add_u64 v[4:5], v[12:13], 0, v[4:5]
	v_mul_lo_u32 v10, s11, v12
	v_mul_lo_u32 v14, s10, v13
	v_mad_u64_u32 v[12:13], s[24:25], s10, v12, 0
	s_mul_i32 s3, s11, s20
	s_mul_hi_u32 s7, s10, s20
	v_and_b32_e32 v1, 0x100, v1
	s_mov_b32 s21, s19
	v_add3_u32 v13, v13, v14, v10
	v_lshlrev_b64 v[8:9], 2, v[8:9]
	s_add_i32 s25, s7, s3
	s_mul_i32 s24, s10, s20
	v_or_b32_e32 v3, 0x44, v1
	v_or_b32_e32 v38, 0x48, v1
	;; [unrolled: 1-line block ×15, first 2 shown]
	v_lshl_add_u64 v[6:7], v[4:5], 2, s[22:23]
	s_lshl_b64 s[22:23], s[20:21], 2
	v_lshl_add_u64 v[8:9], v[12:13], 2, v[8:9]
	s_lshl_b64 s[24:25], s[24:25], 2
	s_lshl_b64 s[26:27], s[10:11], 2
	v_mov_b64_e32 v[12:13], s[8:9]
	s_branch .LBB152_4
.LBB152_2:                              ;   in Loop: Header=BB152_4 Depth=1
	s_or_b64 exec, exec, s[30:31]
.LBB152_3:                              ;   in Loop: Header=BB152_4 Depth=1
	s_or_b64 exec, exec, s[28:29]
	v_lshl_add_u64 v[14:15], s[12:13], 0, v[8:9]
	v_lshl_add_u64 v[16:17], s[14:15], 0, v[8:9]
	global_load_dword v90, v[14:15], off
	global_load_dword v91, v[16:17], off
	v_lshl_add_u64 v[14:15], v[14:15], 0, s[26:27]
	v_lshl_add_u64 v[16:17], v[16:17], 0, s[26:27]
	global_load_dword v87, v[14:15], off
	global_load_dword v89, v[16:17], off
	;; [unrolled: 4-line block ×30, first 2 shown]
	v_lshl_add_u64 v[92:93], v[14:15], 0, s[26:27]
	global_load_dword v14, v[92:93], off
	v_lshl_add_u64 v[94:95], v[16:17], 0, s[26:27]
	v_lshl_add_u64 v[92:93], v[92:93], 0, s[26:27]
	global_load_dword v15, v[92:93], off
	v_lshl_add_u64 v[92:93], v[94:95], 0, s[26:27]
	global_load_dword v16, v[94:95], off
	global_load_dword v17, v[92:93], off
	s_waitcnt vmcnt(62)
	ds_bpermute_b32 v96, v1, v10
	v_or_b32_e32 v92, 4, v1
	v_mul_f32_e32 v90, v90, v91
	ds_bpermute_b32 v92, v92, v10
	s_waitcnt vmcnt(60)
	v_mul_f32_e32 v87, v87, v89
	s_waitcnt lgkmcnt(1)
	v_fmac_f32_e32 v11, v90, v96
	v_or_b32_e32 v90, 8, v1
	ds_bpermute_b32 v90, v90, v10
	s_waitcnt lgkmcnt(1)
	v_fmac_f32_e32 v11, v87, v92
	v_or_b32_e32 v87, 12, v1
	s_waitcnt vmcnt(58)
	v_mul_f32_e32 v85, v85, v88
	ds_bpermute_b32 v87, v87, v10
	s_waitcnt lgkmcnt(1)
	v_fmac_f32_e32 v11, v85, v90
	v_or_b32_e32 v85, 16, v1
	ds_bpermute_b32 v85, v85, v10
	s_waitcnt vmcnt(56)
	v_mul_f32_e32 v83, v83, v86
	s_waitcnt lgkmcnt(1)
	v_fmac_f32_e32 v11, v83, v87
	v_or_b32_e32 v83, 20, v1
	s_waitcnt vmcnt(54)
	v_mul_f32_e32 v82, v82, v84
	ds_bpermute_b32 v83, v83, v10
	s_waitcnt lgkmcnt(1)
	v_fmac_f32_e32 v11, v82, v85
	v_or_b32_e32 v82, 24, v1
	ds_bpermute_b32 v82, v82, v10
	s_waitcnt vmcnt(52)
	v_mul_f32_e32 v79, v79, v81
	;; [unrolled: 12-line block ×7, first 2 shown]
	s_waitcnt lgkmcnt(1)
	v_fmac_f32_e32 v11, v54, v59
	ds_bpermute_b32 v54, v3, v10
	s_waitcnt vmcnt(30)
	v_mul_f32_e32 v53, v53, v56
	s_waitcnt lgkmcnt(1)
	v_fmac_f32_e32 v11, v53, v57
	ds_bpermute_b32 v53, v38, v10
	s_waitcnt vmcnt(28)
	v_mul_f32_e32 v52, v52, v55
	s_waitcnt lgkmcnt(1)
	v_fmac_f32_e32 v11, v52, v54
	s_waitcnt vmcnt(26)
	v_mul_f32_e32 v52, v61, v65
	ds_bpermute_b32 v54, v39, v10
	s_waitcnt lgkmcnt(1)
	v_fmac_f32_e32 v11, v52, v53
	ds_bpermute_b32 v52, v40, v10
	ds_bpermute_b32 v53, v41, v10
	s_waitcnt vmcnt(20)
	v_pk_mul_f32 v[34:35], v[34:35], v[36:37]
	ds_bpermute_b32 v36, v42, v10
	ds_bpermute_b32 v37, v43, v10
	v_mul_f32_e32 v55, v66, v69
	s_waitcnt lgkmcnt(4)
	v_fmac_f32_e32 v11, v55, v54
	s_waitcnt lgkmcnt(2)
	v_pk_mul_f32 v[34:35], v[34:35], v[52:53]
	s_waitcnt vmcnt(16)
	v_pk_mul_f32 v[24:25], v[24:25], v[28:29]
	v_add_f32_e32 v11, v11, v34
	v_add_f32_e32 v11, v11, v35
	s_waitcnt lgkmcnt(0)
	v_pk_mul_f32 v[24:25], v[24:25], v[36:37]
	ds_bpermute_b32 v28, v44, v10
	ds_bpermute_b32 v29, v45, v10
	v_add_f32_e32 v11, v11, v24
	v_add_f32_e32 v11, v11, v25
	s_waitcnt vmcnt(12)
	v_pk_mul_f32 v[24:25], v[30:31], v[32:33]
	ds_bpermute_b32 v30, v46, v10
	ds_bpermute_b32 v31, v47, v10
	s_waitcnt lgkmcnt(2)
	v_pk_mul_f32 v[24:25], v[24:25], v[28:29]
	s_waitcnt vmcnt(8)
	v_pk_mul_f32 v[18:19], v[18:19], v[20:21]
	v_add_f32_e32 v11, v11, v24
	ds_bpermute_b32 v20, v48, v10
	ds_bpermute_b32 v21, v49, v10
	v_add_f32_e32 v11, v11, v25
	s_waitcnt lgkmcnt(2)
	v_pk_mul_f32 v[18:19], v[18:19], v[30:31]
	s_add_u32 s18, s18, s20
	v_add_f32_e32 v11, v11, v18
	v_add_f32_e32 v24, v11, v19
	s_waitcnt vmcnt(4)
	v_pk_mul_f32 v[18:19], v[22:23], v[26:27]
	ds_bpermute_b32 v22, v50, v10
	ds_bpermute_b32 v23, v51, v10
	s_waitcnt lgkmcnt(2)
	v_pk_mul_f32 v[10:11], v[18:19], v[20:21]
	s_addc_u32 s19, s19, 0
	v_add_f32_e32 v10, v24, v10
	v_add_f32_e32 v18, v10, v11
	s_waitcnt vmcnt(0)
	v_pk_mul_f32 v[10:11], v[14:15], v[16:17]
	v_cmp_lt_i64_e32 vcc, s[18:19], v[12:13]
	s_waitcnt lgkmcnt(0)
	v_pk_mul_f32 v[10:11], v[10:11], v[22:23]
	v_lshl_add_u64 v[6:7], v[6:7], 0, s[22:23]
	v_add_f32_e32 v10, v18, v10
	v_add_f32_e32 v11, v10, v11
	v_lshl_add_u64 v[4:5], v[4:5], 0, s[20:21]
	v_lshl_add_u64 v[8:9], v[8:9], 0, s[24:25]
	s_cbranch_vccz .LBB152_7
.LBB152_4:                              ; =>This Inner Loop Header: Depth=1
	v_mov_b32_e32 v10, 0
	s_and_saveexec_b64 s[28:29], s[4:5]
	s_cbranch_execz .LBB152_3
; %bb.5:                                ;   in Loop: Header=BB152_4 Depth=1
	v_cmp_gt_i64_e32 vcc, s[8:9], v[4:5]
	v_mov_b32_e32 v10, 0
	s_and_saveexec_b64 s[30:31], vcc
	s_cbranch_execz .LBB152_2
; %bb.6:                                ;   in Loop: Header=BB152_4 Depth=1
	global_load_dword v10, v[6:7], off
	s_branch .LBB152_2
.LBB152_7:
	s_cmp_eq_u64 s[16:17], 0
	s_cbranch_scc1 .LBB152_9
; %bb.8:
	s_load_dword s0, s[0:1], 0x4c
	v_mov_b32_e32 v3, 0
	v_mov_b32_e32 v1, s6
	s_mov_b32 s3, 0
	v_and_b32_e32 v0, 0x3ff, v0
	s_waitcnt lgkmcnt(0)
	s_lshr_b32 s0, s0, 16
	v_mad_u64_u32 v[4:5], s[0:1], s0, v1, v[2:3]
	v_mul_lo_u32 v1, v5, s10
	v_mul_lo_u32 v2, v4, s11
	v_mad_u64_u32 v[4:5], s[0:1], v4, s10, 0
	v_add3_u32 v5, v5, v2, v1
	v_lshl_add_u64 v[4:5], v[4:5], 2, s[16:17]
	s_lshl_b64 s[0:1], s[2:3], 7
	v_lshl_add_u64 v[4:5], v[4:5], 0, s[0:1]
	v_lshlrev_b32_e32 v2, 2, v0
	v_lshl_add_u64 v[0:1], v[4:5], 0, v[2:3]
	global_store_dword v[0:1], v11, off
.LBB152_9:
	s_endpgm
	.section	.rodata,"a",@progbits
	.p2align	6, 0x0
	.amdhsa_kernel _ZN2at6native12_GLOBAL__N_135GammaBetaBackwardCUDAKernelTemplateIffLj32ELj1ELj32ELb1ELb1ELb1EEEvllPKT_S5_PKT0_S8_PS3_S9_
		.amdhsa_group_segment_fixed_size 0
		.amdhsa_private_segment_fixed_size 0
		.amdhsa_kernarg_size 320
		.amdhsa_user_sgpr_count 2
		.amdhsa_user_sgpr_dispatch_ptr 0
		.amdhsa_user_sgpr_queue_ptr 0
		.amdhsa_user_sgpr_kernarg_segment_ptr 1
		.amdhsa_user_sgpr_dispatch_id 0
		.amdhsa_user_sgpr_kernarg_preload_length 0
		.amdhsa_user_sgpr_kernarg_preload_offset 0
		.amdhsa_user_sgpr_private_segment_size 0
		.amdhsa_uses_dynamic_stack 0
		.amdhsa_enable_private_segment 0
		.amdhsa_system_sgpr_workgroup_id_x 1
		.amdhsa_system_sgpr_workgroup_id_y 1
		.amdhsa_system_sgpr_workgroup_id_z 0
		.amdhsa_system_sgpr_workgroup_info 0
		.amdhsa_system_vgpr_workitem_id 1
		.amdhsa_next_free_vgpr 97
		.amdhsa_next_free_sgpr 32
		.amdhsa_accum_offset 100
		.amdhsa_reserve_vcc 1
		.amdhsa_float_round_mode_32 0
		.amdhsa_float_round_mode_16_64 0
		.amdhsa_float_denorm_mode_32 3
		.amdhsa_float_denorm_mode_16_64 3
		.amdhsa_dx10_clamp 1
		.amdhsa_ieee_mode 1
		.amdhsa_fp16_overflow 0
		.amdhsa_tg_split 0
		.amdhsa_exception_fp_ieee_invalid_op 0
		.amdhsa_exception_fp_denorm_src 0
		.amdhsa_exception_fp_ieee_div_zero 0
		.amdhsa_exception_fp_ieee_overflow 0
		.amdhsa_exception_fp_ieee_underflow 0
		.amdhsa_exception_fp_ieee_inexact 0
		.amdhsa_exception_int_div_zero 0
	.end_amdhsa_kernel
	.section	.text._ZN2at6native12_GLOBAL__N_135GammaBetaBackwardCUDAKernelTemplateIffLj32ELj1ELj32ELb1ELb1ELb1EEEvllPKT_S5_PKT0_S8_PS3_S9_,"axG",@progbits,_ZN2at6native12_GLOBAL__N_135GammaBetaBackwardCUDAKernelTemplateIffLj32ELj1ELj32ELb1ELb1ELb1EEEvllPKT_S5_PKT0_S8_PS3_S9_,comdat
.Lfunc_end152:
	.size	_ZN2at6native12_GLOBAL__N_135GammaBetaBackwardCUDAKernelTemplateIffLj32ELj1ELj32ELb1ELb1ELb1EEEvllPKT_S5_PKT0_S8_PS3_S9_, .Lfunc_end152-_ZN2at6native12_GLOBAL__N_135GammaBetaBackwardCUDAKernelTemplateIffLj32ELj1ELj32ELb1ELb1ELb1EEEvllPKT_S5_PKT0_S8_PS3_S9_
                                        ; -- End function
	.set _ZN2at6native12_GLOBAL__N_135GammaBetaBackwardCUDAKernelTemplateIffLj32ELj1ELj32ELb1ELb1ELb1EEEvllPKT_S5_PKT0_S8_PS3_S9_.num_vgpr, 97
	.set _ZN2at6native12_GLOBAL__N_135GammaBetaBackwardCUDAKernelTemplateIffLj32ELj1ELj32ELb1ELb1ELb1EEEvllPKT_S5_PKT0_S8_PS3_S9_.num_agpr, 0
	.set _ZN2at6native12_GLOBAL__N_135GammaBetaBackwardCUDAKernelTemplateIffLj32ELj1ELj32ELb1ELb1ELb1EEEvllPKT_S5_PKT0_S8_PS3_S9_.numbered_sgpr, 32
	.set _ZN2at6native12_GLOBAL__N_135GammaBetaBackwardCUDAKernelTemplateIffLj32ELj1ELj32ELb1ELb1ELb1EEEvllPKT_S5_PKT0_S8_PS3_S9_.num_named_barrier, 0
	.set _ZN2at6native12_GLOBAL__N_135GammaBetaBackwardCUDAKernelTemplateIffLj32ELj1ELj32ELb1ELb1ELb1EEEvllPKT_S5_PKT0_S8_PS3_S9_.private_seg_size, 0
	.set _ZN2at6native12_GLOBAL__N_135GammaBetaBackwardCUDAKernelTemplateIffLj32ELj1ELj32ELb1ELb1ELb1EEEvllPKT_S5_PKT0_S8_PS3_S9_.uses_vcc, 1
	.set _ZN2at6native12_GLOBAL__N_135GammaBetaBackwardCUDAKernelTemplateIffLj32ELj1ELj32ELb1ELb1ELb1EEEvllPKT_S5_PKT0_S8_PS3_S9_.uses_flat_scratch, 0
	.set _ZN2at6native12_GLOBAL__N_135GammaBetaBackwardCUDAKernelTemplateIffLj32ELj1ELj32ELb1ELb1ELb1EEEvllPKT_S5_PKT0_S8_PS3_S9_.has_dyn_sized_stack, 0
	.set _ZN2at6native12_GLOBAL__N_135GammaBetaBackwardCUDAKernelTemplateIffLj32ELj1ELj32ELb1ELb1ELb1EEEvllPKT_S5_PKT0_S8_PS3_S9_.has_recursion, 0
	.set _ZN2at6native12_GLOBAL__N_135GammaBetaBackwardCUDAKernelTemplateIffLj32ELj1ELj32ELb1ELb1ELb1EEEvllPKT_S5_PKT0_S8_PS3_S9_.has_indirect_call, 0
	.section	.AMDGPU.csdata,"",@progbits
; Kernel info:
; codeLenInByte = 2484
; TotalNumSgprs: 38
; NumVgprs: 97
; NumAgprs: 0
; TotalNumVgprs: 97
; ScratchSize: 0
; MemoryBound: 0
; FloatMode: 240
; IeeeMode: 1
; LDSByteSize: 0 bytes/workgroup (compile time only)
; SGPRBlocks: 4
; VGPRBlocks: 12
; NumSGPRsForWavesPerEU: 38
; NumVGPRsForWavesPerEU: 97
; AccumOffset: 100
; Occupancy: 4
; WaveLimiterHint : 0
; COMPUTE_PGM_RSRC2:SCRATCH_EN: 0
; COMPUTE_PGM_RSRC2:USER_SGPR: 2
; COMPUTE_PGM_RSRC2:TRAP_HANDLER: 0
; COMPUTE_PGM_RSRC2:TGID_X_EN: 1
; COMPUTE_PGM_RSRC2:TGID_Y_EN: 1
; COMPUTE_PGM_RSRC2:TGID_Z_EN: 0
; COMPUTE_PGM_RSRC2:TIDIG_COMP_CNT: 1
; COMPUTE_PGM_RSRC3_GFX90A:ACCUM_OFFSET: 24
; COMPUTE_PGM_RSRC3_GFX90A:TG_SPLIT: 0
	.section	.text._ZN2at6native12_GLOBAL__N_135GammaBetaBackwardCUDAKernelTemplateIffLj32ELj1ELj32ELb1ELb0ELb1EEEvllPKT_S5_PKT0_S8_PS3_S9_,"axG",@progbits,_ZN2at6native12_GLOBAL__N_135GammaBetaBackwardCUDAKernelTemplateIffLj32ELj1ELj32ELb1ELb0ELb1EEEvllPKT_S5_PKT0_S8_PS3_S9_,comdat
	.globl	_ZN2at6native12_GLOBAL__N_135GammaBetaBackwardCUDAKernelTemplateIffLj32ELj1ELj32ELb1ELb0ELb1EEEvllPKT_S5_PKT0_S8_PS3_S9_ ; -- Begin function _ZN2at6native12_GLOBAL__N_135GammaBetaBackwardCUDAKernelTemplateIffLj32ELj1ELj32ELb1ELb0ELb1EEEvllPKT_S5_PKT0_S8_PS3_S9_
	.p2align	8
	.type	_ZN2at6native12_GLOBAL__N_135GammaBetaBackwardCUDAKernelTemplateIffLj32ELj1ELj32ELb1ELb0ELb1EEEvllPKT_S5_PKT0_S8_PS3_S9_,@function
_ZN2at6native12_GLOBAL__N_135GammaBetaBackwardCUDAKernelTemplateIffLj32ELj1ELj32ELb1ELb0ELb1EEEvllPKT_S5_PKT0_S8_PS3_S9_: ; @_ZN2at6native12_GLOBAL__N_135GammaBetaBackwardCUDAKernelTemplateIffLj32ELj1ELj32ELb1ELb0ELb1EEEvllPKT_S5_PKT0_S8_PS3_S9_
; %bb.0:
	s_load_dwordx8 s[12:19], s[0:1], 0x0
	s_load_dwordx2 s[10:11], s[0:1], 0x28
	s_mov_b32 s8, s3
	s_lshl_b32 s3, s2, 5
	s_mov_b32 s21, 0
	s_lshl_b32 s20, s8, 5
	v_mov_b32_e32 v206, v0
	s_or_b32 s4, s3, 31
	v_mov_b64_e32 v[0:1], s[20:21]
	v_mov_b32_e32 v2, s4
	v_mov_b32_e32 v3, 0
	s_waitcnt lgkmcnt(0)
	v_cmp_gt_i64_e64 s[4:5], s[12:13], v[0:1]
	v_cmp_le_i64_e32 vcc, s[14:15], v[2:3]
	s_nop 0
	v_cndmask_b32_e64 v0, 0, 1, s[4:5]
	v_cmp_ne_u32_e64 s[4:5], 1, v0
	s_cbranch_vccz .LBB153_145
; %bb.1:
	s_and_b64 vcc, exec, s[4:5]
	s_cbranch_vccnz .LBB153_146
; %bb.2:
	v_mov_b32_e32 v2, 0
	v_bfe_u32 v181, v206, 10, 10
	v_and_b32_e32 v180, 0x3ff, v206
	v_lshlrev_b32_e32 v36, 5, v181
	v_mov_b32_e32 v37, v2
	v_add_u32_e32 v0, s3, v180
	v_mov_b32_e32 v1, v2
	v_lshl_add_u64 v[4:5], v[36:37], 0, s[20:21]
	v_cmp_gt_i64_e64 s[6:7], s[14:15], v[0:1]
	v_lshlrev_b64 v[38:39], 2, v[0:1]
	v_mul_lo_u32 v3, s15, v4
	v_mul_lo_u32 v8, s14, v5
	v_mad_u64_u32 v[0:1], s[26:27], s14, v4, 0
	v_add3_u32 v1, v1, v8, v3
	v_lshlrev_b64 v[0:1], 2, v[0:1]
	v_lshl_add_u64 v[40:41], s[16:17], 0, v[0:1]
	v_lshl_add_u64 v[42:43], s[18:19], 0, v[0:1]
	v_lshl_add_u64 v[0:1], v[4:5], 0, 31
	v_mul_lo_u32 v6, s15, v0
	v_mul_lo_u32 v7, s14, v1
	v_mad_u64_u32 v[0:1], s[30:31], s14, v0, 0
	v_add3_u32 v1, v1, v7, v6
	v_lshlrev_b64 v[0:1], 2, v[0:1]
	v_lshl_add_u64 v[44:45], s[16:17], 0, v[0:1]
	v_lshl_add_u64 v[46:47], s[18:19], 0, v[0:1]
	v_lshl_add_u64 v[0:1], v[4:5], 0, 30
	;; [unrolled: 8-line block ×30, first 2 shown]
	s_load_dword s9, s[0:1], 0x44
	v_mul_lo_u32 v5, s15, v6
	v_mul_lo_u32 v9, s14, v7
	v_mad_u64_u32 v[6:7], s[30:31], s14, v6, 0
	v_add3_u32 v7, v7, v9, v5
	v_lshlrev_b64 v[6:7], 2, v[6:7]
	v_lshl_add_u64 v[158:159], s[16:17], 0, v[6:7]
	v_lshl_add_u64 v[160:161], s[18:19], 0, v[6:7]
	v_mov_b64_e32 v[6:7], s[14:15]
	s_add_u32 s24, s0, 64
	v_mad_u64_u32 v[4:5], s[30:31], s14, v4, v[6:7]
	s_addc_u32 s25, s1, 0
	s_waitcnt lgkmcnt(0)
	s_lshl_b32 s22, s9, 5
	v_add3_u32 v5, v3, v5, v8
	v_mbcnt_lo_u32_b32 v3, -1, 0
	s_mul_i32 s9, s15, s22
	s_mul_hi_u32 s26, s14, s22
	v_mbcnt_hi_u32_b32 v3, -1, v3
	s_add_i32 s27, s26, s9
	s_mul_i32 s26, s14, s22
	v_lshlrev_b64 v[4:5], 2, v[4:5]
	v_lshlrev_b32_e32 v3, 2, v3
	s_mov_b32 s23, 0
	s_lshl_b64 s[26:27], s[26:27], 2
	s_mov_b64 s[28:29], 31
	v_lshl_add_u64 v[162:163], s[16:17], 0, v[4:5]
	v_lshl_add_u64 v[164:165], s[18:19], 0, v[4:5]
	v_and_b32_e32 v182, 0x100, v3
	s_mov_b64 s[30:31], s[20:21]
	v_mov_b32_e32 v183, 0
.LBB153_3:                              ; =>This Inner Loop Header: Depth=1
	s_add_u32 s34, s20, s28
	s_addc_u32 s35, 0, s29
	v_mov_b64_e32 v[4:5], s[12:13]
	v_cmp_ge_i64_e32 vcc, s[34:35], v[4:5]
	v_lshl_add_u64 v[166:167], s[20:21], 0, v[36:37]
	s_mov_b64 s[34:35], -1
	s_and_b64 vcc, exec, vcc
                                        ; implicit-def: $vgpr4_vgpr5_vgpr6_vgpr7_vgpr8_vgpr9_vgpr10_vgpr11_vgpr12_vgpr13_vgpr14_vgpr15_vgpr16_vgpr17_vgpr18_vgpr19_vgpr20_vgpr21_vgpr22_vgpr23_vgpr24_vgpr25_vgpr26_vgpr27_vgpr28_vgpr29_vgpr30_vgpr31_vgpr32_vgpr33_vgpr34_vgpr35
                                        ; implicit-def: $vgpr3
                                        ; implicit-def: $vgpr201
                                        ; implicit-def: $vgpr4
	s_cbranch_vccz .LBB153_73
; %bb.4:                                ;   in Loop: Header=BB153_3 Depth=1
	s_load_dword s9, s[24:25], 0xc
	v_mov_b32_e32 v185, 0
	v_mov_b32_e32 v184, 0
	s_waitcnt lgkmcnt(0)
	s_and_b32 s9, s9, 0xffff
	v_mad_u32_u24 v3, v181, s9, v180
	v_and_b32_e32 v4, 63, v3
	v_cmp_gt_u32_e32 vcc, 32, v4
	s_and_saveexec_b64 s[34:35], vcc
	s_cbranch_execz .LBB153_8
; %bb.5:                                ;   in Loop: Header=BB153_3 Depth=1
	v_mov_b32_e32 v5, v2
	v_lshl_add_u64 v[4:5], v[166:167], 0, v[4:5]
	v_cmp_gt_i64_e32 vcc, s[12:13], v[4:5]
	v_mov_b32_e32 v184, 0
	s_and_saveexec_b64 s[36:37], vcc
	s_cbranch_execz .LBB153_7
; %bb.6:                                ;   in Loop: Header=BB153_3 Depth=1
	v_lshl_add_u64 v[4:5], v[4:5], 2, s[10:11]
	global_load_dword v184, v[4:5], off
.LBB153_7:                              ;   in Loop: Header=BB153_3 Depth=1
	s_or_b64 exec, exec, s[36:37]
.LBB153_8:                              ;   in Loop: Header=BB153_3 Depth=1
	s_or_b64 exec, exec, s[34:35]
	v_mov_b32_e32 v4, v2
	v_mov_b32_e32 v5, v2
	;; [unrolled: 1-line block ×30, first 2 shown]
	v_cmp_gt_i64_e32 vcc, s[12:13], v[166:167]
	v_mov_b32_e32 v3, v2
	v_mov_b64_e32 v[34:35], v[32:33]
	s_and_b64 s[36:37], s[6:7], vcc
	v_mov_b64_e32 v[32:33], v[30:31]
	v_mov_b64_e32 v[30:31], v[28:29]
	;; [unrolled: 1-line block ×15, first 2 shown]
	s_and_saveexec_b64 s[34:35], s[36:37]
	s_cbranch_execz .LBB153_10
; %bb.9:                                ;   in Loop: Header=BB153_3 Depth=1
	v_lshl_add_u64 v[4:5], v[40:41], 0, v[38:39]
	v_lshl_add_u64 v[6:7], v[42:43], 0, v[38:39]
	global_load_dword v4, v[4:5], off
	v_mov_b32_e32 v5, v2
	global_load_dword v185, v[6:7], off
	v_mov_b32_e32 v6, v2
	v_mov_b32_e32 v7, v2
	;; [unrolled: 1-line block ×30, first 2 shown]
.LBB153_10:                             ;   in Loop: Header=BB153_3 Depth=1
	s_or_b64 exec, exec, s[34:35]
	v_lshl_add_u64 v[168:169], v[166:167], 0, 1
	v_cmp_gt_i64_e32 vcc, s[12:13], v[168:169]
	s_and_b64 s[36:37], s[6:7], vcc
	v_mov_b32_e32 v3, 0
	v_mov_b32_e32 v186, 0
	s_and_saveexec_b64 s[34:35], s[36:37]
	s_cbranch_execz .LBB153_12
; %bb.11:                               ;   in Loop: Header=BB153_3 Depth=1
	v_lshl_add_u64 v[168:169], v[162:163], 0, v[38:39]
	global_load_dword v5, v[168:169], off
	v_lshl_add_u64 v[168:169], v[164:165], 0, v[38:39]
	global_load_dword v186, v[168:169], off
.LBB153_12:                             ;   in Loop: Header=BB153_3 Depth=1
	s_or_b64 exec, exec, s[34:35]
	v_lshl_add_u64 v[168:169], v[166:167], 0, 2
	v_cmp_gt_i64_e32 vcc, s[12:13], v[168:169]
	s_and_b64 s[36:37], s[6:7], vcc
	s_and_saveexec_b64 s[34:35], s[36:37]
	s_cbranch_execz .LBB153_14
; %bb.13:                               ;   in Loop: Header=BB153_3 Depth=1
	v_lshl_add_u64 v[168:169], v[158:159], 0, v[38:39]
	global_load_dword v6, v[168:169], off
	v_lshl_add_u64 v[168:169], v[160:161], 0, v[38:39]
	global_load_dword v3, v[168:169], off
.LBB153_14:                             ;   in Loop: Header=BB153_3 Depth=1
	s_or_b64 exec, exec, s[34:35]
	v_lshl_add_u64 v[168:169], v[166:167], 0, 3
	v_cmp_gt_i64_e32 vcc, s[12:13], v[168:169]
	s_and_b64 s[36:37], s[6:7], vcc
	v_mov_b32_e32 v187, 0
	v_mov_b32_e32 v188, 0
	s_and_saveexec_b64 s[34:35], s[36:37]
	s_cbranch_execz .LBB153_16
; %bb.15:                               ;   in Loop: Header=BB153_3 Depth=1
	v_lshl_add_u64 v[168:169], v[154:155], 0, v[38:39]
	global_load_dword v7, v[168:169], off
	v_lshl_add_u64 v[168:169], v[156:157], 0, v[38:39]
	global_load_dword v188, v[168:169], off
.LBB153_16:                             ;   in Loop: Header=BB153_3 Depth=1
	s_or_b64 exec, exec, s[34:35]
	v_lshl_add_u64 v[168:169], v[166:167], 0, 4
	v_cmp_gt_i64_e32 vcc, s[12:13], v[168:169]
	s_and_b64 s[36:37], s[6:7], vcc
	s_and_saveexec_b64 s[34:35], s[36:37]
	s_cbranch_execz .LBB153_18
; %bb.17:                               ;   in Loop: Header=BB153_3 Depth=1
	v_lshl_add_u64 v[168:169], v[150:151], 0, v[38:39]
	global_load_dword v8, v[168:169], off
	v_lshl_add_u64 v[168:169], v[152:153], 0, v[38:39]
	global_load_dword v187, v[168:169], off
.LBB153_18:                             ;   in Loop: Header=BB153_3 Depth=1
	;; [unrolled: 26-line block ×15, first 2 shown]
	s_or_b64 exec, exec, s[34:35]
	v_lshl_add_u64 v[204:205], v[166:167], 0, 31
	v_cmp_gt_i64_e32 vcc, s[12:13], v[204:205]
	s_and_b64 s[36:37], s[6:7], vcc
	v_mov_b32_e32 v201, 0
	s_and_saveexec_b64 s[34:35], s[36:37]
	s_cbranch_execz .LBB153_72
; %bb.71:                               ;   in Loop: Header=BB153_3 Depth=1
	v_lshl_add_u64 v[204:205], v[44:45], 0, v[38:39]
	global_load_dword v35, v[204:205], off
	v_lshl_add_u64 v[204:205], v[46:47], 0, v[38:39]
	global_load_dword v201, v[204:205], off
.LBB153_72:                             ;   in Loop: Header=BB153_3 Depth=1
	s_or_b64 exec, exec, s[34:35]
	s_waitcnt vmcnt(0)
	ds_bpermute_b32 v204, v182, v184
	ds_bpermute_b32 v205, v182, v184 offset:4
	v_mul_f32_e32 v4, v185, v4
	ds_bpermute_b32 v185, v182, v184 offset:8
	v_mul_f32_e32 v5, v186, v5
	s_waitcnt lgkmcnt(2)
	v_fma_f32 v186, v4, v204, v183
	ds_bpermute_b32 v4, v182, v184 offset:12
	s_waitcnt lgkmcnt(2)
	v_fmac_f32_e32 v186, v5, v205
	v_mul_f32_e32 v3, v3, v6
	s_waitcnt lgkmcnt(1)
	v_fmac_f32_e32 v186, v3, v185
	ds_bpermute_b32 v3, v182, v184 offset:16
	v_mul_f32_e32 v5, v188, v7
	s_waitcnt lgkmcnt(1)
	v_fmac_f32_e32 v186, v5, v4
	ds_bpermute_b32 v4, v182, v184 offset:20
	;; [unrolled: 4-line block ×14, first 2 shown]
	v_mul_f32_e32 v5, v199, v20
	ds_bpermute_b32 v6, v182, v184 offset:72
	s_waitcnt lgkmcnt(2)
	v_fmac_f32_e32 v186, v5, v3
	v_mul_f32_e32 v3, v203, v21
	s_waitcnt lgkmcnt(1)
	v_fmac_f32_e32 v186, v3, v4
	ds_bpermute_b32 v4, v182, v184 offset:76
	ds_bpermute_b32 v5, v182, v184 offset:80
	v_mul_f32_e32 v3, v202, v22
	s_waitcnt lgkmcnt(2)
	v_fmac_f32_e32 v186, v3, v6
	v_mov_b32_e32 v6, v23
	v_mov_b32_e32 v7, v24
	v_pk_mul_f32 v[6:7], v[168:169], v[6:7]
	s_mov_b64 s[34:35], 0
	s_waitcnt lgkmcnt(0)
	v_pk_mul_f32 v[4:5], v[6:7], v[4:5]
	ds_bpermute_b32 v6, v182, v184 offset:84
	ds_bpermute_b32 v7, v182, v184 offset:88
	v_add_f32_e32 v3, v186, v4
	v_add_f32_e32 v3, v3, v5
	v_mov_b32_e32 v4, v25
	v_mov_b32_e32 v5, v26
	v_pk_mul_f32 v[4:5], v[170:171], v[4:5]
	s_waitcnt lgkmcnt(0)
	v_pk_mul_f32 v[4:5], v[4:5], v[6:7]
	ds_bpermute_b32 v6, v182, v184 offset:92
	ds_bpermute_b32 v7, v182, v184 offset:96
	v_add_f32_e32 v3, v3, v4
	v_add_f32_e32 v3, v3, v5
	v_mov_b32_e32 v4, v27
	v_mov_b32_e32 v5, v28
	v_pk_mul_f32 v[4:5], v[172:173], v[4:5]
	;; [unrolled: 9-line block ×5, first 2 shown]
	ds_bpermute_b32 v4, v182, v184 offset:124
	s_waitcnt lgkmcnt(1)
	v_pk_mul_f32 v[6:7], v[8:9], v[6:7]
	s_nop 0
	v_add_f32_e32 v3, v3, v6
	v_add_f32_e32 v3, v3, v7
.LBB153_73:                             ;   in Loop: Header=BB153_3 Depth=1
	s_and_b64 vcc, exec, s[34:35]
	s_cbranch_vccz .LBB153_141
; %bb.74:                               ;   in Loop: Header=BB153_3 Depth=1
	s_load_dword s9, s[24:25], 0x0
	v_mov_b32_e32 v179, 0
	v_mov_b32_e32 v178, 0
	s_waitcnt lgkmcnt(0)
	s_cmp_lt_u32 s2, s9
	s_cselect_b32 s9, 12, 18
	s_add_u32 s34, s24, s9
	s_addc_u32 s35, s25, 0
	global_load_ushort v3, v2, s[34:35]
	s_waitcnt vmcnt(0)
	v_mad_u32_u24 v3, v181, v3, v180
	v_and_b32_e32 v4, 63, v3
	v_cmp_gt_u32_e32 vcc, 32, v4
	s_and_saveexec_b64 s[34:35], vcc
	s_cbranch_execz .LBB153_78
; %bb.75:                               ;   in Loop: Header=BB153_3 Depth=1
	v_mov_b32_e32 v5, v2
	v_lshl_add_u64 v[4:5], v[166:167], 0, v[4:5]
	v_cmp_gt_i64_e32 vcc, s[12:13], v[4:5]
	v_mov_b32_e32 v178, 0
	s_and_saveexec_b64 s[36:37], vcc
	s_cbranch_execz .LBB153_77
; %bb.76:                               ;   in Loop: Header=BB153_3 Depth=1
	v_lshl_add_u64 v[4:5], v[4:5], 2, s[10:11]
	global_load_dword v178, v[4:5], off
.LBB153_77:                             ;   in Loop: Header=BB153_3 Depth=1
	s_or_b64 exec, exec, s[36:37]
.LBB153_78:                             ;   in Loop: Header=BB153_3 Depth=1
	s_or_b64 exec, exec, s[34:35]
	v_mov_b32_e32 v4, v2
	v_mov_b32_e32 v5, v2
	;; [unrolled: 1-line block ×31, first 2 shown]
	v_mov_b64_e32 v[34:35], v[32:33]
	v_mov_b64_e32 v[32:33], v[30:31]
	;; [unrolled: 1-line block ×16, first 2 shown]
	s_and_saveexec_b64 s[34:35], s[6:7]
	s_cbranch_execz .LBB153_80
; %bb.79:                               ;   in Loop: Header=BB153_3 Depth=1
	v_lshl_add_u64 v[4:5], v[40:41], 0, v[38:39]
	v_lshl_add_u64 v[6:7], v[42:43], 0, v[38:39]
	global_load_dword v4, v[4:5], off
	v_mov_b32_e32 v5, v2
	global_load_dword v179, v[6:7], off
	v_mov_b32_e32 v6, v2
	v_mov_b32_e32 v7, v2
	;; [unrolled: 1-line block ×30, first 2 shown]
.LBB153_80:                             ;   in Loop: Header=BB153_3 Depth=1
	s_or_b64 exec, exec, s[34:35]
	v_mov_b32_e32 v3, 0
	v_mov_b32_e32 v184, 0
	s_and_saveexec_b64 s[34:35], s[6:7]
	s_cbranch_execz .LBB153_82
; %bb.81:                               ;   in Loop: Header=BB153_3 Depth=1
	v_lshl_add_u64 v[166:167], v[162:163], 0, v[38:39]
	global_load_dword v5, v[166:167], off
	v_lshl_add_u64 v[166:167], v[164:165], 0, v[38:39]
	global_load_dword v184, v[166:167], off
.LBB153_82:                             ;   in Loop: Header=BB153_3 Depth=1
	s_or_b64 exec, exec, s[34:35]
	s_and_saveexec_b64 s[34:35], s[6:7]
	s_cbranch_execz .LBB153_84
; %bb.83:                               ;   in Loop: Header=BB153_3 Depth=1
	v_lshl_add_u64 v[166:167], v[158:159], 0, v[38:39]
	global_load_dword v6, v[166:167], off
	v_lshl_add_u64 v[166:167], v[160:161], 0, v[38:39]
	global_load_dword v3, v[166:167], off
.LBB153_84:                             ;   in Loop: Header=BB153_3 Depth=1
	s_or_b64 exec, exec, s[34:35]
	v_mov_b32_e32 v185, 0
	v_mov_b32_e32 v186, 0
	s_and_saveexec_b64 s[34:35], s[6:7]
	s_cbranch_execz .LBB153_86
; %bb.85:                               ;   in Loop: Header=BB153_3 Depth=1
	v_lshl_add_u64 v[166:167], v[154:155], 0, v[38:39]
	global_load_dword v7, v[166:167], off
	v_lshl_add_u64 v[166:167], v[156:157], 0, v[38:39]
	global_load_dword v186, v[166:167], off
.LBB153_86:                             ;   in Loop: Header=BB153_3 Depth=1
	s_or_b64 exec, exec, s[34:35]
	s_and_saveexec_b64 s[34:35], s[6:7]
	s_cbranch_execz .LBB153_88
; %bb.87:                               ;   in Loop: Header=BB153_3 Depth=1
	v_lshl_add_u64 v[166:167], v[150:151], 0, v[38:39]
	global_load_dword v8, v[166:167], off
	v_lshl_add_u64 v[166:167], v[152:153], 0, v[38:39]
	global_load_dword v185, v[166:167], off
.LBB153_88:                             ;   in Loop: Header=BB153_3 Depth=1
	;; [unrolled: 20-line block ×4, first 2 shown]
	s_or_b64 exec, exec, s[34:35]
	v_mov_b32_e32 v191, 0
	v_mov_b32_e32 v192, 0
	s_and_saveexec_b64 s[34:35], s[6:7]
	s_cbranch_execz .LBB153_98
; %bb.97:                               ;   in Loop: Header=BB153_3 Depth=1
	v_lshl_add_u64 v[166:167], v[130:131], 0, v[38:39]
	global_load_dword v13, v[166:167], off
	v_lshl_add_u64 v[166:167], v[132:133], 0, v[38:39]
	global_load_dword v192, v[166:167], off
.LBB153_98:                             ;   in Loop: Header=BB153_3 Depth=1
	s_or_b64 exec, exec, s[34:35]
	s_and_saveexec_b64 s[34:35], s[6:7]
	s_cbranch_execz .LBB153_100
; %bb.99:                               ;   in Loop: Header=BB153_3 Depth=1
	v_lshl_add_u64 v[166:167], v[126:127], 0, v[38:39]
	global_load_dword v14, v[166:167], off
	v_lshl_add_u64 v[166:167], v[128:129], 0, v[38:39]
	global_load_dword v191, v[166:167], off
.LBB153_100:                            ;   in Loop: Header=BB153_3 Depth=1
	s_or_b64 exec, exec, s[34:35]
	v_mov_b32_e32 v193, 0
	v_mov_b32_e32 v194, 0
	s_and_saveexec_b64 s[34:35], s[6:7]
	s_cbranch_execz .LBB153_102
; %bb.101:                              ;   in Loop: Header=BB153_3 Depth=1
	v_lshl_add_u64 v[166:167], v[122:123], 0, v[38:39]
	global_load_dword v15, v[166:167], off
	v_lshl_add_u64 v[166:167], v[124:125], 0, v[38:39]
	global_load_dword v194, v[166:167], off
.LBB153_102:                            ;   in Loop: Header=BB153_3 Depth=1
	s_or_b64 exec, exec, s[34:35]
	s_and_saveexec_b64 s[34:35], s[6:7]
	s_cbranch_execz .LBB153_104
; %bb.103:                              ;   in Loop: Header=BB153_3 Depth=1
	v_lshl_add_u64 v[166:167], v[118:119], 0, v[38:39]
	global_load_dword v16, v[166:167], off
	v_lshl_add_u64 v[166:167], v[120:121], 0, v[38:39]
	global_load_dword v193, v[166:167], off
.LBB153_104:                            ;   in Loop: Header=BB153_3 Depth=1
	s_or_b64 exec, exec, s[34:35]
	v_mov_b32_e32 v195, 0
	v_mov_b32_e32 v196, 0
	s_and_saveexec_b64 s[34:35], s[6:7]
	s_cbranch_execz .LBB153_106
; %bb.105:                              ;   in Loop: Header=BB153_3 Depth=1
	v_lshl_add_u64 v[166:167], v[114:115], 0, v[38:39]
	global_load_dword v17, v[166:167], off
	v_lshl_add_u64 v[166:167], v[116:117], 0, v[38:39]
	global_load_dword v196, v[166:167], off
.LBB153_106:                            ;   in Loop: Header=BB153_3 Depth=1
	s_or_b64 exec, exec, s[34:35]
	s_and_saveexec_b64 s[34:35], s[6:7]
	s_cbranch_execz .LBB153_108
; %bb.107:                              ;   in Loop: Header=BB153_3 Depth=1
	v_lshl_add_u64 v[166:167], v[110:111], 0, v[38:39]
	global_load_dword v18, v[166:167], off
	v_lshl_add_u64 v[166:167], v[112:113], 0, v[38:39]
	global_load_dword v195, v[166:167], off
.LBB153_108:                            ;   in Loop: Header=BB153_3 Depth=1
	;; [unrolled: 20-line block ×9, first 2 shown]
	s_or_b64 exec, exec, s[34:35]
	v_mov_b32_e32 v177, 0
	v_mov_b32_e32 v176, 0
	s_and_saveexec_b64 s[34:35], s[6:7]
	s_cbranch_execnz .LBB153_143
; %bb.137:                              ;   in Loop: Header=BB153_3 Depth=1
	s_or_b64 exec, exec, s[34:35]
	s_and_saveexec_b64 s[34:35], s[6:7]
	s_cbranch_execnz .LBB153_144
.LBB153_138:                            ;   in Loop: Header=BB153_3 Depth=1
	s_or_b64 exec, exec, s[34:35]
	v_mov_b32_e32 v201, 0
	s_and_saveexec_b64 s[34:35], s[6:7]
	s_cbranch_execz .LBB153_140
.LBB153_139:                            ;   in Loop: Header=BB153_3 Depth=1
	v_lshl_add_u64 v[202:203], v[44:45], 0, v[38:39]
	global_load_dword v35, v[202:203], off
	v_lshl_add_u64 v[202:203], v[46:47], 0, v[38:39]
	global_load_dword v201, v[202:203], off
.LBB153_140:                            ;   in Loop: Header=BB153_3 Depth=1
	s_or_b64 exec, exec, s[34:35]
	s_waitcnt vmcnt(0)
	ds_bpermute_b32 v202, v182, v178
	ds_bpermute_b32 v203, v182, v178 offset:4
	v_mul_f32_e32 v4, v179, v4
	ds_bpermute_b32 v179, v182, v178 offset:8
	v_mul_f32_e32 v5, v184, v5
	s_waitcnt lgkmcnt(2)
	v_fmac_f32_e32 v183, v4, v202
	ds_bpermute_b32 v4, v182, v178 offset:12
	s_waitcnt lgkmcnt(2)
	v_fmac_f32_e32 v183, v5, v203
	v_mul_f32_e32 v3, v3, v6
	s_waitcnt lgkmcnt(1)
	v_fmac_f32_e32 v183, v3, v179
	ds_bpermute_b32 v3, v182, v178 offset:16
	v_mul_f32_e32 v5, v186, v7
	s_waitcnt lgkmcnt(1)
	v_fmac_f32_e32 v183, v5, v4
	ds_bpermute_b32 v4, v182, v178 offset:20
	;; [unrolled: 4-line block ×14, first 2 shown]
	v_mul_f32_e32 v5, v197, v20
	ds_bpermute_b32 v6, v182, v178 offset:72
	s_waitcnt lgkmcnt(2)
	v_fmac_f32_e32 v183, v5, v3
	v_mul_f32_e32 v3, v200, v21
	s_waitcnt lgkmcnt(1)
	v_fmac_f32_e32 v183, v3, v4
	ds_bpermute_b32 v4, v182, v178 offset:76
	ds_bpermute_b32 v5, v182, v178 offset:80
	v_mul_f32_e32 v3, v199, v22
	s_waitcnt lgkmcnt(2)
	v_fmac_f32_e32 v183, v3, v6
	v_mov_b32_e32 v6, v23
	v_mov_b32_e32 v7, v24
	v_pk_mul_f32 v[6:7], v[166:167], v[6:7]
	v_mov_b32_e32 v8, v33
	s_waitcnt lgkmcnt(0)
	v_pk_mul_f32 v[4:5], v[6:7], v[4:5]
	ds_bpermute_b32 v6, v182, v178 offset:84
	ds_bpermute_b32 v7, v182, v178 offset:88
	v_add_f32_e32 v3, v183, v4
	v_add_f32_e32 v3, v3, v5
	v_mov_b32_e32 v4, v25
	v_mov_b32_e32 v5, v26
	v_pk_mul_f32 v[4:5], v[168:169], v[4:5]
	v_mov_b32_e32 v9, v34
	s_waitcnt lgkmcnt(0)
	v_pk_mul_f32 v[4:5], v[4:5], v[6:7]
	ds_bpermute_b32 v6, v182, v178 offset:92
	ds_bpermute_b32 v7, v182, v178 offset:96
	v_add_f32_e32 v3, v3, v4
	v_add_f32_e32 v3, v3, v5
	v_mov_b32_e32 v4, v27
	v_mov_b32_e32 v5, v28
	v_pk_mul_f32 v[4:5], v[170:171], v[4:5]
	v_pk_mul_f32 v[8:9], v[176:177], v[8:9]
	s_waitcnt lgkmcnt(0)
	v_pk_mul_f32 v[4:5], v[4:5], v[6:7]
	ds_bpermute_b32 v6, v182, v178 offset:100
	ds_bpermute_b32 v7, v182, v178 offset:104
	v_add_f32_e32 v3, v3, v4
	v_add_f32_e32 v3, v3, v5
	v_mov_b32_e32 v4, v29
	v_mov_b32_e32 v5, v30
	v_pk_mul_f32 v[4:5], v[172:173], v[4:5]
	s_waitcnt lgkmcnt(0)
	v_pk_mul_f32 v[4:5], v[4:5], v[6:7]
	ds_bpermute_b32 v6, v182, v178 offset:108
	ds_bpermute_b32 v7, v182, v178 offset:112
	v_add_f32_e32 v3, v3, v4
	v_add_f32_e32 v3, v3, v5
	v_mov_b32_e32 v4, v31
	v_mov_b32_e32 v5, v32
	v_pk_mul_f32 v[4:5], v[174:175], v[4:5]
	s_waitcnt lgkmcnt(0)
	v_pk_mul_f32 v[4:5], v[4:5], v[6:7]
	ds_bpermute_b32 v6, v182, v178 offset:116
	ds_bpermute_b32 v7, v182, v178 offset:120
	v_add_f32_e32 v3, v3, v4
	ds_bpermute_b32 v4, v182, v178 offset:124
	v_add_f32_e32 v3, v3, v5
	s_waitcnt lgkmcnt(1)
	v_pk_mul_f32 v[6:7], v[8:9], v[6:7]
	s_nop 0
	v_add_f32_e32 v3, v3, v6
	v_add_f32_e32 v3, v3, v7
.LBB153_141:                            ;   in Loop: Header=BB153_3 Depth=1
	v_mul_f32_e32 v5, v201, v35
	s_add_u32 s30, s30, s22
	s_waitcnt lgkmcnt(0)
	v_fmac_f32_e32 v3, v5, v4
	s_addc_u32 s31, s31, 0
	v_mov_b64_e32 v[4:5], s[12:13]
	s_add_u32 s28, s28, s22
	v_cmp_lt_i64_e32 vcc, s[30:31], v[4:5]
	v_lshl_add_u64 v[40:41], v[40:41], 0, s[26:27]
	v_lshl_add_u64 v[42:43], v[42:43], 0, s[26:27]
	;; [unrolled: 1-line block ×65, first 2 shown]
	s_addc_u32 s29, 0, s29
	s_cbranch_vccz .LBB153_146
; %bb.142:                              ;   in Loop: Header=BB153_3 Depth=1
	v_mov_b32_e32 v183, v3
	s_branch .LBB153_3
.LBB153_143:                            ;   in Loop: Header=BB153_3 Depth=1
	v_lshl_add_u64 v[202:203], v[52:53], 0, v[38:39]
	global_load_dword v33, v[202:203], off
	v_lshl_add_u64 v[202:203], v[54:55], 0, v[38:39]
	global_load_dword v176, v[202:203], off
	s_or_b64 exec, exec, s[34:35]
	s_and_saveexec_b64 s[34:35], s[6:7]
	s_cbranch_execz .LBB153_138
.LBB153_144:                            ;   in Loop: Header=BB153_3 Depth=1
	v_lshl_add_u64 v[202:203], v[48:49], 0, v[38:39]
	global_load_dword v34, v[202:203], off
	v_lshl_add_u64 v[202:203], v[50:51], 0, v[38:39]
	global_load_dword v177, v[202:203], off
	s_or_b64 exec, exec, s[34:35]
	v_mov_b32_e32 v201, 0
	s_and_saveexec_b64 s[34:35], s[6:7]
	s_cbranch_execnz .LBB153_139
	s_branch .LBB153_140
.LBB153_145:
                                        ; implicit-def: $vgpr3
	s_load_dwordx2 s[6:7], s[0:1], 0x30
	s_branch .LBB153_147
.LBB153_146:
	s_load_dwordx2 s[6:7], s[0:1], 0x30
	s_cbranch_execnz .LBB153_228
.LBB153_147:
	s_and_b64 vcc, exec, s[4:5]
	v_mov_b32_e32 v3, 0
	s_cbranch_vccnz .LBB153_228
; %bb.148:
	v_mov_b32_e32 v2, 0
	v_bfe_u32 v18, v206, 10, 10
	v_lshlrev_b32_e32 v0, 7, v18
	v_mov_b32_e32 v1, v2
	v_lshl_add_u64 v[0:1], s[20:21], 2, v[0:1]
	v_lshl_add_u64 v[8:9], v[0:1], 0, 4
	v_mov_b64_e32 v[4:5], s[16:17]
	v_mov_b64_e32 v[6:7], s[18:19]
	v_mad_u64_u32 v[90:91], s[4:5], s14, v8, v[4:5]
	v_mul_lo_u32 v3, s14, v9
	v_mul_lo_u32 v9, s15, v8
	v_lshl_add_u64 v[10:11], v[0:1], 0, 8
	v_lshl_add_u64 v[14:15], v[0:1], 0, 16
	v_mad_u64_u32 v[96:97], s[4:5], s14, v8, v[6:7]
	v_add3_u32 v91, v9, v91, v3
	v_mad_u64_u32 v[92:93], s[4:5], s14, v10, v[4:5]
	v_mul_lo_u32 v11, s14, v11
	v_mul_lo_u32 v16, s15, v10
	v_add3_u32 v97, v9, v97, v3
	v_mad_u64_u32 v[98:99], s[4:5], s14, v14, v[4:5]
	v_mad_u64_u32 v[100:101], s[4:5], s14, v10, v[6:7]
	v_mul_lo_u32 v3, s14, v15
	v_mul_lo_u32 v10, s15, v14
	v_lshl_add_u64 v[8:9], v[0:1], 0, 20
	v_mad_u64_u32 v[104:105], s[4:5], s14, v14, v[6:7]
	v_add3_u32 v93, v16, v93, v11
	v_add3_u32 v101, v16, v101, v11
	;; [unrolled: 1-line block ×4, first 2 shown]
	v_mul_lo_u32 v3, s14, v9
	v_mul_lo_u32 v9, s15, v8
	v_mad_u64_u32 v[10:11], s[4:5], s14, v8, v[4:5]
	v_add3_u32 v11, v9, v11, v3
	v_accvgpr_write_b32 a19, v11
	v_accvgpr_write_b32 a18, v10
	v_mad_u64_u32 v[10:11], s[4:5], s14, v8, v[6:7]
	v_add3_u32 v11, v9, v11, v3
	v_accvgpr_write_b32 a21, v11
	v_lshl_add_u64 v[8:9], v[0:1], 0, 24
	v_accvgpr_write_b32 a20, v10
	v_mul_lo_u32 v3, s14, v9
	v_mul_lo_u32 v9, s15, v8
	v_mad_u64_u32 v[10:11], s[4:5], s14, v8, v[4:5]
	v_add3_u32 v11, v9, v11, v3
	v_accvgpr_write_b32 a23, v11
	v_accvgpr_write_b32 a22, v10
	v_mad_u64_u32 v[10:11], s[4:5], s14, v8, v[6:7]
	v_add3_u32 v11, v9, v11, v3
	v_accvgpr_write_b32 a25, v11
	v_lshl_add_u64 v[8:9], v[0:1], 0, 28
	v_accvgpr_write_b32 a24, v10
	;; [unrolled: 11-line block ×11, first 2 shown]
	v_mul_lo_u32 v3, s14, v9
	v_mul_lo_u32 v9, s15, v8
	v_mad_u64_u32 v[10:11], s[4:5], s14, v8, v[4:5]
	v_add3_u32 v11, v9, v11, v3
	v_lshl_add_u64 v[12:13], v[0:1], 0, 12
	v_accvgpr_write_b32 a63, v11
	v_mad_u64_u32 v[94:95], s[4:5], s14, v12, v[4:5]
	v_mad_u64_u32 v[102:103], s[4:5], s14, v12, v[6:7]
	v_accvgpr_write_b32 a62, v10
	v_mad_u64_u32 v[10:11], s[4:5], s14, v8, v[6:7]
	v_add3_u32 v11, v9, v11, v3
	s_mov_b64 s[4:5], 0x44
	v_accvgpr_write_b32 a65, v11
	v_lshl_add_u64 v[8:9], v[0:1], 0, s[4:5]
	v_accvgpr_write_b32 a64, v10
	v_mul_lo_u32 v3, s14, v9
	v_mul_lo_u32 v9, s15, v8
	v_mad_u64_u32 v[10:11], s[4:5], s14, v8, v[4:5]
	v_add3_u32 v11, v9, v11, v3
	v_accvgpr_write_b32 a67, v11
	v_accvgpr_write_b32 a66, v10
	v_mad_u64_u32 v[10:11], s[4:5], s14, v8, v[6:7]
	v_add3_u32 v11, v9, v11, v3
	s_mov_b64 s[4:5], 0x48
	v_accvgpr_write_b32 a69, v11
	v_lshl_add_u64 v[8:9], v[0:1], 0, s[4:5]
	v_accvgpr_write_b32 a68, v10
	v_mad_u64_u32 v[10:11], s[4:5], s14, v8, v[4:5]
	v_mad_u64_u32 v[106:107], s[4:5], s14, v8, v[6:7]
	v_mul_lo_u32 v3, s14, v9
	v_mul_lo_u32 v9, s15, v8
	s_mov_b64 s[4:5], 0x4c
	v_add3_u32 v11, v9, v11, v3
	v_add3_u32 v107, v9, v107, v3
	v_lshl_add_u64 v[8:9], v[0:1], 0, s[4:5]
	v_mad_u64_u32 v[108:109], s[4:5], s14, v8, v[4:5]
	v_mad_u64_u32 v[110:111], s[4:5], s14, v8, v[6:7]
	v_mul_lo_u32 v3, s14, v9
	v_mul_lo_u32 v9, s15, v8
	s_mov_b64 s[4:5], 0x50
	v_add3_u32 v109, v9, v109, v3
	v_add3_u32 v111, v9, v111, v3
	v_lshl_add_u64 v[8:9], v[0:1], 0, s[4:5]
	;; [unrolled: 8-line block ×12, first 2 shown]
	v_mad_u64_u32 v[152:153], s[4:5], s14, v8, v[4:5]
	v_mad_u64_u32 v[154:155], s[4:5], s14, v8, v[6:7]
	s_mov_b64 s[4:5], 0x7c
	s_nop 0
	v_lshl_add_u64 v[0:1], v[0:1], 0, s[4:5]
	v_lshlrev_b32_e32 v160, 5, v18
	v_mov_b32_e32 v161, v2
	v_mad_u64_u32 v[156:157], s[4:5], s14, v0, v[4:5]
	v_mad_u64_u32 v[158:159], s[4:5], s14, v0, v[6:7]
	v_mul_lo_u32 v1, s14, v1
	v_mul_lo_u32 v0, s15, v0
	v_lshl_add_u64 v[6:7], v[160:161], 0, s[20:21]
	v_mul_lo_u32 v3, s14, v9
	v_mul_lo_u32 v9, s15, v8
	v_add3_u32 v157, v0, v157, v1
	v_add3_u32 v159, v0, v159, v1
	v_lshl_add_u64 v[0:1], v[6:7], 0, 31
	v_add3_u32 v153, v9, v153, v3
	v_add3_u32 v155, v9, v155, v3
	v_mul_lo_u32 v3, s15, v0
	v_mul_lo_u32 v4, s14, v1
	v_mad_u64_u32 v[0:1], s[4:5], s14, v0, 0
	v_add3_u32 v1, v1, v4, v3
	v_lshl_add_u64 v[4:5], v[6:7], 0, 30
	v_mul_lo_u32 v3, s15, v4
	v_mul_lo_u32 v8, s14, v5
	v_mad_u64_u32 v[4:5], s[4:5], s14, v4, 0
	v_accvgpr_write_b32 a71, v11
	v_add3_u32 v5, v5, v8, v3
	v_lshl_add_u64 v[8:9], v[6:7], 0, 29
	v_accvgpr_write_b32 a70, v10
	v_mul_lo_u32 v3, s15, v8
	v_mul_lo_u32 v10, s14, v9
	v_mad_u64_u32 v[8:9], s[4:5], s14, v8, 0
	v_add3_u32 v9, v9, v10, v3
	v_lshl_add_u64 v[10:11], v[6:7], 0, 28
	v_mul_lo_u32 v13, s14, v13
	v_mul_lo_u32 v17, s15, v12
	;; [unrolled: 1-line block ×4, first 2 shown]
	v_mad_u64_u32 v[10:11], s[4:5], s14, v10, 0
	v_add3_u32 v95, v17, v95, v13
	v_add3_u32 v103, v17, v103, v13
	;; [unrolled: 1-line block ×3, first 2 shown]
	v_lshl_add_u64 v[12:13], v[6:7], 0, 27
	v_mul_lo_u32 v3, s15, v12
	v_mul_lo_u32 v14, s14, v13
	v_mad_u64_u32 v[12:13], s[4:5], s14, v12, 0
	v_add3_u32 v13, v13, v14, v3
	v_lshl_add_u64 v[14:15], v[6:7], 0, 26
	v_mul_lo_u32 v3, s15, v14
	v_mul_lo_u32 v16, s14, v15
	v_mad_u64_u32 v[14:15], s[4:5], s14, v14, 0
	v_add3_u32 v15, v15, v16, v3
	v_lshl_add_u64 v[16:17], v[6:7], 0, 25
	v_accvgpr_write_b32 a1, v18
	v_mul_lo_u32 v3, s15, v16
	v_mul_lo_u32 v18, s14, v17
	v_mad_u64_u32 v[16:17], s[4:5], s14, v16, 0
	v_add3_u32 v17, v17, v18, v3
	v_lshl_add_u64 v[18:19], v[6:7], 0, 24
	v_mul_lo_u32 v3, s15, v18
	v_mul_lo_u32 v20, s14, v19
	v_mad_u64_u32 v[18:19], s[4:5], s14, v18, 0
	v_add3_u32 v19, v19, v20, v3
	v_lshl_add_u64 v[20:21], v[6:7], 0, 23
	v_mul_lo_u32 v3, s15, v20
	v_mul_lo_u32 v22, s14, v21
	v_mad_u64_u32 v[20:21], s[4:5], s14, v20, 0
	v_add3_u32 v21, v21, v22, v3
	v_lshl_add_u64 v[22:23], v[6:7], 0, 22
	v_mul_lo_u32 v3, s15, v22
	v_mul_lo_u32 v24, s14, v23
	v_mad_u64_u32 v[22:23], s[4:5], s14, v22, 0
	v_add3_u32 v23, v23, v24, v3
	v_lshl_add_u64 v[24:25], v[6:7], 0, 21
	v_mul_lo_u32 v3, s15, v24
	v_mul_lo_u32 v26, s14, v25
	v_mad_u64_u32 v[24:25], s[4:5], s14, v24, 0
	v_add3_u32 v25, v25, v26, v3
	v_lshl_add_u64 v[26:27], v[6:7], 0, 20
	v_mul_lo_u32 v3, s15, v26
	v_mul_lo_u32 v28, s14, v27
	v_mad_u64_u32 v[26:27], s[4:5], s14, v26, 0
	v_add3_u32 v27, v27, v28, v3
	v_lshl_add_u64 v[28:29], v[6:7], 0, 19
	v_mul_lo_u32 v3, s15, v28
	v_mul_lo_u32 v30, s14, v29
	v_mad_u64_u32 v[28:29], s[4:5], s14, v28, 0
	v_add3_u32 v29, v29, v30, v3
	v_lshl_add_u64 v[30:31], v[6:7], 0, 18
	v_mul_lo_u32 v3, s15, v30
	v_mul_lo_u32 v32, s14, v31
	v_mad_u64_u32 v[30:31], s[4:5], s14, v30, 0
	v_add3_u32 v31, v31, v32, v3
	v_lshl_add_u64 v[32:33], v[6:7], 0, 17
	v_mul_lo_u32 v3, s15, v32
	v_mul_lo_u32 v34, s14, v33
	v_mad_u64_u32 v[32:33], s[4:5], s14, v32, 0
	v_add3_u32 v33, v33, v34, v3
	v_lshl_add_u64 v[34:35], v[6:7], 0, 16
	v_mul_lo_u32 v3, s15, v34
	v_mul_lo_u32 v36, s14, v35
	v_mad_u64_u32 v[34:35], s[4:5], s14, v34, 0
	v_add3_u32 v35, v35, v36, v3
	v_lshl_add_u64 v[36:37], v[6:7], 0, 15
	v_mul_lo_u32 v3, s15, v36
	v_mul_lo_u32 v38, s14, v37
	v_mad_u64_u32 v[36:37], s[4:5], s14, v36, 0
	v_add3_u32 v37, v37, v38, v3
	v_lshl_add_u64 v[38:39], v[6:7], 0, 14
	v_mul_lo_u32 v3, s15, v38
	v_mul_lo_u32 v40, s14, v39
	v_mad_u64_u32 v[38:39], s[4:5], s14, v38, 0
	v_add3_u32 v39, v39, v40, v3
	v_lshl_add_u64 v[40:41], v[6:7], 0, 13
	v_mul_lo_u32 v3, s15, v40
	v_mul_lo_u32 v42, s14, v41
	v_mad_u64_u32 v[40:41], s[4:5], s14, v40, 0
	v_add3_u32 v41, v41, v42, v3
	v_lshl_add_u64 v[42:43], v[6:7], 0, 12
	v_mul_lo_u32 v3, s15, v42
	v_mul_lo_u32 v44, s14, v43
	v_mad_u64_u32 v[42:43], s[4:5], s14, v42, 0
	v_add3_u32 v43, v43, v44, v3
	v_lshl_add_u64 v[44:45], v[6:7], 0, 11
	v_mul_lo_u32 v3, s15, v44
	v_mul_lo_u32 v46, s14, v45
	v_mad_u64_u32 v[44:45], s[4:5], s14, v44, 0
	v_add3_u32 v45, v45, v46, v3
	v_lshl_add_u64 v[46:47], v[6:7], 0, 10
	v_mul_lo_u32 v3, s15, v46
	v_mul_lo_u32 v48, s14, v47
	v_mad_u64_u32 v[46:47], s[4:5], s14, v46, 0
	v_add3_u32 v47, v47, v48, v3
	v_lshl_add_u64 v[48:49], v[6:7], 0, 9
	v_mul_lo_u32 v3, s15, v48
	v_mul_lo_u32 v50, s14, v49
	v_mad_u64_u32 v[48:49], s[4:5], s14, v48, 0
	v_add3_u32 v49, v49, v50, v3
	v_lshl_add_u64 v[50:51], v[6:7], 0, 8
	v_mul_lo_u32 v3, s15, v50
	v_mul_lo_u32 v52, s14, v51
	v_mad_u64_u32 v[50:51], s[4:5], s14, v50, 0
	v_add3_u32 v51, v51, v52, v3
	v_lshl_add_u64 v[52:53], v[6:7], 0, 7
	v_mul_lo_u32 v3, s15, v52
	v_mul_lo_u32 v54, s14, v53
	v_mad_u64_u32 v[52:53], s[4:5], s14, v52, 0
	v_add3_u32 v53, v53, v54, v3
	v_lshl_add_u64 v[54:55], v[6:7], 0, 6
	v_mul_lo_u32 v3, s15, v54
	v_mul_lo_u32 v56, s14, v55
	v_mad_u64_u32 v[54:55], s[4:5], s14, v54, 0
	v_add3_u32 v55, v55, v56, v3
	v_lshl_add_u64 v[56:57], v[6:7], 0, 5
	v_lshlrev_b64 v[0:1], 2, v[0:1]
	v_mul_lo_u32 v3, s15, v56
	v_mul_lo_u32 v58, s14, v57
	v_mad_u64_u32 v[56:57], s[4:5], s14, v56, 0
	v_lshl_add_u64 v[168:169], s[16:17], 0, v[0:1]
	v_lshl_add_u64 v[170:171], s[18:19], 0, v[0:1]
	v_lshlrev_b64 v[0:1], 2, v[4:5]
	v_add3_u32 v57, v57, v58, v3
	v_lshl_add_u64 v[58:59], v[6:7], 0, 4
	v_lshl_add_u64 v[172:173], s[16:17], 0, v[0:1]
	v_lshl_add_u64 v[174:175], s[18:19], 0, v[0:1]
	v_lshlrev_b64 v[0:1], 2, v[8:9]
	v_mul_lo_u32 v3, s15, v58
	v_mul_lo_u32 v60, s14, v59
	v_mad_u64_u32 v[58:59], s[4:5], s14, v58, 0
	v_lshl_add_u64 v[176:177], s[16:17], 0, v[0:1]
	v_lshl_add_u64 v[178:179], s[18:19], 0, v[0:1]
	v_lshlrev_b64 v[0:1], 2, v[10:11]
	v_add3_u32 v59, v59, v60, v3
	v_lshl_add_u64 v[60:61], v[6:7], 0, 3
	v_lshl_add_u64 v[180:181], s[16:17], 0, v[0:1]
	v_lshl_add_u64 v[182:183], s[18:19], 0, v[0:1]
	;; [unrolled: 11-line block ×3, first 2 shown]
	v_lshlrev_b64 v[0:1], 2, v[16:17]
	v_mul_lo_u32 v3, s15, v62
	v_mul_lo_u32 v64, s14, v63
	v_mad_u64_u32 v[62:63], s[4:5], s14, v62, 0
	v_lshl_add_u64 v[192:193], s[16:17], 0, v[0:1]
	v_lshl_add_u64 v[194:195], s[18:19], 0, v[0:1]
	v_lshlrev_b64 v[0:1], 2, v[18:19]
	v_add3_u32 v63, v63, v64, v3
	v_mov_b64_e32 v[64:65], s[14:15]
	v_lshl_add_u64 v[196:197], s[16:17], 0, v[0:1]
	v_lshl_add_u64 v[198:199], s[18:19], 0, v[0:1]
	v_lshlrev_b64 v[0:1], 2, v[20:21]
	v_mad_u64_u32 v[66:67], s[4:5], s14, v6, v[64:65]
	v_mul_lo_u32 v3, s15, v6
	v_mul_lo_u32 v64, s14, v7
	v_mad_u64_u32 v[6:7], s[4:5], s14, v6, 0
	v_lshl_add_u64 v[200:201], s[16:17], 0, v[0:1]
	v_lshl_add_u64 v[202:203], s[18:19], 0, v[0:1]
	v_lshlrev_b64 v[0:1], 2, v[22:23]
	v_add3_u32 v7, v7, v64, v3
	v_add3_u32 v67, v3, v67, v64
	v_accvgpr_write_b32 a0, v206
	v_and_b32_e32 v3, 0x3ff, v206
	v_lshl_add_u64 v[204:205], s[16:17], 0, v[0:1]
	v_lshl_add_u64 v[206:207], s[18:19], 0, v[0:1]
	v_lshlrev_b64 v[0:1], 2, v[24:25]
	v_lshl_add_u64 v[208:209], s[16:17], 0, v[0:1]
	v_lshl_add_u64 v[210:211], s[18:19], 0, v[0:1]
	v_lshlrev_b64 v[0:1], 2, v[26:27]
	;; [unrolled: 3-line block ×9, first 2 shown]
	s_load_dword s4, s[0:1], 0x44
	v_lshl_add_u64 v[240:241], s[16:17], 0, v[0:1]
	v_lshl_add_u64 v[242:243], s[18:19], 0, v[0:1]
	v_lshlrev_b64 v[0:1], 2, v[42:43]
	v_lshlrev_b64 v[4:5], 2, v[50:51]
	v_lshl_add_u64 v[244:245], s[16:17], 0, v[0:1]
	v_lshl_add_u64 v[246:247], s[18:19], 0, v[0:1]
	v_lshlrev_b64 v[0:1], 2, v[44:45]
	v_lshl_add_u64 v[38:39], s[16:17], 0, v[4:5]
	v_lshl_add_u64 v[40:41], s[18:19], 0, v[4:5]
	;; [unrolled: 3-line block ×6, first 2 shown]
	v_lshlrev_b64 v[4:5], 2, v[56:57]
	s_add_u32 s22, s0, 64
	v_lshl_add_u64 v[50:51], s[16:17], 0, v[4:5]
	v_lshl_add_u64 v[52:53], s[18:19], 0, v[4:5]
	v_lshlrev_b64 v[4:5], 2, v[58:59]
	v_accvgpr_write_b32 a72, v3
	v_add_u32_e32 v64, s3, v3
	s_addc_u32 s23, s1, 0
	s_waitcnt lgkmcnt(0)
	s_lshl_b32 s4, s4, 5
	v_lshl_add_u64 v[54:55], s[16:17], 0, v[4:5]
	v_lshl_add_u64 v[56:57], s[18:19], 0, v[4:5]
	v_lshlrev_b64 v[4:5], 2, v[60:61]
	v_mbcnt_lo_u32_b32 v3, -1, 0
	v_mov_b32_e32 v65, v2
	s_mul_i32 s3, s15, s4
	s_mul_hi_u32 s9, s14, s4
	v_lshl_add_u64 v[58:59], s[16:17], 0, v[4:5]
	v_lshl_add_u64 v[60:61], s[18:19], 0, v[4:5]
	v_lshlrev_b64 v[4:5], 2, v[62:63]
	v_mbcnt_hi_u32_b32 v3, -1, v3
	v_lshlrev_b64 v[162:163], 2, v[64:65]
	v_lshlrev_b64 v[6:7], 2, v[6:7]
	s_add_i32 s25, s9, s3
	s_mul_i32 s24, s14, s4
	v_lshl_add_u64 v[62:63], s[16:17], 0, v[4:5]
	v_lshl_add_u64 v[64:65], s[18:19], 0, v[4:5]
	v_lshlrev_b64 v[4:5], 2, v[66:67]
	v_lshlrev_b32_e32 v3, 2, v3
	s_mov_b32 s5, 0
	s_lshl_b64 s[24:25], s[24:25], 2
	v_lshl_add_u64 v[164:165], s[16:17], 0, v[6:7]
	v_lshl_add_u64 v[166:167], s[18:19], 0, v[6:7]
	s_mov_b64 s[26:27], 31
	v_lshl_add_u64 v[36:37], s[16:17], 0, v[0:1]
	v_lshl_add_u64 v[0:1], s[18:19], 0, v[0:1]
	;; [unrolled: 1-line block ×4, first 2 shown]
	v_and_b32_e32 v84, 0x100, v3
	s_mov_b64 s[16:17], s[20:21]
	v_mov_b32_e32 v85, 0
.LBB153_149:                            ; =>This Inner Loop Header: Depth=1
	s_add_u32 s18, s20, s26
	s_addc_u32 s19, 0, s27
	v_mov_b64_e32 v[4:5], s[12:13]
	v_cmp_ge_i64_e32 vcc, s[18:19], v[4:5]
	v_lshl_add_u64 v[70:71], s[20:21], 0, v[160:161]
	s_mov_b64 s[18:19], -1
                                        ; implicit-def: $vgpr3
	s_cbranch_vccz .LBB153_219
; %bb.150:                              ;   in Loop: Header=BB153_149 Depth=1
	s_load_dword s3, s[22:23], 0xc
	v_accvgpr_read_b32 v3, a1
	v_accvgpr_read_b32 v4, a72
	v_accvgpr_write_b32 a2, 0
	v_mov_b32_e32 v86, 0
	s_waitcnt lgkmcnt(0)
	s_and_b32 s3, s3, 0xffff
	v_mad_u32_u24 v3, v3, s3, v4
	v_and_b32_e32 v4, 63, v3
	v_cmp_gt_u32_e32 vcc, 32, v4
	s_and_saveexec_b64 s[18:19], vcc
	s_cbranch_execz .LBB153_154
; %bb.151:                              ;   in Loop: Header=BB153_149 Depth=1
	v_mov_b32_e32 v5, v2
	v_lshl_add_u64 v[4:5], v[70:71], 0, v[4:5]
	v_cmp_gt_i64_e32 vcc, s[12:13], v[4:5]
	v_mov_b32_e32 v86, 0
	s_and_saveexec_b64 s[28:29], vcc
	s_cbranch_execz .LBB153_153
; %bb.152:                              ;   in Loop: Header=BB153_149 Depth=1
	v_lshl_add_u64 v[4:5], v[4:5], 2, s[10:11]
	global_load_dword v86, v[4:5], off
.LBB153_153:                            ;   in Loop: Header=BB153_149 Depth=1
	s_or_b64 exec, exec, s[28:29]
.LBB153_154:                            ;   in Loop: Header=BB153_149 Depth=1
	s_or_b64 exec, exec, s[18:19]
	v_mov_b32_e32 v4, v2
	v_mov_b32_e32 v5, v2
	;; [unrolled: 1-line block ×31, first 2 shown]
	v_mov_b64_e32 v[34:35], v[32:33]
	v_cmp_gt_i64_e32 vcc, s[12:13], v[70:71]
	v_mov_b64_e32 v[32:33], v[30:31]
	v_mov_b64_e32 v[30:31], v[28:29]
	;; [unrolled: 1-line block ×15, first 2 shown]
	s_and_saveexec_b64 s[18:19], vcc
	s_cbranch_execz .LBB153_156
; %bb.155:                              ;   in Loop: Header=BB153_149 Depth=1
	v_lshl_add_u64 v[4:5], v[164:165], 0, v[162:163]
	v_lshl_add_u64 v[6:7], v[166:167], 0, v[162:163]
	global_load_dword v4, v[4:5], off
	v_mov_b32_e32 v5, v2
	global_load_dword a2, v[6:7], off
	v_mov_b32_e32 v6, v2
	v_mov_b32_e32 v7, v2
	;; [unrolled: 1-line block ×30, first 2 shown]
.LBB153_156:                            ;   in Loop: Header=BB153_149 Depth=1
	s_or_b64 exec, exec, s[18:19]
	v_lshl_add_u64 v[72:73], v[70:71], 0, 1
	v_cmp_gt_i64_e32 vcc, s[12:13], v[72:73]
	v_accvgpr_write_b32 a3, 0
	v_accvgpr_write_b32 a4, 0
	s_and_saveexec_b64 s[18:19], vcc
	s_cbranch_execz .LBB153_158
; %bb.157:                              ;   in Loop: Header=BB153_149 Depth=1
	v_lshl_add_u64 v[72:73], v[66:67], 0, v[162:163]
	global_load_dword v5, v[72:73], off
	v_lshl_add_u64 v[72:73], v[68:69], 0, v[162:163]
	global_load_dword a4, v[72:73], off
.LBB153_158:                            ;   in Loop: Header=BB153_149 Depth=1
	s_or_b64 exec, exec, s[18:19]
	v_lshl_add_u64 v[72:73], v[70:71], 0, 2
	v_cmp_gt_i64_e32 vcc, s[12:13], v[72:73]
	s_and_saveexec_b64 s[18:19], vcc
	s_cbranch_execz .LBB153_160
; %bb.159:                              ;   in Loop: Header=BB153_149 Depth=1
	v_lshl_add_u64 v[72:73], v[62:63], 0, v[162:163]
	global_load_dword v6, v[72:73], off
	v_lshl_add_u64 v[72:73], v[64:65], 0, v[162:163]
	global_load_dword a3, v[72:73], off
.LBB153_160:                            ;   in Loop: Header=BB153_149 Depth=1
	s_or_b64 exec, exec, s[18:19]
	v_lshl_add_u64 v[72:73], v[70:71], 0, 3
	v_cmp_gt_i64_e32 vcc, s[12:13], v[72:73]
	v_accvgpr_write_b32 a5, 0
	v_accvgpr_write_b32 a7, 0
	s_and_saveexec_b64 s[18:19], vcc
	s_cbranch_execz .LBB153_162
; %bb.161:                              ;   in Loop: Header=BB153_149 Depth=1
	v_lshl_add_u64 v[72:73], v[58:59], 0, v[162:163]
	global_load_dword v7, v[72:73], off
	v_lshl_add_u64 v[72:73], v[60:61], 0, v[162:163]
	global_load_dword a7, v[72:73], off
.LBB153_162:                            ;   in Loop: Header=BB153_149 Depth=1
	s_or_b64 exec, exec, s[18:19]
	v_lshl_add_u64 v[72:73], v[70:71], 0, 4
	v_cmp_gt_i64_e32 vcc, s[12:13], v[72:73]
	s_and_saveexec_b64 s[18:19], vcc
	s_cbranch_execz .LBB153_164
; %bb.163:                              ;   in Loop: Header=BB153_149 Depth=1
	v_lshl_add_u64 v[72:73], v[54:55], 0, v[162:163]
	global_load_dword v8, v[72:73], off
	v_lshl_add_u64 v[72:73], v[56:57], 0, v[162:163]
	global_load_dword a5, v[72:73], off
.LBB153_164:                            ;   in Loop: Header=BB153_149 Depth=1
	;; [unrolled: 24-line block ×8, first 2 shown]
	s_or_b64 exec, exec, s[18:19]
	v_lshl_add_u64 v[72:73], v[70:71], 0, 17
	v_cmp_gt_i64_e32 vcc, s[12:13], v[72:73]
	v_accvgpr_write_b32 a73, 0
	v_mov_b32_e32 v87, 0
	s_and_saveexec_b64 s[18:19], vcc
	s_cbranch_execz .LBB153_190
; %bb.189:                              ;   in Loop: Header=BB153_149 Depth=1
	v_lshl_add_u64 v[72:73], v[224:225], 0, v[162:163]
	global_load_dword v21, v[72:73], off
	v_lshl_add_u64 v[72:73], v[226:227], 0, v[162:163]
	global_load_dword v87, v[72:73], off
.LBB153_190:                            ;   in Loop: Header=BB153_149 Depth=1
	s_or_b64 exec, exec, s[18:19]
	v_lshl_add_u64 v[72:73], v[70:71], 0, 18
	v_cmp_gt_i64_e32 vcc, s[12:13], v[72:73]
	s_and_saveexec_b64 s[18:19], vcc
	s_cbranch_execz .LBB153_192
; %bb.191:                              ;   in Loop: Header=BB153_149 Depth=1
	v_lshl_add_u64 v[72:73], v[220:221], 0, v[162:163]
	global_load_dword v22, v[72:73], off
	v_lshl_add_u64 v[72:73], v[222:223], 0, v[162:163]
	global_load_dword a73, v[72:73], off
.LBB153_192:                            ;   in Loop: Header=BB153_149 Depth=1
	s_or_b64 exec, exec, s[18:19]
	v_lshl_add_u64 v[72:73], v[70:71], 0, 19
	v_cmp_gt_i64_e32 vcc, s[12:13], v[72:73]
	v_mov_b32_e32 v72, 0
	v_mov_b32_e32 v3, 0
	s_and_saveexec_b64 s[18:19], vcc
	s_cbranch_execz .LBB153_194
; %bb.193:                              ;   in Loop: Header=BB153_149 Depth=1
	v_lshl_add_u64 v[74:75], v[216:217], 0, v[162:163]
	global_load_dword v23, v[74:75], off
	v_lshl_add_u64 v[74:75], v[218:219], 0, v[162:163]
	global_load_dword v3, v[74:75], off
.LBB153_194:                            ;   in Loop: Header=BB153_149 Depth=1
	s_or_b64 exec, exec, s[18:19]
	v_lshl_add_u64 v[74:75], v[70:71], 0, 20
	v_cmp_gt_i64_e32 vcc, s[12:13], v[74:75]
	s_and_saveexec_b64 s[18:19], vcc
	s_cbranch_execz .LBB153_196
; %bb.195:                              ;   in Loop: Header=BB153_149 Depth=1
	v_lshl_add_u64 v[72:73], v[212:213], 0, v[162:163]
	global_load_dword v24, v[72:73], off
	v_lshl_add_u64 v[72:73], v[214:215], 0, v[162:163]
	global_load_dword v72, v[72:73], off
.LBB153_196:                            ;   in Loop: Header=BB153_149 Depth=1
	s_or_b64 exec, exec, s[18:19]
	v_lshl_add_u64 v[74:75], v[70:71], 0, 21
	v_cmp_gt_i64_e32 vcc, s[12:13], v[74:75]
	v_mov_b32_e32 v74, 0
	;; [unrolled: 24-line block ×7, first 2 shown]
	s_and_saveexec_b64 s[18:19], vcc
	s_cbranch_execz .LBB153_218
; %bb.217:                              ;   in Loop: Header=BB153_149 Depth=1
	v_lshl_add_u64 v[88:89], v[168:169], 0, v[162:163]
	global_load_dword v35, v[88:89], off
	v_lshl_add_u64 v[88:89], v[170:171], 0, v[162:163]
	global_load_dword v83, v[88:89], off
.LBB153_218:                            ;   in Loop: Header=BB153_149 Depth=1
	s_or_b64 exec, exec, s[18:19]
	s_waitcnt vmcnt(0)
	ds_bpermute_b32 v88, v84, v86
	v_accvgpr_read_b32 v89, a2
	v_mul_f32_e32 v4, v89, v4
	v_accvgpr_read_b32 v89, a4
	v_mul_f32_e32 v5, v89, v5
	s_waitcnt lgkmcnt(0)
	v_fma_f32 v88, v4, v88, v85
	ds_bpermute_b32 v4, v84, v86 offset:4
	v_mul_f32_e32 v3, v3, v23
	s_mov_b64 s[18:19], 0
	s_waitcnt lgkmcnt(0)
	v_fmac_f32_e32 v88, v5, v4
	ds_bpermute_b32 v4, v84, v86 offset:8
	v_accvgpr_read_b32 v5, a3
	v_mul_f32_e32 v5, v5, v6
	s_waitcnt lgkmcnt(0)
	v_fmac_f32_e32 v88, v5, v4
	ds_bpermute_b32 v4, v84, v86 offset:12
	v_accvgpr_read_b32 v5, a7
	v_mul_f32_e32 v5, v5, v7
	v_pk_mul_f32 v[6:7], v[72:73], v[24:25]
	s_waitcnt lgkmcnt(0)
	v_fmac_f32_e32 v88, v5, v4
	ds_bpermute_b32 v4, v84, v86 offset:16
	v_accvgpr_read_b32 v5, a5
	v_mul_f32_e32 v5, v5, v8
	s_waitcnt lgkmcnt(0)
	v_fmac_f32_e32 v88, v5, v4
	ds_bpermute_b32 v4, v84, v86 offset:20
	v_accvgpr_read_b32 v5, a9
	v_mul_f32_e32 v5, v5, v9
	;; [unrolled: 5-line block ×13, first 2 shown]
	s_waitcnt lgkmcnt(0)
	v_fmac_f32_e32 v88, v5, v4
	ds_bpermute_b32 v4, v84, v86 offset:68
	v_mul_f32_e32 v5, v87, v21
	s_waitcnt lgkmcnt(0)
	v_fmac_f32_e32 v88, v5, v4
	ds_bpermute_b32 v4, v84, v86 offset:72
	v_accvgpr_read_b32 v5, a73
	v_mul_f32_e32 v5, v5, v22
	s_waitcnt lgkmcnt(0)
	v_fmac_f32_e32 v88, v5, v4
	ds_bpermute_b32 v4, v84, v86 offset:76
	ds_bpermute_b32 v5, v84, v86 offset:84
	s_waitcnt lgkmcnt(1)
	v_fmac_f32_e32 v88, v3, v4
	ds_bpermute_b32 v4, v84, v86 offset:80
	s_waitcnt lgkmcnt(0)
	v_pk_mul_f32 v[4:5], v[6:7], v[4:5]
	s_nop 0
	v_add_f32_e32 v3, v88, v4
	v_add_f32_e32 v3, v3, v5
	ds_bpermute_b32 v4, v84, v86 offset:88
	ds_bpermute_b32 v5, v84, v86 offset:92
	v_pk_mul_f32 v[6:7], v[74:75], v[26:27]
	s_waitcnt lgkmcnt(0)
	v_pk_mul_f32 v[4:5], v[6:7], v[4:5]
	s_nop 0
	v_add_f32_e32 v3, v3, v4
	v_add_f32_e32 v3, v3, v5
	ds_bpermute_b32 v4, v84, v86 offset:96
	ds_bpermute_b32 v5, v84, v86 offset:100
	v_pk_mul_f32 v[6:7], v[76:77], v[28:29]
	;; [unrolled: 8-line block ×5, first 2 shown]
	s_waitcnt lgkmcnt(0)
	v_pk_mul_f32 v[4:5], v[6:7], v[4:5]
	s_nop 0
	v_add_f32_e32 v3, v3, v4
	v_add_f32_e32 v3, v3, v5
.LBB153_219:                            ;   in Loop: Header=BB153_149 Depth=1
	s_and_b64 vcc, exec, s[18:19]
	s_cbranch_vccz .LBB153_225
; %bb.220:                              ;   in Loop: Header=BB153_149 Depth=1
	s_load_dword s3, s[22:23], 0x0
	v_accvgpr_read_b32 v4, a1
	v_accvgpr_read_b32 v5, a72
	s_waitcnt lgkmcnt(0)
	s_cmp_lt_u32 s2, s3
	s_cselect_b32 s3, 12, 18
	s_add_u32 s18, s22, s3
	s_addc_u32 s19, s23, 0
	global_load_ushort v3, v2, s[18:19]
	s_waitcnt vmcnt(0)
	v_mad_u32_u24 v3, v4, v3, v5
	v_and_b32_e32 v4, 63, v3
	v_cmp_gt_u32_e32 vcc, 32, v4
	v_mov_b32_e32 v3, 0
	s_and_saveexec_b64 s[18:19], vcc
	s_cbranch_execz .LBB153_224
; %bb.221:                              ;   in Loop: Header=BB153_149 Depth=1
	v_mov_b32_e32 v5, v2
	v_lshl_add_u64 v[4:5], v[70:71], 0, v[4:5]
	v_cmp_gt_i64_e32 vcc, s[12:13], v[4:5]
	v_mov_b32_e32 v3, 0
	s_and_saveexec_b64 s[28:29], vcc
	s_cbranch_execz .LBB153_223
; %bb.222:                              ;   in Loop: Header=BB153_149 Depth=1
	v_lshl_add_u64 v[4:5], v[4:5], 2, s[10:11]
	global_load_dword v3, v[4:5], off
.LBB153_223:                            ;   in Loop: Header=BB153_149 Depth=1
	s_or_b64 exec, exec, s[28:29]
.LBB153_224:                            ;   in Loop: Header=BB153_149 Depth=1
	s_or_b64 exec, exec, s[18:19]
	v_lshl_add_u64 v[4:5], v[164:165], 0, v[162:163]
	global_load_dword v30, v[4:5], off
	v_lshl_add_u64 v[4:5], v[166:167], 0, v[162:163]
	global_load_dword v31, v[4:5], off
	;; [unrolled: 2-line block ×10, first 2 shown]
	v_accvgpr_read_b32 v4, a18
	v_accvgpr_read_b32 v5, a19
	v_lshl_add_u64 v[4:5], v[4:5], 0, v[162:163]
	global_load_dword v74, v[4:5], off
	v_accvgpr_read_b32 v4, a20
	v_accvgpr_read_b32 v5, a21
	v_lshl_add_u64 v[4:5], v[4:5], 0, v[162:163]
	global_load_dword v75, v[4:5], off
	v_accvgpr_read_b32 v4, a22
	v_accvgpr_read_b32 v5, a23
	v_lshl_add_u64 v[4:5], v[4:5], 0, v[162:163]
	global_load_dword v76, v[4:5], off
	v_accvgpr_read_b32 v4, a24
	v_accvgpr_read_b32 v5, a25
	v_lshl_add_u64 v[4:5], v[4:5], 0, v[162:163]
	global_load_dword v77, v[4:5], off
	v_accvgpr_read_b32 v4, a26
	v_accvgpr_read_b32 v5, a27
	v_lshl_add_u64 v[4:5], v[4:5], 0, v[162:163]
	global_load_dword v78, v[4:5], off
	v_accvgpr_read_b32 v4, a28
	v_accvgpr_read_b32 v5, a29
	v_lshl_add_u64 v[4:5], v[4:5], 0, v[162:163]
	global_load_dword v79, v[4:5], off
	v_accvgpr_read_b32 v4, a30
	v_accvgpr_read_b32 v5, a31
	v_lshl_add_u64 v[4:5], v[4:5], 0, v[162:163]
	global_load_dword v80, v[4:5], off
	v_accvgpr_read_b32 v4, a32
	v_accvgpr_read_b32 v5, a33
	v_lshl_add_u64 v[4:5], v[4:5], 0, v[162:163]
	global_load_dword v81, v[4:5], off
	v_accvgpr_read_b32 v4, a34
	v_accvgpr_read_b32 v5, a35
	v_lshl_add_u64 v[4:5], v[4:5], 0, v[162:163]
	global_load_dword v82, v[4:5], off
	v_accvgpr_read_b32 v4, a36
	v_accvgpr_read_b32 v5, a37
	v_lshl_add_u64 v[4:5], v[4:5], 0, v[162:163]
	global_load_dword v83, v[4:5], off
	v_accvgpr_read_b32 v4, a38
	v_accvgpr_read_b32 v5, a39
	v_lshl_add_u64 v[4:5], v[4:5], 0, v[162:163]
	global_load_dword v86, v[4:5], off
	v_accvgpr_read_b32 v4, a40
	v_accvgpr_read_b32 v5, a41
	v_lshl_add_u64 v[4:5], v[4:5], 0, v[162:163]
	global_load_dword v87, v[4:5], off
	v_accvgpr_read_b32 v4, a42
	v_accvgpr_read_b32 v5, a43
	v_lshl_add_u64 v[4:5], v[4:5], 0, v[162:163]
	global_load_dword v88, v[4:5], off
	v_accvgpr_read_b32 v4, a44
	v_accvgpr_read_b32 v5, a45
	v_lshl_add_u64 v[4:5], v[4:5], 0, v[162:163]
	global_load_dword v89, v[4:5], off
	v_accvgpr_read_b32 v4, a46
	v_accvgpr_read_b32 v5, a47
	v_lshl_add_u64 v[4:5], v[4:5], 0, v[162:163]
	v_accvgpr_write_b32 a2, v90
	v_accvgpr_write_b32 a3, v91
	global_load_dword v90, v[4:5], off
	v_accvgpr_read_b32 v4, a48
	v_accvgpr_read_b32 v5, a49
	v_lshl_add_u64 v[4:5], v[4:5], 0, v[162:163]
	global_load_dword v91, v[4:5], off
	v_accvgpr_read_b32 v4, a50
	v_accvgpr_read_b32 v5, a51
	v_lshl_add_u64 v[4:5], v[4:5], 0, v[162:163]
	v_accvgpr_write_b32 a4, v92
	v_accvgpr_write_b32 a5, v93
	global_load_dword v92, v[4:5], off
	v_accvgpr_read_b32 v4, a52
	v_accvgpr_read_b32 v5, a53
	v_lshl_add_u64 v[4:5], v[4:5], 0, v[162:163]
	global_load_dword v93, v[4:5], off
	;; [unrolled: 10-line block ×6, first 2 shown]
	v_accvgpr_read_b32 v4, a70
	v_accvgpr_read_b32 v5, a71
	v_lshl_add_u64 v[4:5], v[4:5], 0, v[162:163]
	v_accvgpr_write_b32 a14, v102
	v_accvgpr_write_b32 a15, v103
	global_load_dword v102, v[4:5], off
	v_lshl_add_u64 v[4:5], v[106:107], 0, v[162:163]
	global_load_dword v103, v[4:5], off
	v_lshl_add_u64 v[4:5], v[108:109], 0, v[162:163]
	v_accvgpr_write_b32 a16, v104
	v_accvgpr_write_b32 a17, v105
	global_load_dword v104, v[4:5], off
	v_lshl_add_u64 v[4:5], v[110:111], 0, v[162:163]
	global_load_dword v105, v[4:5], off
	v_lshl_add_u64 v[4:5], v[112:113], 0, v[162:163]
	global_load_dword v24, v[4:5], off
	v_lshl_add_u64 v[4:5], v[114:115], 0, v[162:163]
	global_load_dword v26, v[4:5], off
	v_lshl_add_u64 v[4:5], v[116:117], 0, v[162:163]
	global_load_dword v25, v[4:5], off
	v_lshl_add_u64 v[4:5], v[118:119], 0, v[162:163]
	global_load_dword v27, v[4:5], off
	v_lshl_add_u64 v[4:5], v[120:121], 0, v[162:163]
	global_load_dword v20, v[4:5], off
	v_lshl_add_u64 v[4:5], v[122:123], 0, v[162:163]
	global_load_dword v22, v[4:5], off
	v_lshl_add_u64 v[4:5], v[124:125], 0, v[162:163]
	global_load_dword v21, v[4:5], off
	v_lshl_add_u64 v[4:5], v[126:127], 0, v[162:163]
	global_load_dword v23, v[4:5], off
	v_lshl_add_u64 v[4:5], v[128:129], 0, v[162:163]
	global_load_dword v16, v[4:5], off
	v_lshl_add_u64 v[4:5], v[130:131], 0, v[162:163]
	global_load_dword v18, v[4:5], off
	v_lshl_add_u64 v[4:5], v[132:133], 0, v[162:163]
	global_load_dword v17, v[4:5], off
	v_lshl_add_u64 v[4:5], v[134:135], 0, v[162:163]
	global_load_dword v19, v[4:5], off
	v_lshl_add_u64 v[4:5], v[136:137], 0, v[162:163]
	global_load_dword v12, v[4:5], off
	v_lshl_add_u64 v[4:5], v[138:139], 0, v[162:163]
	global_load_dword v14, v[4:5], off
	v_lshl_add_u64 v[4:5], v[140:141], 0, v[162:163]
	global_load_dword v13, v[4:5], off
	v_lshl_add_u64 v[4:5], v[142:143], 0, v[162:163]
	global_load_dword v15, v[4:5], off
	v_lshl_add_u64 v[4:5], v[144:145], 0, v[162:163]
	global_load_dword v8, v[4:5], off
	v_lshl_add_u64 v[4:5], v[146:147], 0, v[162:163]
	global_load_dword v10, v[4:5], off
	v_lshl_add_u64 v[4:5], v[148:149], 0, v[162:163]
	global_load_dword v9, v[4:5], off
	v_lshl_add_u64 v[4:5], v[150:151], 0, v[162:163]
	global_load_dword v11, v[4:5], off
	v_lshl_add_u64 v[4:5], v[152:153], 0, v[162:163]
	v_lshl_add_u64 v[28:29], v[156:157], 0, v[162:163]
	global_load_dword v4, v[4:5], off
	v_lshl_add_u64 v[6:7], v[154:155], 0, v[162:163]
	global_load_dword v5, v[28:29], off
	;; [unrolled: 2-line block ×3, first 2 shown]
	s_waitcnt vmcnt(19)
	v_pk_mul_f32 v[24:25], v[24:25], v[26:27]
	global_load_dword v7, v[28:29], off
	ds_bpermute_b32 v28, v84, v3
	v_mul_f32_e32 v29, v30, v31
	s_waitcnt lgkmcnt(0)
	v_fmac_f32_e32 v85, v29, v28
	ds_bpermute_b32 v28, v84, v3 offset:4
	v_mul_f32_e32 v29, v32, v33
	s_waitcnt vmcnt(16)
	v_pk_mul_f32 v[20:21], v[20:21], v[22:23]
	s_waitcnt lgkmcnt(0)
	v_fmac_f32_e32 v85, v29, v28
	ds_bpermute_b32 v28, v84, v3 offset:8
	v_mul_f32_e32 v29, v34, v35
	s_waitcnt vmcnt(12)
	v_pk_mul_f32 v[16:17], v[16:17], v[18:19]
	s_waitcnt lgkmcnt(0)
	v_fmac_f32_e32 v85, v29, v28
	ds_bpermute_b32 v28, v84, v3 offset:12
	v_mul_f32_e32 v29, v70, v71
	s_waitcnt vmcnt(8)
	v_pk_mul_f32 v[12:13], v[12:13], v[14:15]
	s_waitcnt lgkmcnt(0)
	v_fmac_f32_e32 v85, v29, v28
	ds_bpermute_b32 v28, v84, v3 offset:16
	v_mul_f32_e32 v29, v72, v73
	s_waitcnt lgkmcnt(0)
	v_fmac_f32_e32 v85, v29, v28
	ds_bpermute_b32 v28, v84, v3 offset:20
	v_mul_f32_e32 v29, v74, v75
	s_waitcnt vmcnt(4)
	v_pk_mul_f32 v[8:9], v[8:9], v[10:11]
	s_waitcnt lgkmcnt(0)
	v_fmac_f32_e32 v85, v29, v28
	ds_bpermute_b32 v28, v84, v3 offset:24
	v_mul_f32_e32 v29, v76, v77
	s_waitcnt lgkmcnt(0)
	v_fmac_f32_e32 v85, v29, v28
	ds_bpermute_b32 v28, v84, v3 offset:28
	v_mul_f32_e32 v29, v78, v79
	;; [unrolled: 4-line block ×7, first 2 shown]
	v_accvgpr_read_b32 v91, a3
	v_accvgpr_read_b32 v90, a2
	s_waitcnt lgkmcnt(0)
	v_fmac_f32_e32 v85, v29, v28
	ds_bpermute_b32 v28, v84, v3 offset:52
	v_mul_f32_e32 v29, v92, v93
	s_waitcnt vmcnt(0)
	v_pk_mul_f32 v[4:5], v[4:5], v[6:7]
	v_accvgpr_read_b32 v93, a5
	v_accvgpr_read_b32 v92, a4
	s_waitcnt lgkmcnt(0)
	v_fmac_f32_e32 v85, v29, v28
	ds_bpermute_b32 v28, v84, v3 offset:56
	v_mul_f32_e32 v29, v94, v95
	v_accvgpr_read_b32 v95, a7
	v_accvgpr_read_b32 v94, a6
	s_waitcnt lgkmcnt(0)
	v_fmac_f32_e32 v85, v29, v28
	ds_bpermute_b32 v28, v84, v3 offset:60
	v_mul_f32_e32 v29, v96, v97
	;; [unrolled: 6-line block ×6, first 2 shown]
	v_accvgpr_read_b32 v105, a17
	v_accvgpr_read_b32 v104, a16
	s_waitcnt lgkmcnt(0)
	v_fmac_f32_e32 v85, v29, v28
	ds_bpermute_b32 v28, v84, v3 offset:80
	ds_bpermute_b32 v29, v84, v3 offset:84
	s_waitcnt lgkmcnt(0)
	v_pk_mul_f32 v[24:25], v[24:25], v[28:29]
	s_nop 0
	v_add_f32_e32 v24, v85, v24
	v_add_f32_e32 v26, v24, v25
	ds_bpermute_b32 v24, v84, v3 offset:88
	ds_bpermute_b32 v25, v84, v3 offset:92
	s_waitcnt lgkmcnt(0)
	v_pk_mul_f32 v[20:21], v[20:21], v[24:25]
	s_nop 0
	v_add_f32_e32 v20, v26, v20
	v_add_f32_e32 v22, v20, v21
	;; [unrolled: 7-line block ×6, first 2 shown]
.LBB153_225:                            ;   in Loop: Header=BB153_149 Depth=1
	s_add_u32 s16, s16, s4
	s_addc_u32 s17, s17, 0
	v_mov_b64_e32 v[4:5], s[12:13]
	v_cmp_ge_i64_e32 vcc, s[16:17], v[4:5]
	v_accvgpr_read_b32 v4, a18
	v_accvgpr_read_b32 v5, a19
	v_lshl_add_u64 v[4:5], v[4:5], 0, s[24:25]
	v_accvgpr_write_b32 a19, v5
	v_accvgpr_write_b32 a18, v4
	v_accvgpr_read_b32 v4, a22
	v_accvgpr_read_b32 v5, a23
	v_lshl_add_u64 v[4:5], v[4:5], 0, s[24:25]
	v_accvgpr_write_b32 a23, v5
	v_accvgpr_write_b32 a22, v4
	;; [unrolled: 5-line block ×26, first 2 shown]
	v_accvgpr_read_b32 v4, a68
	v_accvgpr_read_b32 v5, a69
	s_add_u32 s26, s26, s4
	v_lshl_add_u64 v[164:165], v[164:165], 0, s[24:25]
	v_lshl_add_u64 v[166:167], v[166:167], 0, s[24:25]
	;; [unrolled: 1-line block ×101, first 2 shown]
	s_addc_u32 s27, 0, s27
	s_cbranch_vccnz .LBB153_227
; %bb.226:                              ;   in Loop: Header=BB153_149 Depth=1
	v_accvgpr_write_b32 a69, v5
	v_accvgpr_write_b32 a68, v4
	v_mov_b32_e32 v85, v3
	s_branch .LBB153_149
.LBB153_227:
	v_accvgpr_read_b32 v206, a0
.LBB153_228:
	s_mov_b32 s3, 0
	s_lshl_b64 s[2:3], s[2:3], 5
	v_and_b32_e32 v0, 0x3ff, v206
	v_or_b32_e32 v0, s2, v0
	v_mov_b32_e32 v1, s3
	s_waitcnt lgkmcnt(0)
	s_cmp_lg_u64 s[6:7], 0
	v_cmp_gt_i64_e32 vcc, s[14:15], v[0:1]
	s_cselect_b64 s[2:3], -1, 0
	s_and_b64 s[2:3], vcc, s[2:3]
	s_and_saveexec_b64 s[4:5], s[2:3]
	s_cbranch_execz .LBB153_230
; %bb.229:
	s_load_dword s0, s[0:1], 0x4c
	v_bfe_u32 v4, v206, 10, 10
	v_mov_b32_e32 v5, 0
	v_mov_b32_e32 v2, s8
	s_waitcnt lgkmcnt(0)
	s_lshr_b32 s0, s0, 16
	v_mad_u64_u32 v[4:5], s[0:1], s0, v2, v[4:5]
	v_mul_lo_u32 v2, v5, s14
	v_mul_lo_u32 v6, v4, s15
	v_mad_u64_u32 v[4:5], s[0:1], v4, s14, 0
	v_add3_u32 v5, v5, v6, v2
	v_lshl_add_u64 v[4:5], v[4:5], 2, s[6:7]
	v_lshl_add_u64 v[0:1], v[0:1], 2, v[4:5]
	global_store_dword v[0:1], v3, off
.LBB153_230:
	s_endpgm
	.section	.rodata,"a",@progbits
	.p2align	6, 0x0
	.amdhsa_kernel _ZN2at6native12_GLOBAL__N_135GammaBetaBackwardCUDAKernelTemplateIffLj32ELj1ELj32ELb1ELb0ELb1EEEvllPKT_S5_PKT0_S8_PS3_S9_
		.amdhsa_group_segment_fixed_size 0
		.amdhsa_private_segment_fixed_size 0
		.amdhsa_kernarg_size 320
		.amdhsa_user_sgpr_count 2
		.amdhsa_user_sgpr_dispatch_ptr 0
		.amdhsa_user_sgpr_queue_ptr 0
		.amdhsa_user_sgpr_kernarg_segment_ptr 1
		.amdhsa_user_sgpr_dispatch_id 0
		.amdhsa_user_sgpr_kernarg_preload_length 0
		.amdhsa_user_sgpr_kernarg_preload_offset 0
		.amdhsa_user_sgpr_private_segment_size 0
		.amdhsa_uses_dynamic_stack 0
		.amdhsa_enable_private_segment 0
		.amdhsa_system_sgpr_workgroup_id_x 1
		.amdhsa_system_sgpr_workgroup_id_y 1
		.amdhsa_system_sgpr_workgroup_id_z 0
		.amdhsa_system_sgpr_workgroup_info 0
		.amdhsa_system_vgpr_workitem_id 1
		.amdhsa_next_free_vgpr 331
		.amdhsa_next_free_sgpr 38
		.amdhsa_accum_offset 256
		.amdhsa_reserve_vcc 1
		.amdhsa_float_round_mode_32 0
		.amdhsa_float_round_mode_16_64 0
		.amdhsa_float_denorm_mode_32 3
		.amdhsa_float_denorm_mode_16_64 3
		.amdhsa_dx10_clamp 1
		.amdhsa_ieee_mode 1
		.amdhsa_fp16_overflow 0
		.amdhsa_tg_split 0
		.amdhsa_exception_fp_ieee_invalid_op 0
		.amdhsa_exception_fp_denorm_src 0
		.amdhsa_exception_fp_ieee_div_zero 0
		.amdhsa_exception_fp_ieee_overflow 0
		.amdhsa_exception_fp_ieee_underflow 0
		.amdhsa_exception_fp_ieee_inexact 0
		.amdhsa_exception_int_div_zero 0
	.end_amdhsa_kernel
	.section	.text._ZN2at6native12_GLOBAL__N_135GammaBetaBackwardCUDAKernelTemplateIffLj32ELj1ELj32ELb1ELb0ELb1EEEvllPKT_S5_PKT0_S8_PS3_S9_,"axG",@progbits,_ZN2at6native12_GLOBAL__N_135GammaBetaBackwardCUDAKernelTemplateIffLj32ELj1ELj32ELb1ELb0ELb1EEEvllPKT_S5_PKT0_S8_PS3_S9_,comdat
.Lfunc_end153:
	.size	_ZN2at6native12_GLOBAL__N_135GammaBetaBackwardCUDAKernelTemplateIffLj32ELj1ELj32ELb1ELb0ELb1EEEvllPKT_S5_PKT0_S8_PS3_S9_, .Lfunc_end153-_ZN2at6native12_GLOBAL__N_135GammaBetaBackwardCUDAKernelTemplateIffLj32ELj1ELj32ELb1ELb0ELb1EEEvllPKT_S5_PKT0_S8_PS3_S9_
                                        ; -- End function
	.set _ZN2at6native12_GLOBAL__N_135GammaBetaBackwardCUDAKernelTemplateIffLj32ELj1ELj32ELb1ELb0ELb1EEEvllPKT_S5_PKT0_S8_PS3_S9_.num_vgpr, 256
	.set _ZN2at6native12_GLOBAL__N_135GammaBetaBackwardCUDAKernelTemplateIffLj32ELj1ELj32ELb1ELb0ELb1EEEvllPKT_S5_PKT0_S8_PS3_S9_.num_agpr, 75
	.set _ZN2at6native12_GLOBAL__N_135GammaBetaBackwardCUDAKernelTemplateIffLj32ELj1ELj32ELb1ELb0ELb1EEEvllPKT_S5_PKT0_S8_PS3_S9_.numbered_sgpr, 38
	.set _ZN2at6native12_GLOBAL__N_135GammaBetaBackwardCUDAKernelTemplateIffLj32ELj1ELj32ELb1ELb0ELb1EEEvllPKT_S5_PKT0_S8_PS3_S9_.num_named_barrier, 0
	.set _ZN2at6native12_GLOBAL__N_135GammaBetaBackwardCUDAKernelTemplateIffLj32ELj1ELj32ELb1ELb0ELb1EEEvllPKT_S5_PKT0_S8_PS3_S9_.private_seg_size, 0
	.set _ZN2at6native12_GLOBAL__N_135GammaBetaBackwardCUDAKernelTemplateIffLj32ELj1ELj32ELb1ELb0ELb1EEEvllPKT_S5_PKT0_S8_PS3_S9_.uses_vcc, 1
	.set _ZN2at6native12_GLOBAL__N_135GammaBetaBackwardCUDAKernelTemplateIffLj32ELj1ELj32ELb1ELb0ELb1EEEvllPKT_S5_PKT0_S8_PS3_S9_.uses_flat_scratch, 0
	.set _ZN2at6native12_GLOBAL__N_135GammaBetaBackwardCUDAKernelTemplateIffLj32ELj1ELj32ELb1ELb0ELb1EEEvllPKT_S5_PKT0_S8_PS3_S9_.has_dyn_sized_stack, 0
	.set _ZN2at6native12_GLOBAL__N_135GammaBetaBackwardCUDAKernelTemplateIffLj32ELj1ELj32ELb1ELb0ELb1EEEvllPKT_S5_PKT0_S8_PS3_S9_.has_recursion, 0
	.set _ZN2at6native12_GLOBAL__N_135GammaBetaBackwardCUDAKernelTemplateIffLj32ELj1ELj32ELb1ELb0ELb1EEEvllPKT_S5_PKT0_S8_PS3_S9_.has_indirect_call, 0
	.section	.AMDGPU.csdata,"",@progbits
; Kernel info:
; codeLenInByte = 21224
; TotalNumSgprs: 44
; NumVgprs: 256
; NumAgprs: 75
; TotalNumVgprs: 331
; ScratchSize: 0
; MemoryBound: 0
; FloatMode: 240
; IeeeMode: 1
; LDSByteSize: 0 bytes/workgroup (compile time only)
; SGPRBlocks: 5
; VGPRBlocks: 41
; NumSGPRsForWavesPerEU: 44
; NumVGPRsForWavesPerEU: 331
; AccumOffset: 256
; Occupancy: 1
; WaveLimiterHint : 0
; COMPUTE_PGM_RSRC2:SCRATCH_EN: 0
; COMPUTE_PGM_RSRC2:USER_SGPR: 2
; COMPUTE_PGM_RSRC2:TRAP_HANDLER: 0
; COMPUTE_PGM_RSRC2:TGID_X_EN: 1
; COMPUTE_PGM_RSRC2:TGID_Y_EN: 1
; COMPUTE_PGM_RSRC2:TGID_Z_EN: 0
; COMPUTE_PGM_RSRC2:TIDIG_COMP_CNT: 1
; COMPUTE_PGM_RSRC3_GFX90A:ACCUM_OFFSET: 63
; COMPUTE_PGM_RSRC3_GFX90A:TG_SPLIT: 0
	.section	.text._ZN2at6native12_GLOBAL__N_135GammaBetaBackwardCUDAKernelTemplateIffLj32ELj1ELj8ELb1ELb1ELb1EEEvllPKT_S5_PKT0_S8_PS3_S9_,"axG",@progbits,_ZN2at6native12_GLOBAL__N_135GammaBetaBackwardCUDAKernelTemplateIffLj32ELj1ELj8ELb1ELb1ELb1EEEvllPKT_S5_PKT0_S8_PS3_S9_,comdat
	.globl	_ZN2at6native12_GLOBAL__N_135GammaBetaBackwardCUDAKernelTemplateIffLj32ELj1ELj8ELb1ELb1ELb1EEEvllPKT_S5_PKT0_S8_PS3_S9_ ; -- Begin function _ZN2at6native12_GLOBAL__N_135GammaBetaBackwardCUDAKernelTemplateIffLj32ELj1ELj8ELb1ELb1ELb1EEEvllPKT_S5_PKT0_S8_PS3_S9_
	.p2align	8
	.type	_ZN2at6native12_GLOBAL__N_135GammaBetaBackwardCUDAKernelTemplateIffLj32ELj1ELj8ELb1ELb1ELb1EEEvllPKT_S5_PKT0_S8_PS3_S9_,@function
_ZN2at6native12_GLOBAL__N_135GammaBetaBackwardCUDAKernelTemplateIffLj32ELj1ELj8ELb1ELb1ELb1EEEvllPKT_S5_PKT0_S8_PS3_S9_: ; @_ZN2at6native12_GLOBAL__N_135GammaBetaBackwardCUDAKernelTemplateIffLj32ELj1ELj8ELb1ELb1ELb1EEEvllPKT_S5_PKT0_S8_PS3_S9_
; %bb.0:
	s_load_dwordx4 s[8:11], s[0:1], 0x0
	s_load_dwordx2 s[16:17], s[0:1], 0x30
	s_lshl_b32 s18, s3, 3
	s_mov_b32 s19, 0
	v_mov_b64_e32 v[2:3], s[18:19]
	s_waitcnt lgkmcnt(0)
	v_cmp_le_i64_e32 vcc, s[8:9], v[2:3]
	s_mov_b32 s6, s3
	v_mov_b32_e32 v5, 0
	v_bfe_u32 v2, v0, 10, 10
	s_cbranch_vccnz .LBB154_7
; %bb.1:
	s_load_dword s3, s[0:1], 0x4c
	s_load_dword s7, s[0:1], 0x44
	s_load_dwordx4 s[12:15], s[0:1], 0x10
	s_load_dwordx2 s[22:23], s[0:1], 0x28
	v_and_b32_e32 v1, 0x3ff, v0
	s_waitcnt lgkmcnt(0)
	s_and_b32 s3, s3, 0xffff
	v_mad_u32_u24 v3, v2, s3, v1
	v_lshlrev_b32_e32 v4, 3, v2
	v_mov_b32_e32 v5, 0
	v_lshl_or_b32 v10, s2, 5, v1
	v_mbcnt_lo_u32_b32 v1, -1, 0
	v_and_b32_e32 v6, 63, v3
	v_mov_b32_e32 v7, v5
	v_mbcnt_hi_u32_b32 v1, -1, v1
	s_lshl_b32 s20, s7, 3
	v_lshl_add_u64 v[12:13], v[4:5], 0, s[18:19]
	v_cmp_gt_u32_e64 s[4:5], 8, v6
	v_mov_b32_e32 v11, v5
	v_lshlrev_b32_e32 v1, 2, v1
	v_lshl_add_u64 v[6:7], v[12:13], 0, v[6:7]
	v_mul_lo_u32 v4, s11, v12
	v_mul_lo_u32 v20, s10, v13
	v_mad_u64_u32 v[12:13], s[24:25], s10, v12, 0
	s_mul_i32 s3, s11, s20
	s_mul_hi_u32 s7, s10, s20
	v_and_b32_e32 v1, 0x100, v1
	s_mov_b32 s21, s19
	v_add3_u32 v13, v13, v20, v4
	v_lshlrev_b64 v[10:11], 2, v[10:11]
	s_add_i32 s25, s7, s3
	s_mul_i32 s24, s10, s20
	v_or_b32_e32 v3, 4, v1
	v_or_b32_e32 v14, 8, v1
	;; [unrolled: 1-line block ×7, first 2 shown]
	v_lshl_add_u64 v[8:9], v[6:7], 2, s[22:23]
	s_lshl_b64 s[22:23], s[20:21], 2
	v_lshl_add_u64 v[10:11], v[12:13], 2, v[10:11]
	s_lshl_b64 s[24:25], s[24:25], 2
	s_lshl_b64 s[26:27], s[10:11], 2
	v_mov_b64_e32 v[12:13], s[8:9]
	s_branch .LBB154_4
.LBB154_2:                              ;   in Loop: Header=BB154_4 Depth=1
	s_or_b64 exec, exec, s[30:31]
.LBB154_3:                              ;   in Loop: Header=BB154_4 Depth=1
	s_or_b64 exec, exec, s[28:29]
	v_lshl_add_u64 v[20:21], s[12:13], 0, v[10:11]
	global_load_dword v22, v[20:21], off
	v_lshl_add_u64 v[24:25], s[14:15], 0, v[10:11]
	v_lshl_add_u64 v[20:21], v[20:21], 0, s[26:27]
	global_load_dword v26, v[24:25], off
	global_load_dword v23, v[20:21], off
	v_lshl_add_u64 v[24:25], v[24:25], 0, s[26:27]
	v_lshl_add_u64 v[20:21], v[20:21], 0, s[26:27]
	global_load_dword v27, v[24:25], off
	;; [unrolled: 4-line block ×7, first 2 shown]
	v_lshl_add_u64 v[20:21], v[24:25], 0, s[26:27]
	global_load_dword v38, v[24:25], off
	global_load_dword v39, v[20:21], off
	s_waitcnt vmcnt(16)
	ds_bpermute_b32 v20, v1, v4
	ds_bpermute_b32 v21, v3, v4
	ds_bpermute_b32 v24, v14, v4
	ds_bpermute_b32 v25, v15, v4
	ds_bpermute_b32 v40, v16, v4
	ds_bpermute_b32 v41, v17, v4
	ds_bpermute_b32 v42, v18, v4
	ds_bpermute_b32 v43, v19, v4
	s_add_u32 s18, s18, s20
	s_addc_u32 s19, s19, 0
	v_cmp_lt_i64_e32 vcc, s[18:19], v[12:13]
	v_lshl_add_u64 v[8:9], v[8:9], 0, s[22:23]
	v_lshl_add_u64 v[6:7], v[6:7], 0, s[20:21]
	;; [unrolled: 1-line block ×3, first 2 shown]
	s_and_b64 vcc, exec, vcc
	s_waitcnt vmcnt(12)
	v_pk_mul_f32 v[22:23], v[22:23], v[26:27]
	s_waitcnt lgkmcnt(6)
	v_pk_mul_f32 v[20:21], v[22:23], v[20:21]
	s_nop 0
	v_add_f32_e32 v20, v5, v20
	v_add_f32_e32 v20, v20, v21
	s_waitcnt vmcnt(8)
	v_pk_mul_f32 v[4:5], v[28:29], v[30:31]
	s_waitcnt lgkmcnt(4)
	v_pk_mul_f32 v[4:5], v[4:5], v[24:25]
	s_nop 0
	v_add_f32_e32 v4, v20, v4
	v_add_f32_e32 v22, v4, v5
	s_waitcnt vmcnt(4)
	v_pk_mul_f32 v[20:21], v[32:33], v[34:35]
	s_waitcnt lgkmcnt(2)
	v_pk_mul_f32 v[4:5], v[20:21], v[40:41]
	s_waitcnt vmcnt(0)
	v_pk_mul_f32 v[20:21], v[36:37], v[38:39]
	v_add_f32_e32 v4, v22, v4
	v_add_f32_e32 v22, v4, v5
	s_waitcnt lgkmcnt(0)
	v_pk_mul_f32 v[4:5], v[20:21], v[42:43]
	s_nop 0
	v_add_f32_e32 v4, v22, v4
	v_add_f32_e32 v5, v4, v5
	s_cbranch_vccz .LBB154_7
.LBB154_4:                              ; =>This Inner Loop Header: Depth=1
	v_mov_b32_e32 v4, 0
	s_and_saveexec_b64 s[28:29], s[4:5]
	s_cbranch_execz .LBB154_3
; %bb.5:                                ;   in Loop: Header=BB154_4 Depth=1
	v_cmp_gt_i64_e32 vcc, s[8:9], v[6:7]
	v_mov_b32_e32 v4, 0
	s_and_saveexec_b64 s[30:31], vcc
	s_cbranch_execz .LBB154_2
; %bb.6:                                ;   in Loop: Header=BB154_4 Depth=1
	global_load_dword v4, v[8:9], off
	s_branch .LBB154_2
.LBB154_7:
	s_cmp_eq_u64 s[16:17], 0
	s_cbranch_scc1 .LBB154_9
; %bb.8:
	s_load_dword s0, s[0:1], 0x4c
	v_mov_b32_e32 v3, 0
	v_mov_b32_e32 v1, s6
	s_mov_b32 s3, 0
	v_and_b32_e32 v0, 0x3ff, v0
	s_waitcnt lgkmcnt(0)
	s_lshr_b32 s0, s0, 16
	v_mad_u64_u32 v[6:7], s[0:1], s0, v1, v[2:3]
	v_mul_lo_u32 v1, v7, s10
	v_mul_lo_u32 v2, v6, s11
	v_mad_u64_u32 v[6:7], s[0:1], v6, s10, 0
	v_add3_u32 v7, v7, v2, v1
	v_lshl_add_u64 v[6:7], v[6:7], 2, s[16:17]
	s_lshl_b64 s[0:1], s[2:3], 7
	v_lshl_add_u64 v[6:7], v[6:7], 0, s[0:1]
	v_lshlrev_b32_e32 v2, 2, v0
	v_lshl_add_u64 v[0:1], v[6:7], 0, v[2:3]
	global_store_dword v[0:1], v5, off
.LBB154_9:
	s_endpgm
	.section	.rodata,"a",@progbits
	.p2align	6, 0x0
	.amdhsa_kernel _ZN2at6native12_GLOBAL__N_135GammaBetaBackwardCUDAKernelTemplateIffLj32ELj1ELj8ELb1ELb1ELb1EEEvllPKT_S5_PKT0_S8_PS3_S9_
		.amdhsa_group_segment_fixed_size 0
		.amdhsa_private_segment_fixed_size 0
		.amdhsa_kernarg_size 320
		.amdhsa_user_sgpr_count 2
		.amdhsa_user_sgpr_dispatch_ptr 0
		.amdhsa_user_sgpr_queue_ptr 0
		.amdhsa_user_sgpr_kernarg_segment_ptr 1
		.amdhsa_user_sgpr_dispatch_id 0
		.amdhsa_user_sgpr_kernarg_preload_length 0
		.amdhsa_user_sgpr_kernarg_preload_offset 0
		.amdhsa_user_sgpr_private_segment_size 0
		.amdhsa_uses_dynamic_stack 0
		.amdhsa_enable_private_segment 0
		.amdhsa_system_sgpr_workgroup_id_x 1
		.amdhsa_system_sgpr_workgroup_id_y 1
		.amdhsa_system_sgpr_workgroup_id_z 0
		.amdhsa_system_sgpr_workgroup_info 0
		.amdhsa_system_vgpr_workitem_id 1
		.amdhsa_next_free_vgpr 44
		.amdhsa_next_free_sgpr 32
		.amdhsa_accum_offset 44
		.amdhsa_reserve_vcc 1
		.amdhsa_float_round_mode_32 0
		.amdhsa_float_round_mode_16_64 0
		.amdhsa_float_denorm_mode_32 3
		.amdhsa_float_denorm_mode_16_64 3
		.amdhsa_dx10_clamp 1
		.amdhsa_ieee_mode 1
		.amdhsa_fp16_overflow 0
		.amdhsa_tg_split 0
		.amdhsa_exception_fp_ieee_invalid_op 0
		.amdhsa_exception_fp_denorm_src 0
		.amdhsa_exception_fp_ieee_div_zero 0
		.amdhsa_exception_fp_ieee_overflow 0
		.amdhsa_exception_fp_ieee_underflow 0
		.amdhsa_exception_fp_ieee_inexact 0
		.amdhsa_exception_int_div_zero 0
	.end_amdhsa_kernel
	.section	.text._ZN2at6native12_GLOBAL__N_135GammaBetaBackwardCUDAKernelTemplateIffLj32ELj1ELj8ELb1ELb1ELb1EEEvllPKT_S5_PKT0_S8_PS3_S9_,"axG",@progbits,_ZN2at6native12_GLOBAL__N_135GammaBetaBackwardCUDAKernelTemplateIffLj32ELj1ELj8ELb1ELb1ELb1EEEvllPKT_S5_PKT0_S8_PS3_S9_,comdat
.Lfunc_end154:
	.size	_ZN2at6native12_GLOBAL__N_135GammaBetaBackwardCUDAKernelTemplateIffLj32ELj1ELj8ELb1ELb1ELb1EEEvllPKT_S5_PKT0_S8_PS3_S9_, .Lfunc_end154-_ZN2at6native12_GLOBAL__N_135GammaBetaBackwardCUDAKernelTemplateIffLj32ELj1ELj8ELb1ELb1ELb1EEEvllPKT_S5_PKT0_S8_PS3_S9_
                                        ; -- End function
	.set _ZN2at6native12_GLOBAL__N_135GammaBetaBackwardCUDAKernelTemplateIffLj32ELj1ELj8ELb1ELb1ELb1EEEvllPKT_S5_PKT0_S8_PS3_S9_.num_vgpr, 44
	.set _ZN2at6native12_GLOBAL__N_135GammaBetaBackwardCUDAKernelTemplateIffLj32ELj1ELj8ELb1ELb1ELb1EEEvllPKT_S5_PKT0_S8_PS3_S9_.num_agpr, 0
	.set _ZN2at6native12_GLOBAL__N_135GammaBetaBackwardCUDAKernelTemplateIffLj32ELj1ELj8ELb1ELb1ELb1EEEvllPKT_S5_PKT0_S8_PS3_S9_.numbered_sgpr, 32
	.set _ZN2at6native12_GLOBAL__N_135GammaBetaBackwardCUDAKernelTemplateIffLj32ELj1ELj8ELb1ELb1ELb1EEEvllPKT_S5_PKT0_S8_PS3_S9_.num_named_barrier, 0
	.set _ZN2at6native12_GLOBAL__N_135GammaBetaBackwardCUDAKernelTemplateIffLj32ELj1ELj8ELb1ELb1ELb1EEEvllPKT_S5_PKT0_S8_PS3_S9_.private_seg_size, 0
	.set _ZN2at6native12_GLOBAL__N_135GammaBetaBackwardCUDAKernelTemplateIffLj32ELj1ELj8ELb1ELb1ELb1EEEvllPKT_S5_PKT0_S8_PS3_S9_.uses_vcc, 1
	.set _ZN2at6native12_GLOBAL__N_135GammaBetaBackwardCUDAKernelTemplateIffLj32ELj1ELj8ELb1ELb1ELb1EEEvllPKT_S5_PKT0_S8_PS3_S9_.uses_flat_scratch, 0
	.set _ZN2at6native12_GLOBAL__N_135GammaBetaBackwardCUDAKernelTemplateIffLj32ELj1ELj8ELb1ELb1ELb1EEEvllPKT_S5_PKT0_S8_PS3_S9_.has_dyn_sized_stack, 0
	.set _ZN2at6native12_GLOBAL__N_135GammaBetaBackwardCUDAKernelTemplateIffLj32ELj1ELj8ELb1ELb1ELb1EEEvllPKT_S5_PKT0_S8_PS3_S9_.has_recursion, 0
	.set _ZN2at6native12_GLOBAL__N_135GammaBetaBackwardCUDAKernelTemplateIffLj32ELj1ELj8ELb1ELb1ELb1EEEvllPKT_S5_PKT0_S8_PS3_S9_.has_indirect_call, 0
	.section	.AMDGPU.csdata,"",@progbits
; Kernel info:
; codeLenInByte = 1008
; TotalNumSgprs: 38
; NumVgprs: 44
; NumAgprs: 0
; TotalNumVgprs: 44
; ScratchSize: 0
; MemoryBound: 0
; FloatMode: 240
; IeeeMode: 1
; LDSByteSize: 0 bytes/workgroup (compile time only)
; SGPRBlocks: 4
; VGPRBlocks: 5
; NumSGPRsForWavesPerEU: 38
; NumVGPRsForWavesPerEU: 44
; AccumOffset: 44
; Occupancy: 8
; WaveLimiterHint : 0
; COMPUTE_PGM_RSRC2:SCRATCH_EN: 0
; COMPUTE_PGM_RSRC2:USER_SGPR: 2
; COMPUTE_PGM_RSRC2:TRAP_HANDLER: 0
; COMPUTE_PGM_RSRC2:TGID_X_EN: 1
; COMPUTE_PGM_RSRC2:TGID_Y_EN: 1
; COMPUTE_PGM_RSRC2:TGID_Z_EN: 0
; COMPUTE_PGM_RSRC2:TIDIG_COMP_CNT: 1
; COMPUTE_PGM_RSRC3_GFX90A:ACCUM_OFFSET: 10
; COMPUTE_PGM_RSRC3_GFX90A:TG_SPLIT: 0
	.section	.text._ZN2at6native12_GLOBAL__N_135GammaBetaBackwardCUDAKernelTemplateIffLj32ELj1ELj8ELb1ELb0ELb1EEEvllPKT_S5_PKT0_S8_PS3_S9_,"axG",@progbits,_ZN2at6native12_GLOBAL__N_135GammaBetaBackwardCUDAKernelTemplateIffLj32ELj1ELj8ELb1ELb0ELb1EEEvllPKT_S5_PKT0_S8_PS3_S9_,comdat
	.globl	_ZN2at6native12_GLOBAL__N_135GammaBetaBackwardCUDAKernelTemplateIffLj32ELj1ELj8ELb1ELb0ELb1EEEvllPKT_S5_PKT0_S8_PS3_S9_ ; -- Begin function _ZN2at6native12_GLOBAL__N_135GammaBetaBackwardCUDAKernelTemplateIffLj32ELj1ELj8ELb1ELb0ELb1EEEvllPKT_S5_PKT0_S8_PS3_S9_
	.p2align	8
	.type	_ZN2at6native12_GLOBAL__N_135GammaBetaBackwardCUDAKernelTemplateIffLj32ELj1ELj8ELb1ELb0ELb1EEEvllPKT_S5_PKT0_S8_PS3_S9_,@function
_ZN2at6native12_GLOBAL__N_135GammaBetaBackwardCUDAKernelTemplateIffLj32ELj1ELj8ELb1ELb0ELb1EEEvllPKT_S5_PKT0_S8_PS3_S9_: ; @_ZN2at6native12_GLOBAL__N_135GammaBetaBackwardCUDAKernelTemplateIffLj32ELj1ELj8ELb1ELb0ELb1EEEvllPKT_S5_PKT0_S8_PS3_S9_
; %bb.0:
	s_load_dwordx8 s[12:19], s[0:1], 0x0
	s_load_dwordx2 s[10:11], s[0:1], 0x28
	s_mov_b32 s8, s3
	s_lshl_b32 s3, s2, 5
	s_mov_b32 s21, 0
	s_lshl_b32 s20, s8, 3
	s_or_b32 s4, s3, 31
	v_mov_b64_e32 v[4:5], s[20:21]
	v_mov_b32_e32 v2, s4
	v_mov_b32_e32 v3, 0
	s_waitcnt lgkmcnt(0)
	v_cmp_gt_i64_e64 s[4:5], s[12:13], v[4:5]
	v_cmp_le_i64_e32 vcc, s[14:15], v[2:3]
	s_nop 0
	v_cndmask_b32_e64 v1, 0, 1, s[4:5]
	v_cmp_ne_u32_e64 s[4:5], 1, v1
	s_cbranch_vccz .LBB155_49
; %bb.1:
	s_and_b64 vcc, exec, s[4:5]
	s_cbranch_vccnz .LBB155_50
; %bb.2:
	v_and_b32_e32 v1, 0x3ff, v0
	v_mov_b32_e32 v2, 0
	v_bfe_u32 v58, v0, 10, 10
	v_add_u32_e32 v4, s3, v1
	v_mov_b32_e32 v5, v2
	v_lshlrev_b32_e32 v20, 3, v58
	v_mov_b32_e32 v21, v2
	v_cmp_gt_i64_e64 s[6:7], s[14:15], v[4:5]
	v_lshlrev_b64 v[22:23], 2, v[4:5]
	v_lshl_add_u64 v[4:5], v[20:21], 0, s[20:21]
	v_mul_lo_u32 v3, s15, v4
	v_mul_lo_u32 v8, s14, v5
	v_mad_u64_u32 v[6:7], s[26:27], s14, v4, 0
	v_add3_u32 v7, v7, v8, v3
	v_lshlrev_b64 v[6:7], 2, v[6:7]
	v_lshl_add_u64 v[24:25], s[16:17], 0, v[6:7]
	v_lshl_add_u64 v[26:27], s[18:19], 0, v[6:7]
	v_lshl_add_u64 v[6:7], v[4:5], 0, 7
	v_mul_lo_u32 v9, s15, v6
	v_mul_lo_u32 v10, s14, v7
	v_mad_u64_u32 v[6:7], s[30:31], s14, v6, 0
	v_add3_u32 v7, v7, v10, v9
	v_lshlrev_b64 v[6:7], 2, v[6:7]
	v_lshl_add_u64 v[28:29], s[16:17], 0, v[6:7]
	v_lshl_add_u64 v[30:31], s[18:19], 0, v[6:7]
	;; [unrolled: 8-line block ×6, first 2 shown]
	v_lshl_add_u64 v[6:7], v[4:5], 0, 2
	s_load_dword s9, s[0:1], 0x44
	v_mul_lo_u32 v5, s15, v6
	v_mul_lo_u32 v9, s14, v7
	v_mad_u64_u32 v[6:7], s[30:31], s14, v6, 0
	v_add3_u32 v7, v7, v9, v5
	v_lshlrev_b64 v[6:7], 2, v[6:7]
	v_lshl_add_u64 v[48:49], s[16:17], 0, v[6:7]
	v_lshl_add_u64 v[50:51], s[18:19], 0, v[6:7]
	v_mov_b64_e32 v[6:7], s[14:15]
	s_add_u32 s24, s0, 64
	v_mad_u64_u32 v[4:5], s[30:31], s14, v4, v[6:7]
	s_addc_u32 s25, s1, 0
	s_waitcnt lgkmcnt(0)
	s_lshl_b32 s22, s9, 3
	v_add3_u32 v5, v3, v5, v8
	v_mbcnt_lo_u32_b32 v3, -1, 0
	s_mul_i32 s9, s15, s22
	s_mul_hi_u32 s26, s14, s22
	v_mbcnt_hi_u32_b32 v3, -1, v3
	s_add_i32 s27, s26, s9
	s_mul_i32 s26, s14, s22
	v_lshlrev_b64 v[4:5], 2, v[4:5]
	v_lshlrev_b32_e32 v3, 2, v3
	s_mov_b32 s23, 0
	s_lshl_b64 s[26:27], s[26:27], 2
	s_mov_b64 s[28:29], 7
	v_lshl_add_u64 v[52:53], s[16:17], 0, v[4:5]
	v_lshl_add_u64 v[54:55], s[18:19], 0, v[4:5]
	v_and_b32_e32 v59, 0x100, v3
	s_mov_b64 s[30:31], s[20:21]
	v_mov_b32_e32 v60, 0
.LBB155_3:                              ; =>This Inner Loop Header: Depth=1
	s_add_u32 s34, s20, s28
	s_addc_u32 s35, 0, s29
	v_mov_b64_e32 v[4:5], s[12:13]
	v_cmp_ge_i64_e32 vcc, s[34:35], v[4:5]
	v_lshl_add_u64 v[56:57], s[20:21], 0, v[20:21]
	s_mov_b64 s[34:35], -1
	s_and_b64 vcc, exec, vcc
                                        ; implicit-def: $vgpr4_vgpr5_vgpr6_vgpr7_vgpr8_vgpr9_vgpr10_vgpr11
                                        ; implicit-def: $vgpr3
                                        ; implicit-def: $vgpr12_vgpr13_vgpr14_vgpr15_vgpr16_vgpr17_vgpr18_vgpr19
                                        ; implicit-def: $vgpr4
	s_cbranch_vccz .LBB155_25
; %bb.4:                                ;   in Loop: Header=BB155_3 Depth=1
	s_load_dword s9, s[24:25], 0xc
	v_mov_b32_e32 v61, 0
	s_waitcnt lgkmcnt(0)
	s_and_b32 s9, s9, 0xffff
	v_mad_u32_u24 v3, v58, s9, v1
	v_and_b32_e32 v4, 63, v3
	v_cmp_gt_u32_e32 vcc, 8, v4
	s_and_saveexec_b64 s[34:35], vcc
	s_cbranch_execz .LBB155_8
; %bb.5:                                ;   in Loop: Header=BB155_3 Depth=1
	v_mov_b32_e32 v5, v2
	v_lshl_add_u64 v[4:5], v[56:57], 0, v[4:5]
	v_cmp_gt_i64_e32 vcc, s[12:13], v[4:5]
	v_mov_b32_e32 v61, 0
	s_and_saveexec_b64 s[36:37], vcc
	s_cbranch_execz .LBB155_7
; %bb.6:                                ;   in Loop: Header=BB155_3 Depth=1
	v_lshl_add_u64 v[4:5], v[4:5], 2, s[10:11]
	global_load_dword v61, v[4:5], off
.LBB155_7:                              ;   in Loop: Header=BB155_3 Depth=1
	s_or_b64 exec, exec, s[36:37]
.LBB155_8:                              ;   in Loop: Header=BB155_3 Depth=1
	s_or_b64 exec, exec, s[34:35]
	v_mov_b32_e32 v8, v2
	v_mov_b32_e32 v9, v2
	;; [unrolled: 1-line block ×7, first 2 shown]
	v_mov_b64_e32 v[18:19], v[8:9]
	v_cmp_gt_i64_e32 vcc, s[12:13], v[56:57]
	v_mov_b64_e32 v[16:17], v[6:7]
	v_mov_b64_e32 v[14:15], v[4:5]
	;; [unrolled: 1-line block ×4, first 2 shown]
	s_and_b64 s[36:37], s[6:7], vcc
	v_mov_b64_e32 v[8:9], v[6:7]
	v_mov_b64_e32 v[6:7], v[4:5]
	;; [unrolled: 1-line block ×3, first 2 shown]
	s_and_saveexec_b64 s[34:35], s[36:37]
	s_cbranch_execz .LBB155_10
; %bb.9:                                ;   in Loop: Header=BB155_3 Depth=1
	v_lshl_add_u64 v[4:5], v[24:25], 0, v[22:23]
	v_lshl_add_u64 v[6:7], v[26:27], 0, v[22:23]
	global_load_dword v4, v[4:5], off
	v_mov_b32_e32 v5, v2
	global_load_dword v12, v[6:7], off
	v_mov_b32_e32 v6, v2
	v_mov_b32_e32 v7, v2
	;; [unrolled: 1-line block ×13, first 2 shown]
.LBB155_10:                             ;   in Loop: Header=BB155_3 Depth=1
	s_or_b64 exec, exec, s[34:35]
	v_lshl_add_u64 v[62:63], v[56:57], 0, 1
	v_cmp_gt_i64_e32 vcc, s[12:13], v[62:63]
	s_and_b64 s[36:37], s[6:7], vcc
	s_and_saveexec_b64 s[34:35], s[36:37]
	s_cbranch_execz .LBB155_12
; %bb.11:                               ;   in Loop: Header=BB155_3 Depth=1
	v_lshl_add_u64 v[62:63], v[52:53], 0, v[22:23]
	global_load_dword v5, v[62:63], off
	v_lshl_add_u64 v[62:63], v[54:55], 0, v[22:23]
	global_load_dword v13, v[62:63], off
.LBB155_12:                             ;   in Loop: Header=BB155_3 Depth=1
	s_or_b64 exec, exec, s[34:35]
	v_lshl_add_u64 v[62:63], v[56:57], 0, 2
	v_cmp_gt_i64_e32 vcc, s[12:13], v[62:63]
	s_and_b64 s[36:37], s[6:7], vcc
	s_and_saveexec_b64 s[34:35], s[36:37]
	s_cbranch_execz .LBB155_14
; %bb.13:                               ;   in Loop: Header=BB155_3 Depth=1
	v_lshl_add_u64 v[62:63], v[48:49], 0, v[22:23]
	global_load_dword v6, v[62:63], off
	v_lshl_add_u64 v[62:63], v[50:51], 0, v[22:23]
	global_load_dword v14, v[62:63], off
.LBB155_14:                             ;   in Loop: Header=BB155_3 Depth=1
	;; [unrolled: 12-line block ×7, first 2 shown]
	s_or_b64 exec, exec, s[34:35]
	s_waitcnt vmcnt(0)
	ds_bpermute_b32 v3, v59, v61
	ds_bpermute_b32 v62, v59, v61 offset:4
	ds_bpermute_b32 v63, v59, v61 offset:8
	v_mul_f32_e32 v4, v12, v4
	v_pk_mul_f32 v[8:9], v[16:17], v[8:9]
	s_waitcnt lgkmcnt(2)
	v_fma_f32 v16, v4, v3, v60
	v_pk_mul_f32 v[6:7], v[14:15], v[6:7]
	v_mul_f32_e32 v3, v13, v5
	ds_bpermute_b32 v14, v59, v61 offset:12
	ds_bpermute_b32 v15, v59, v61 offset:16
	v_pk_mov_b32 v[12:13], v[2:3], v[6:7] op_sel:[1,0]
	v_pk_mov_b32 v[6:7], v[6:7], v[8:9] op_sel:[1,0]
	s_waitcnt lgkmcnt(2)
	v_pk_mul_f32 v[12:13], v[12:13], v[62:63]
	v_mul_f32_e32 v4, v18, v10
	v_add_f32_e32 v3, v16, v12
	v_add_f32_e32 v3, v3, v13
	ds_bpermute_b32 v12, v59, v61 offset:20
	ds_bpermute_b32 v13, v59, v61 offset:24
	s_waitcnt lgkmcnt(2)
	v_pk_mul_f32 v[6:7], v[6:7], v[14:15]
	s_mov_b64 s[34:35], 0
	v_add_f32_e32 v3, v3, v6
	v_add_f32_e32 v3, v3, v7
	v_pk_mov_b32 v[6:7], v[8:9], v[4:5] op_sel:[1,0]
	ds_bpermute_b32 v4, v59, v61 offset:28
	s_waitcnt lgkmcnt(1)
	v_pk_mul_f32 v[6:7], v[6:7], v[12:13]
	s_nop 0
	v_add_f32_e32 v3, v3, v6
	v_add_f32_e32 v3, v3, v7
.LBB155_25:                             ;   in Loop: Header=BB155_3 Depth=1
	s_and_b64 vcc, exec, s[34:35]
	s_cbranch_vccz .LBB155_40
; %bb.26:                               ;   in Loop: Header=BB155_3 Depth=1
	s_load_dword s9, s[24:25], 0x0
	v_mov_b32_e32 v61, 0
	s_waitcnt lgkmcnt(0)
	s_cmp_lt_u32 s2, s9
	s_cselect_b32 s9, 12, 18
	s_add_u32 s34, s24, s9
	s_addc_u32 s35, s25, 0
	global_load_ushort v3, v2, s[34:35]
	s_waitcnt vmcnt(0)
	v_mad_u32_u24 v3, v58, v3, v1
	v_and_b32_e32 v4, 63, v3
	v_cmp_gt_u32_e32 vcc, 8, v4
	s_and_saveexec_b64 s[34:35], vcc
	s_cbranch_execz .LBB155_30
; %bb.27:                               ;   in Loop: Header=BB155_3 Depth=1
	v_mov_b32_e32 v5, v2
	v_lshl_add_u64 v[4:5], v[56:57], 0, v[4:5]
	v_cmp_gt_i64_e32 vcc, s[12:13], v[4:5]
	v_mov_b32_e32 v61, 0
	s_and_saveexec_b64 s[36:37], vcc
	s_cbranch_execz .LBB155_29
; %bb.28:                               ;   in Loop: Header=BB155_3 Depth=1
	v_lshl_add_u64 v[4:5], v[4:5], 2, s[10:11]
	global_load_dword v61, v[4:5], off
.LBB155_29:                             ;   in Loop: Header=BB155_3 Depth=1
	s_or_b64 exec, exec, s[36:37]
.LBB155_30:                             ;   in Loop: Header=BB155_3 Depth=1
	s_or_b64 exec, exec, s[34:35]
	v_mov_b32_e32 v8, v2
	v_mov_b32_e32 v9, v2
	;; [unrolled: 1-line block ×7, first 2 shown]
	v_mov_b64_e32 v[18:19], v[8:9]
	v_mov_b64_e32 v[16:17], v[6:7]
	;; [unrolled: 1-line block ×8, first 2 shown]
	s_and_saveexec_b64 s[34:35], s[6:7]
	s_cbranch_execnz .LBB155_42
; %bb.31:                               ;   in Loop: Header=BB155_3 Depth=1
	s_or_b64 exec, exec, s[34:35]
	s_and_saveexec_b64 s[34:35], s[6:7]
	s_cbranch_execnz .LBB155_43
.LBB155_32:                             ;   in Loop: Header=BB155_3 Depth=1
	s_or_b64 exec, exec, s[34:35]
	s_and_saveexec_b64 s[34:35], s[6:7]
	s_cbranch_execnz .LBB155_44
.LBB155_33:                             ;   in Loop: Header=BB155_3 Depth=1
	s_or_b64 exec, exec, s[34:35]
	s_and_saveexec_b64 s[34:35], s[6:7]
	s_cbranch_execnz .LBB155_45
.LBB155_34:                             ;   in Loop: Header=BB155_3 Depth=1
	s_or_b64 exec, exec, s[34:35]
	s_and_saveexec_b64 s[34:35], s[6:7]
	s_cbranch_execnz .LBB155_46
.LBB155_35:                             ;   in Loop: Header=BB155_3 Depth=1
	s_or_b64 exec, exec, s[34:35]
	s_and_saveexec_b64 s[34:35], s[6:7]
	s_cbranch_execnz .LBB155_47
.LBB155_36:                             ;   in Loop: Header=BB155_3 Depth=1
	s_or_b64 exec, exec, s[34:35]
	s_and_saveexec_b64 s[34:35], s[6:7]
	s_cbranch_execnz .LBB155_48
.LBB155_37:                             ;   in Loop: Header=BB155_3 Depth=1
	s_or_b64 exec, exec, s[34:35]
	s_and_saveexec_b64 s[34:35], s[6:7]
	s_cbranch_execz .LBB155_39
.LBB155_38:                             ;   in Loop: Header=BB155_3 Depth=1
	v_lshl_add_u64 v[56:57], v[28:29], 0, v[22:23]
	global_load_dword v11, v[56:57], off
	v_lshl_add_u64 v[56:57], v[30:31], 0, v[22:23]
	global_load_dword v19, v[56:57], off
.LBB155_39:                             ;   in Loop: Header=BB155_3 Depth=1
	s_or_b64 exec, exec, s[34:35]
	s_waitcnt vmcnt(0)
	ds_bpermute_b32 v3, v59, v61
	ds_bpermute_b32 v56, v59, v61 offset:4
	ds_bpermute_b32 v57, v59, v61 offset:8
	v_mul_f32_e32 v4, v12, v4
	v_pk_mul_f32 v[6:7], v[14:15], v[6:7]
	s_waitcnt lgkmcnt(2)
	v_fmac_f32_e32 v60, v4, v3
	v_mul_f32_e32 v3, v13, v5
	v_pk_mov_b32 v[4:5], v[2:3], v[6:7] op_sel:[1,0]
	ds_bpermute_b32 v12, v59, v61 offset:12
	ds_bpermute_b32 v13, v59, v61 offset:16
	s_waitcnt lgkmcnt(2)
	v_pk_mul_f32 v[4:5], v[4:5], v[56:57]
	v_pk_mul_f32 v[8:9], v[16:17], v[8:9]
	v_add_f32_e32 v3, v60, v4
	v_add_f32_e32 v3, v3, v5
	v_pk_mov_b32 v[4:5], v[6:7], v[8:9] op_sel:[1,0]
	ds_bpermute_b32 v6, v59, v61 offset:20
	ds_bpermute_b32 v7, v59, v61 offset:24
	s_waitcnt lgkmcnt(2)
	v_pk_mul_f32 v[4:5], v[4:5], v[12:13]
	v_mul_f32_e32 v10, v18, v10
	v_add_f32_e32 v3, v3, v4
	ds_bpermute_b32 v4, v59, v61 offset:28
	v_pk_mov_b32 v[8:9], v[8:9], v[10:11] op_sel:[1,0]
	v_add_f32_e32 v3, v3, v5
	s_waitcnt lgkmcnt(1)
	v_pk_mul_f32 v[6:7], v[8:9], v[6:7]
	s_nop 0
	v_add_f32_e32 v3, v3, v6
	v_add_f32_e32 v3, v3, v7
.LBB155_40:                             ;   in Loop: Header=BB155_3 Depth=1
	v_mul_f32_e32 v5, v11, v19
	s_add_u32 s30, s30, s22
	s_waitcnt lgkmcnt(0)
	v_fmac_f32_e32 v3, v5, v4
	s_addc_u32 s31, s31, 0
	v_mov_b64_e32 v[4:5], s[12:13]
	s_add_u32 s28, s28, s22
	v_cmp_lt_i64_e32 vcc, s[30:31], v[4:5]
	v_lshl_add_u64 v[24:25], v[24:25], 0, s[26:27]
	v_lshl_add_u64 v[26:27], v[26:27], 0, s[26:27]
	;; [unrolled: 1-line block ×17, first 2 shown]
	s_addc_u32 s29, 0, s29
	s_cbranch_vccz .LBB155_50
; %bb.41:                               ;   in Loop: Header=BB155_3 Depth=1
	v_mov_b32_e32 v60, v3
	s_branch .LBB155_3
.LBB155_42:                             ;   in Loop: Header=BB155_3 Depth=1
	v_lshl_add_u64 v[4:5], v[24:25], 0, v[22:23]
	v_lshl_add_u64 v[6:7], v[26:27], 0, v[22:23]
	global_load_dword v4, v[4:5], off
	v_mov_b32_e32 v5, v2
	global_load_dword v12, v[6:7], off
	v_mov_b32_e32 v6, v2
	v_mov_b32_e32 v7, v2
	;; [unrolled: 1-line block ×13, first 2 shown]
	s_or_b64 exec, exec, s[34:35]
	s_and_saveexec_b64 s[34:35], s[6:7]
	s_cbranch_execz .LBB155_32
.LBB155_43:                             ;   in Loop: Header=BB155_3 Depth=1
	v_lshl_add_u64 v[56:57], v[52:53], 0, v[22:23]
	global_load_dword v5, v[56:57], off
	v_lshl_add_u64 v[56:57], v[54:55], 0, v[22:23]
	global_load_dword v13, v[56:57], off
	s_or_b64 exec, exec, s[34:35]
	s_and_saveexec_b64 s[34:35], s[6:7]
	s_cbranch_execz .LBB155_33
.LBB155_44:                             ;   in Loop: Header=BB155_3 Depth=1
	v_lshl_add_u64 v[56:57], v[48:49], 0, v[22:23]
	global_load_dword v6, v[56:57], off
	v_lshl_add_u64 v[56:57], v[50:51], 0, v[22:23]
	global_load_dword v14, v[56:57], off
	s_or_b64 exec, exec, s[34:35]
	s_and_saveexec_b64 s[34:35], s[6:7]
	s_cbranch_execz .LBB155_34
.LBB155_45:                             ;   in Loop: Header=BB155_3 Depth=1
	v_lshl_add_u64 v[56:57], v[44:45], 0, v[22:23]
	global_load_dword v7, v[56:57], off
	v_lshl_add_u64 v[56:57], v[46:47], 0, v[22:23]
	global_load_dword v15, v[56:57], off
	s_or_b64 exec, exec, s[34:35]
	s_and_saveexec_b64 s[34:35], s[6:7]
	s_cbranch_execz .LBB155_35
.LBB155_46:                             ;   in Loop: Header=BB155_3 Depth=1
	v_lshl_add_u64 v[56:57], v[40:41], 0, v[22:23]
	global_load_dword v8, v[56:57], off
	v_lshl_add_u64 v[56:57], v[42:43], 0, v[22:23]
	global_load_dword v16, v[56:57], off
	s_or_b64 exec, exec, s[34:35]
	s_and_saveexec_b64 s[34:35], s[6:7]
	s_cbranch_execz .LBB155_36
.LBB155_47:                             ;   in Loop: Header=BB155_3 Depth=1
	v_lshl_add_u64 v[56:57], v[36:37], 0, v[22:23]
	global_load_dword v9, v[56:57], off
	v_lshl_add_u64 v[56:57], v[38:39], 0, v[22:23]
	global_load_dword v17, v[56:57], off
	s_or_b64 exec, exec, s[34:35]
	s_and_saveexec_b64 s[34:35], s[6:7]
	s_cbranch_execz .LBB155_37
.LBB155_48:                             ;   in Loop: Header=BB155_3 Depth=1
	v_lshl_add_u64 v[56:57], v[32:33], 0, v[22:23]
	global_load_dword v10, v[56:57], off
	v_lshl_add_u64 v[56:57], v[34:35], 0, v[22:23]
	global_load_dword v18, v[56:57], off
	s_or_b64 exec, exec, s[34:35]
	s_and_saveexec_b64 s[34:35], s[6:7]
	s_cbranch_execnz .LBB155_38
	s_branch .LBB155_39
.LBB155_49:
                                        ; implicit-def: $vgpr3
	s_load_dwordx2 s[6:7], s[0:1], 0x30
	s_branch .LBB155_51
.LBB155_50:
	s_load_dwordx2 s[6:7], s[0:1], 0x30
	s_cbranch_execnz .LBB155_83
.LBB155_51:
	s_and_b64 vcc, exec, s[4:5]
	v_mov_b32_e32 v3, 0
	s_cbranch_vccnz .LBB155_83
; %bb.52:
	v_mov_b32_e32 v2, 0
	v_bfe_u32 v86, v0, 10, 10
	v_lshlrev_b32_e32 v6, 5, v86
	v_mov_b32_e32 v7, v2
	v_lshl_add_u64 v[6:7], s[20:21], 2, v[6:7]
	v_lshl_add_u64 v[8:9], v[6:7], 0, 4
	v_mov_b64_e32 v[10:11], s[16:17]
	v_lshl_add_u64 v[12:13], v[6:7], 0, 8
	v_lshl_add_u64 v[14:15], v[6:7], 0, 12
	;; [unrolled: 1-line block ×6, first 2 shown]
	v_mad_u64_u32 v[22:23], s[4:5], s14, v8, v[10:11]
	v_mad_u64_u32 v[24:25], s[4:5], s14, v12, v[10:11]
	;; [unrolled: 1-line block ×7, first 2 shown]
	v_mov_b64_e32 v[10:11], s[18:19]
	v_mul_lo_u32 v9, s14, v9
	v_mul_lo_u32 v38, s15, v8
	v_mad_u64_u32 v[36:37], s[4:5], s14, v8, v[10:11]
	v_add3_u32 v23, v38, v23, v9
	v_mul_lo_u32 v13, s14, v13
	v_mul_lo_u32 v40, s15, v12
	v_add3_u32 v37, v38, v37, v9
	v_mad_u64_u32 v[38:39], s[4:5], s14, v12, v[10:11]
	v_add3_u32 v25, v40, v25, v13
	v_mul_lo_u32 v15, s14, v15
	v_mul_lo_u32 v42, s15, v14
	v_add3_u32 v39, v40, v39, v13
	;; [unrolled: 5-line block ×3, first 2 shown]
	v_mad_u64_u32 v[42:43], s[4:5], s14, v16, v[10:11]
	v_lshlrev_b32_e32 v20, 3, v86
	v_mov_b32_e32 v21, v2
	v_add3_u32 v29, v44, v29, v17
	v_mul_lo_u32 v19, s14, v19
	v_mul_lo_u32 v48, s15, v18
	;; [unrolled: 1-line block ×4, first 2 shown]
	v_add3_u32 v43, v44, v43, v17
	v_mad_u64_u32 v[44:45], s[4:5], s14, v18, v[10:11]
	v_mad_u64_u32 v[46:47], s[4:5], s14, v46, v[10:11]
	v_lshl_add_u64 v[4:5], v[20:21], 0, s[20:21]
	v_add3_u32 v31, v48, v31, v19
	v_add3_u32 v33, v51, v33, v49
	v_mul_lo_u32 v7, s14, v7
	v_mul_lo_u32 v8, s15, v6
	v_add3_u32 v45, v48, v45, v19
	v_add3_u32 v47, v51, v47, v49
	v_mad_u64_u32 v[48:49], s[4:5], s14, v6, v[10:11]
	v_add3_u32 v35, v8, v35, v7
	v_add3_u32 v49, v8, v49, v7
	v_lshl_add_u64 v[6:7], v[4:5], 0, 7
	v_mul_lo_u32 v8, s15, v6
	v_mul_lo_u32 v9, s14, v7
	v_mad_u64_u32 v[6:7], s[4:5], s14, v6, 0
	v_add3_u32 v7, v7, v9, v8
	v_lshl_add_u64 v[8:9], v[4:5], 0, 6
	v_mul_lo_u32 v10, s15, v8
	v_mul_lo_u32 v11, s14, v9
	v_mad_u64_u32 v[8:9], s[4:5], s14, v8, 0
	;; [unrolled: 5-line block ×5, first 2 shown]
	v_add3_u32 v15, v15, v17, v16
	v_lshl_add_u64 v[16:17], v[4:5], 0, 2
	v_mul_lo_u32 v50, s14, v5
	v_mul_lo_u32 v5, s15, v16
	;; [unrolled: 1-line block ×3, first 2 shown]
	v_mad_u64_u32 v[16:17], s[4:5], s14, v16, 0
	v_add3_u32 v17, v17, v18, v5
	v_mov_b64_e32 v[18:19], s[14:15]
	v_mul_lo_u32 v3, s15, v4
	v_mad_u64_u32 v[18:19], s[4:5], s14, v4, v[18:19]
	v_mad_u64_u32 v[4:5], s[4:5], s14, v4, 0
	v_and_b32_e32 v1, 0x3ff, v0
	v_add3_u32 v5, v5, v50, v3
	v_add3_u32 v19, v3, v19, v50
	v_add_u32_e32 v50, s3, v1
	s_load_dword s3, s[0:1], 0x44
	v_lshlrev_b64 v[4:5], 2, v[4:5]
	v_lshl_add_u64 v[52:53], s[16:17], 0, v[4:5]
	v_lshl_add_u64 v[54:55], s[18:19], 0, v[4:5]
	v_lshlrev_b64 v[4:5], 2, v[6:7]
	v_lshl_add_u64 v[56:57], s[16:17], 0, v[4:5]
	v_lshl_add_u64 v[58:59], s[18:19], 0, v[4:5]
	v_lshlrev_b64 v[4:5], 2, v[8:9]
	v_lshl_add_u64 v[60:61], s[16:17], 0, v[4:5]
	v_lshl_add_u64 v[62:63], s[18:19], 0, v[4:5]
	v_lshlrev_b64 v[4:5], 2, v[10:11]
	s_add_u32 s22, s0, 64
	v_lshl_add_u64 v[64:65], s[16:17], 0, v[4:5]
	v_lshl_add_u64 v[66:67], s[18:19], 0, v[4:5]
	v_lshlrev_b64 v[4:5], 2, v[12:13]
	s_addc_u32 s23, s1, 0
	s_waitcnt lgkmcnt(0)
	s_lshl_b32 s4, s3, 3
	v_lshl_add_u64 v[68:69], s[16:17], 0, v[4:5]
	v_lshl_add_u64 v[70:71], s[18:19], 0, v[4:5]
	v_lshlrev_b64 v[4:5], 2, v[14:15]
	v_mbcnt_lo_u32_b32 v3, -1, 0
	s_mul_i32 s3, s15, s4
	s_mul_hi_u32 s9, s14, s4
	v_lshl_add_u64 v[72:73], s[16:17], 0, v[4:5]
	v_lshl_add_u64 v[74:75], s[18:19], 0, v[4:5]
	v_lshlrev_b64 v[4:5], 2, v[16:17]
	v_mbcnt_hi_u32_b32 v3, -1, v3
	v_mov_b32_e32 v51, v2
	s_add_i32 s25, s9, s3
	s_mul_i32 s24, s14, s4
	v_lshl_add_u64 v[76:77], s[16:17], 0, v[4:5]
	v_lshl_add_u64 v[78:79], s[18:19], 0, v[4:5]
	v_lshlrev_b64 v[4:5], 2, v[18:19]
	v_lshlrev_b32_e32 v3, 2, v3
	s_mov_b32 s5, 0
	v_lshlrev_b64 v[50:51], 2, v[50:51]
	s_lshl_b64 s[24:25], s[24:25], 2
	s_mov_b64 s[26:27], 7
	v_lshl_add_u64 v[80:81], s[16:17], 0, v[4:5]
	v_lshl_add_u64 v[82:83], s[18:19], 0, v[4:5]
	v_and_b32_e32 v87, 0x100, v3
	s_mov_b64 s[16:17], s[20:21]
	v_mov_b32_e32 v88, 0
.LBB155_53:                             ; =>This Inner Loop Header: Depth=1
	s_add_u32 s18, s20, s26
	s_addc_u32 s19, 0, s27
	v_mov_b64_e32 v[4:5], s[12:13]
	v_cmp_ge_i64_e32 vcc, s[18:19], v[4:5]
	v_lshl_add_u64 v[84:85], s[20:21], 0, v[20:21]
	s_mov_b64 s[18:19], -1
                                        ; implicit-def: $vgpr3
	s_cbranch_vccz .LBB155_75
; %bb.54:                               ;   in Loop: Header=BB155_53 Depth=1
	s_load_dword s3, s[22:23], 0xc
	v_mov_b32_e32 v89, 0
	s_waitcnt lgkmcnt(0)
	s_and_b32 s3, s3, 0xffff
	v_mad_u32_u24 v3, v86, s3, v1
	v_and_b32_e32 v4, 63, v3
	v_cmp_gt_u32_e32 vcc, 8, v4
	s_and_saveexec_b64 s[18:19], vcc
	s_cbranch_execz .LBB155_58
; %bb.55:                               ;   in Loop: Header=BB155_53 Depth=1
	v_mov_b32_e32 v5, v2
	v_lshl_add_u64 v[4:5], v[84:85], 0, v[4:5]
	v_cmp_gt_i64_e32 vcc, s[12:13], v[4:5]
	v_mov_b32_e32 v89, 0
	s_and_saveexec_b64 s[28:29], vcc
	s_cbranch_execz .LBB155_57
; %bb.56:                               ;   in Loop: Header=BB155_53 Depth=1
	v_lshl_add_u64 v[4:5], v[4:5], 2, s[10:11]
	global_load_dword v89, v[4:5], off
.LBB155_57:                             ;   in Loop: Header=BB155_53 Depth=1
	s_or_b64 exec, exec, s[28:29]
.LBB155_58:                             ;   in Loop: Header=BB155_53 Depth=1
	s_or_b64 exec, exec, s[18:19]
	v_mov_b32_e32 v8, v2
	v_mov_b32_e32 v9, v2
	;; [unrolled: 1-line block ×7, first 2 shown]
	v_mov_b64_e32 v[18:19], v[8:9]
	v_mov_b64_e32 v[16:17], v[6:7]
	;; [unrolled: 1-line block ×5, first 2 shown]
	v_cmp_gt_i64_e32 vcc, s[12:13], v[84:85]
	v_mov_b64_e32 v[8:9], v[6:7]
	v_mov_b64_e32 v[6:7], v[4:5]
	;; [unrolled: 1-line block ×3, first 2 shown]
	s_and_saveexec_b64 s[18:19], vcc
	s_cbranch_execz .LBB155_60
; %bb.59:                               ;   in Loop: Header=BB155_53 Depth=1
	v_lshl_add_u64 v[4:5], v[52:53], 0, v[50:51]
	v_lshl_add_u64 v[6:7], v[54:55], 0, v[50:51]
	global_load_dword v4, v[4:5], off
	v_mov_b32_e32 v5, v2
	global_load_dword v12, v[6:7], off
	v_mov_b32_e32 v6, v2
	v_mov_b32_e32 v7, v2
	;; [unrolled: 1-line block ×13, first 2 shown]
.LBB155_60:                             ;   in Loop: Header=BB155_53 Depth=1
	s_or_b64 exec, exec, s[18:19]
	v_lshl_add_u64 v[90:91], v[84:85], 0, 1
	v_cmp_gt_i64_e32 vcc, s[12:13], v[90:91]
	s_and_saveexec_b64 s[18:19], vcc
	s_cbranch_execz .LBB155_62
; %bb.61:                               ;   in Loop: Header=BB155_53 Depth=1
	v_lshl_add_u64 v[90:91], v[80:81], 0, v[50:51]
	global_load_dword v5, v[90:91], off
	v_lshl_add_u64 v[90:91], v[82:83], 0, v[50:51]
	global_load_dword v13, v[90:91], off
.LBB155_62:                             ;   in Loop: Header=BB155_53 Depth=1
	s_or_b64 exec, exec, s[18:19]
	v_lshl_add_u64 v[90:91], v[84:85], 0, 2
	v_cmp_gt_i64_e32 vcc, s[12:13], v[90:91]
	s_and_saveexec_b64 s[18:19], vcc
	s_cbranch_execz .LBB155_64
; %bb.63:                               ;   in Loop: Header=BB155_53 Depth=1
	v_lshl_add_u64 v[90:91], v[76:77], 0, v[50:51]
	global_load_dword v6, v[90:91], off
	v_lshl_add_u64 v[90:91], v[78:79], 0, v[50:51]
	global_load_dword v14, v[90:91], off
.LBB155_64:                             ;   in Loop: Header=BB155_53 Depth=1
	;; [unrolled: 11-line block ×7, first 2 shown]
	s_or_b64 exec, exec, s[18:19]
	s_waitcnt vmcnt(0)
	ds_bpermute_b32 v90, v87, v89
	ds_bpermute_b32 v91, v87, v89 offset:4
	v_pk_mul_f32 v[6:7], v[14:15], v[6:7]
	ds_bpermute_b32 v14, v87, v89 offset:8
	ds_bpermute_b32 v15, v87, v89 offset:12
	v_pk_mul_f32 v[4:5], v[12:13], v[4:5]
	ds_bpermute_b32 v12, v87, v89 offset:24
	s_waitcnt lgkmcnt(3)
	v_pk_mul_f32 v[4:5], v[4:5], v[90:91]
	ds_bpermute_b32 v13, v87, v89 offset:28
	v_add_f32_e32 v3, v88, v4
	v_add_f32_e32 v3, v3, v5
	s_waitcnt lgkmcnt(2)
	v_pk_mul_f32 v[4:5], v[6:7], v[14:15]
	ds_bpermute_b32 v6, v87, v89 offset:16
	ds_bpermute_b32 v7, v87, v89 offset:20
	v_pk_mul_f32 v[8:9], v[16:17], v[8:9]
	v_add_f32_e32 v3, v3, v4
	v_add_f32_e32 v3, v3, v5
	v_pk_mul_f32 v[10:11], v[18:19], v[10:11]
	s_waitcnt lgkmcnt(0)
	v_pk_mul_f32 v[4:5], v[8:9], v[6:7]
	s_mov_b64 s[18:19], 0
	v_add_f32_e32 v3, v3, v4
	v_add_f32_e32 v3, v3, v5
	v_pk_mul_f32 v[4:5], v[10:11], v[12:13]
	s_nop 0
	v_add_f32_e32 v3, v3, v4
	v_add_f32_e32 v3, v3, v5
.LBB155_75:                             ;   in Loop: Header=BB155_53 Depth=1
	s_and_b64 vcc, exec, s[18:19]
	s_cbranch_vccz .LBB155_81
; %bb.76:                               ;   in Loop: Header=BB155_53 Depth=1
	s_load_dword s3, s[22:23], 0x0
	s_waitcnt lgkmcnt(0)
	s_cmp_lt_u32 s2, s3
	s_cselect_b32 s3, 12, 18
	s_add_u32 s18, s22, s3
	s_addc_u32 s19, s23, 0
	global_load_ushort v3, v2, s[18:19]
	s_waitcnt vmcnt(0)
	v_mad_u32_u24 v3, v86, v3, v1
	v_and_b32_e32 v4, 63, v3
	v_cmp_gt_u32_e32 vcc, 8, v4
	v_mov_b32_e32 v3, 0
	s_and_saveexec_b64 s[18:19], vcc
	s_cbranch_execz .LBB155_80
; %bb.77:                               ;   in Loop: Header=BB155_53 Depth=1
	v_mov_b32_e32 v5, v2
	v_lshl_add_u64 v[4:5], v[84:85], 0, v[4:5]
	v_cmp_gt_i64_e32 vcc, s[12:13], v[4:5]
	v_mov_b32_e32 v3, 0
	s_and_saveexec_b64 s[28:29], vcc
	s_cbranch_execz .LBB155_79
; %bb.78:                               ;   in Loop: Header=BB155_53 Depth=1
	v_lshl_add_u64 v[4:5], v[4:5], 2, s[10:11]
	global_load_dword v3, v[4:5], off
.LBB155_79:                             ;   in Loop: Header=BB155_53 Depth=1
	s_or_b64 exec, exec, s[28:29]
.LBB155_80:                             ;   in Loop: Header=BB155_53 Depth=1
	s_or_b64 exec, exec, s[18:19]
	v_lshl_add_u64 v[4:5], v[52:53], 0, v[50:51]
	v_lshl_add_u64 v[8:9], v[22:23], 0, v[50:51]
	global_load_dword v4, v[4:5], off
	v_lshl_add_u64 v[6:7], v[54:55], 0, v[50:51]
	global_load_dword v5, v[8:9], off
	;; [unrolled: 2-line block ×15, first 2 shown]
	s_waitcnt vmcnt(15)
	ds_bpermute_b32 v90, v87, v3 offset:8
	global_load_dword v19, v[84:85], off
	ds_bpermute_b32 v84, v87, v3
	ds_bpermute_b32 v85, v87, v3 offset:4
	ds_bpermute_b32 v91, v87, v3 offset:12
	;; [unrolled: 1-line block ×6, first 2 shown]
	s_waitcnt vmcnt(12)
	v_pk_mul_f32 v[4:5], v[4:5], v[6:7]
	s_waitcnt lgkmcnt(5)
	v_pk_mul_f32 v[4:5], v[4:5], v[84:85]
	s_waitcnt vmcnt(8)
	v_pk_mul_f32 v[6:7], v[8:9], v[10:11]
	v_add_f32_e32 v3, v88, v4
	s_waitcnt lgkmcnt(4)
	v_pk_mul_f32 v[6:7], v[6:7], v[90:91]
	v_add_f32_e32 v3, v3, v5
	v_add_f32_e32 v3, v3, v6
	;; [unrolled: 1-line block ×3, first 2 shown]
	s_waitcnt vmcnt(4)
	v_pk_mul_f32 v[8:9], v[12:13], v[14:15]
	s_waitcnt lgkmcnt(2)
	v_pk_mul_f32 v[8:9], v[8:9], v[92:93]
	s_waitcnt vmcnt(0)
	v_pk_mul_f32 v[10:11], v[16:17], v[18:19]
	v_add_f32_e32 v3, v3, v8
	v_add_f32_e32 v3, v3, v9
	s_waitcnt lgkmcnt(0)
	v_pk_mul_f32 v[4:5], v[10:11], v[94:95]
	s_nop 0
	v_add_f32_e32 v3, v3, v4
	v_add_f32_e32 v3, v3, v5
.LBB155_81:                             ;   in Loop: Header=BB155_53 Depth=1
	s_add_u32 s16, s16, s4
	s_addc_u32 s17, s17, 0
	v_mov_b64_e32 v[4:5], s[12:13]
	s_add_u32 s26, s26, s4
	v_cmp_ge_i64_e32 vcc, s[16:17], v[4:5]
	v_lshl_add_u64 v[52:53], v[52:53], 0, s[24:25]
	v_lshl_add_u64 v[54:55], v[54:55], 0, s[24:25]
	;; [unrolled: 1-line block ×31, first 2 shown]
	s_addc_u32 s27, 0, s27
	s_cbranch_vccnz .LBB155_83
; %bb.82:                               ;   in Loop: Header=BB155_53 Depth=1
	v_mov_b32_e32 v88, v3
	s_branch .LBB155_53
.LBB155_83:
	s_mov_b32 s3, 0
	s_lshl_b64 s[2:3], s[2:3], 5
	v_and_b32_e32 v1, 0x3ff, v0
	v_or_b32_e32 v4, s2, v1
	v_mov_b32_e32 v5, s3
	s_waitcnt lgkmcnt(0)
	s_cmp_lg_u64 s[6:7], 0
	v_cmp_gt_i64_e32 vcc, s[14:15], v[4:5]
	s_cselect_b64 s[2:3], -1, 0
	s_and_b64 s[2:3], vcc, s[2:3]
	s_and_saveexec_b64 s[4:5], s[2:3]
	s_cbranch_execz .LBB155_85
; %bb.84:
	s_load_dword s0, s[0:1], 0x4c
	v_bfe_u32 v0, v0, 10, 10
	v_mov_b32_e32 v1, 0
	v_mov_b32_e32 v2, s8
	s_waitcnt lgkmcnt(0)
	s_lshr_b32 s0, s0, 16
	v_mad_u64_u32 v[0:1], s[0:1], s0, v2, v[0:1]
	v_mul_lo_u32 v2, v1, s14
	v_mul_lo_u32 v6, v0, s15
	v_mad_u64_u32 v[0:1], s[0:1], v0, s14, 0
	v_add3_u32 v1, v1, v6, v2
	v_lshl_add_u64 v[0:1], v[0:1], 2, s[6:7]
	v_lshl_add_u64 v[0:1], v[4:5], 2, v[0:1]
	global_store_dword v[0:1], v3, off
.LBB155_85:
	s_endpgm
	.section	.rodata,"a",@progbits
	.p2align	6, 0x0
	.amdhsa_kernel _ZN2at6native12_GLOBAL__N_135GammaBetaBackwardCUDAKernelTemplateIffLj32ELj1ELj8ELb1ELb0ELb1EEEvllPKT_S5_PKT0_S8_PS3_S9_
		.amdhsa_group_segment_fixed_size 0
		.amdhsa_private_segment_fixed_size 0
		.amdhsa_kernarg_size 320
		.amdhsa_user_sgpr_count 2
		.amdhsa_user_sgpr_dispatch_ptr 0
		.amdhsa_user_sgpr_queue_ptr 0
		.amdhsa_user_sgpr_kernarg_segment_ptr 1
		.amdhsa_user_sgpr_dispatch_id 0
		.amdhsa_user_sgpr_kernarg_preload_length 0
		.amdhsa_user_sgpr_kernarg_preload_offset 0
		.amdhsa_user_sgpr_private_segment_size 0
		.amdhsa_uses_dynamic_stack 0
		.amdhsa_enable_private_segment 0
		.amdhsa_system_sgpr_workgroup_id_x 1
		.amdhsa_system_sgpr_workgroup_id_y 1
		.amdhsa_system_sgpr_workgroup_id_z 0
		.amdhsa_system_sgpr_workgroup_info 0
		.amdhsa_system_vgpr_workitem_id 1
		.amdhsa_next_free_vgpr 96
		.amdhsa_next_free_sgpr 38
		.amdhsa_accum_offset 96
		.amdhsa_reserve_vcc 1
		.amdhsa_float_round_mode_32 0
		.amdhsa_float_round_mode_16_64 0
		.amdhsa_float_denorm_mode_32 3
		.amdhsa_float_denorm_mode_16_64 3
		.amdhsa_dx10_clamp 1
		.amdhsa_ieee_mode 1
		.amdhsa_fp16_overflow 0
		.amdhsa_tg_split 0
		.amdhsa_exception_fp_ieee_invalid_op 0
		.amdhsa_exception_fp_denorm_src 0
		.amdhsa_exception_fp_ieee_div_zero 0
		.amdhsa_exception_fp_ieee_overflow 0
		.amdhsa_exception_fp_ieee_underflow 0
		.amdhsa_exception_fp_ieee_inexact 0
		.amdhsa_exception_int_div_zero 0
	.end_amdhsa_kernel
	.section	.text._ZN2at6native12_GLOBAL__N_135GammaBetaBackwardCUDAKernelTemplateIffLj32ELj1ELj8ELb1ELb0ELb1EEEvllPKT_S5_PKT0_S8_PS3_S9_,"axG",@progbits,_ZN2at6native12_GLOBAL__N_135GammaBetaBackwardCUDAKernelTemplateIffLj32ELj1ELj8ELb1ELb0ELb1EEEvllPKT_S5_PKT0_S8_PS3_S9_,comdat
.Lfunc_end155:
	.size	_ZN2at6native12_GLOBAL__N_135GammaBetaBackwardCUDAKernelTemplateIffLj32ELj1ELj8ELb1ELb0ELb1EEEvllPKT_S5_PKT0_S8_PS3_S9_, .Lfunc_end155-_ZN2at6native12_GLOBAL__N_135GammaBetaBackwardCUDAKernelTemplateIffLj32ELj1ELj8ELb1ELb0ELb1EEEvllPKT_S5_PKT0_S8_PS3_S9_
                                        ; -- End function
	.set _ZN2at6native12_GLOBAL__N_135GammaBetaBackwardCUDAKernelTemplateIffLj32ELj1ELj8ELb1ELb0ELb1EEEvllPKT_S5_PKT0_S8_PS3_S9_.num_vgpr, 96
	.set _ZN2at6native12_GLOBAL__N_135GammaBetaBackwardCUDAKernelTemplateIffLj32ELj1ELj8ELb1ELb0ELb1EEEvllPKT_S5_PKT0_S8_PS3_S9_.num_agpr, 0
	.set _ZN2at6native12_GLOBAL__N_135GammaBetaBackwardCUDAKernelTemplateIffLj32ELj1ELj8ELb1ELb0ELb1EEEvllPKT_S5_PKT0_S8_PS3_S9_.numbered_sgpr, 38
	.set _ZN2at6native12_GLOBAL__N_135GammaBetaBackwardCUDAKernelTemplateIffLj32ELj1ELj8ELb1ELb0ELb1EEEvllPKT_S5_PKT0_S8_PS3_S9_.num_named_barrier, 0
	.set _ZN2at6native12_GLOBAL__N_135GammaBetaBackwardCUDAKernelTemplateIffLj32ELj1ELj8ELb1ELb0ELb1EEEvllPKT_S5_PKT0_S8_PS3_S9_.private_seg_size, 0
	.set _ZN2at6native12_GLOBAL__N_135GammaBetaBackwardCUDAKernelTemplateIffLj32ELj1ELj8ELb1ELb0ELb1EEEvllPKT_S5_PKT0_S8_PS3_S9_.uses_vcc, 1
	.set _ZN2at6native12_GLOBAL__N_135GammaBetaBackwardCUDAKernelTemplateIffLj32ELj1ELj8ELb1ELb0ELb1EEEvllPKT_S5_PKT0_S8_PS3_S9_.uses_flat_scratch, 0
	.set _ZN2at6native12_GLOBAL__N_135GammaBetaBackwardCUDAKernelTemplateIffLj32ELj1ELj8ELb1ELb0ELb1EEEvllPKT_S5_PKT0_S8_PS3_S9_.has_dyn_sized_stack, 0
	.set _ZN2at6native12_GLOBAL__N_135GammaBetaBackwardCUDAKernelTemplateIffLj32ELj1ELj8ELb1ELb0ELb1EEEvllPKT_S5_PKT0_S8_PS3_S9_.has_recursion, 0
	.set _ZN2at6native12_GLOBAL__N_135GammaBetaBackwardCUDAKernelTemplateIffLj32ELj1ELj8ELb1ELb0ELb1EEEvllPKT_S5_PKT0_S8_PS3_S9_.has_indirect_call, 0
	.section	.AMDGPU.csdata,"",@progbits
; Kernel info:
; codeLenInByte = 5680
; TotalNumSgprs: 44
; NumVgprs: 96
; NumAgprs: 0
; TotalNumVgprs: 96
; ScratchSize: 0
; MemoryBound: 0
; FloatMode: 240
; IeeeMode: 1
; LDSByteSize: 0 bytes/workgroup (compile time only)
; SGPRBlocks: 5
; VGPRBlocks: 11
; NumSGPRsForWavesPerEU: 44
; NumVGPRsForWavesPerEU: 96
; AccumOffset: 96
; Occupancy: 5
; WaveLimiterHint : 0
; COMPUTE_PGM_RSRC2:SCRATCH_EN: 0
; COMPUTE_PGM_RSRC2:USER_SGPR: 2
; COMPUTE_PGM_RSRC2:TRAP_HANDLER: 0
; COMPUTE_PGM_RSRC2:TGID_X_EN: 1
; COMPUTE_PGM_RSRC2:TGID_Y_EN: 1
; COMPUTE_PGM_RSRC2:TGID_Z_EN: 0
; COMPUTE_PGM_RSRC2:TIDIG_COMP_CNT: 1
; COMPUTE_PGM_RSRC3_GFX90A:ACCUM_OFFSET: 23
; COMPUTE_PGM_RSRC3_GFX90A:TG_SPLIT: 0
	.section	.text._ZN2at6native12_GLOBAL__N_135GammaBetaBackwardCUDAKernelTemplateIffLj32ELj8ELj64ELb0ELb1ELb1EEEvllPKT_S5_PKT0_S8_PS3_S9_,"axG",@progbits,_ZN2at6native12_GLOBAL__N_135GammaBetaBackwardCUDAKernelTemplateIffLj32ELj8ELj64ELb0ELb1ELb1EEEvllPKT_S5_PKT0_S8_PS3_S9_,comdat
	.globl	_ZN2at6native12_GLOBAL__N_135GammaBetaBackwardCUDAKernelTemplateIffLj32ELj8ELj64ELb0ELb1ELb1EEEvllPKT_S5_PKT0_S8_PS3_S9_ ; -- Begin function _ZN2at6native12_GLOBAL__N_135GammaBetaBackwardCUDAKernelTemplateIffLj32ELj8ELj64ELb0ELb1ELb1EEEvllPKT_S5_PKT0_S8_PS3_S9_
	.p2align	8
	.type	_ZN2at6native12_GLOBAL__N_135GammaBetaBackwardCUDAKernelTemplateIffLj32ELj8ELj64ELb0ELb1ELb1EEEvllPKT_S5_PKT0_S8_PS3_S9_,@function
_ZN2at6native12_GLOBAL__N_135GammaBetaBackwardCUDAKernelTemplateIffLj32ELj8ELj64ELb0ELb1ELb1EEEvllPKT_S5_PKT0_S8_PS3_S9_: ; @_ZN2at6native12_GLOBAL__N_135GammaBetaBackwardCUDAKernelTemplateIffLj32ELj8ELj64ELb0ELb1ELb1EEEvllPKT_S5_PKT0_S8_PS3_S9_
; %bb.0:
	s_load_dwordx4 s[4:7], s[0:1], 0x0
	s_lshl_b32 s14, s3, 6
	s_mov_b32 s15, 0
	v_mov_b64_e32 v[2:3], s[14:15]
	v_bfe_u32 v12, v0, 10, 10
	s_waitcnt lgkmcnt(0)
	v_cmp_gt_i64_e32 vcc, s[4:5], v[2:3]
	s_cbranch_vccnz .LBB156_2
; %bb.1:
	s_mov_b64 s[8:9], 0
	v_bfe_u32 v2, v0, 10, 10
	s_branch .LBB156_3
.LBB156_2:
	s_mov_b64 s[8:9], -1
                                        ; implicit-def: $vgpr2
.LBB156_3:
	s_load_dwordx2 s[12:13], s[0:1], 0x30
	v_and_b32_e32 v10, 0x3ff, v0
	v_mov_b32_e32 v1, 0
	s_andn2_b64 vcc, exec, s[8:9]
	v_mbcnt_lo_u32_b32 v11, -1, 0
	s_cbranch_vccnz .LBB156_11
; %bb.4:
	s_load_dword s3, s[0:1], 0x4c
	s_load_dword s16, s[0:1], 0x44
	s_load_dwordx2 s[18:19], s[0:1], 0x28
	s_load_dwordx4 s[8:11], s[0:1], 0x10
	v_lshlrev_b32_e32 v0, 3, v12
	s_waitcnt lgkmcnt(0)
	s_and_b32 s0, s3, 0xffff
	v_mad_u32_u24 v1, v12, s0, v10
	v_and_b32_e32 v2, 63, v1
	v_mov_b32_e32 v1, 0
	v_mov_b32_e32 v3, v1
	v_lshl_add_u64 v[8:9], v[0:1], 0, s[14:15]
	v_cmp_gt_u32_e64 s[0:1], 8, v2
	v_mbcnt_hi_u32_b32 v4, -1, v11
	s_lshl_b32 s16, s16, 6
	v_lshl_add_u64 v[2:3], v[8:9], 0, v[2:3]
	v_mul_lo_u32 v0, s7, v8
	v_mul_lo_u32 v21, s6, v9
	v_mad_u64_u32 v[8:9], s[20:21], s6, v8, 0
	v_lshl_add_u32 v6, s2, 5, v10
	v_mov_b32_e32 v7, v1
	v_lshlrev_b32_e32 v4, 2, v4
	s_mul_i32 s3, s7, s16
	s_mul_hi_u32 s20, s6, s16
	s_mov_b32 s17, 0
	v_and_b32_e32 v13, 0x100, v4
	v_add3_u32 v9, v9, v21, v0
	v_lshlrev_b64 v[6:7], 2, v[6:7]
	s_add_i32 s21, s20, s3
	s_mul_i32 s20, s6, s16
	v_or_b32_e32 v14, 4, v13
	v_or_b32_e32 v15, 8, v13
	;; [unrolled: 1-line block ×7, first 2 shown]
	v_lshl_add_u64 v[4:5], v[2:3], 2, s[18:19]
	s_lshl_b64 s[18:19], s[16:17], 2
	v_lshl_add_u64 v[6:7], v[8:9], 2, v[6:7]
	s_lshl_b64 s[20:21], s[20:21], 2
	s_lshl_b64 s[6:7], s[6:7], 2
	v_mov_b64_e32 v[8:9], s[4:5]
	s_branch .LBB156_7
.LBB156_5:                              ;   in Loop: Header=BB156_7 Depth=1
	s_or_b64 exec, exec, s[24:25]
.LBB156_6:                              ;   in Loop: Header=BB156_7 Depth=1
	s_or_b64 exec, exec, s[22:23]
	v_lshl_add_u64 v[22:23], s[8:9], 0, v[6:7]
	global_load_dword v24, v[22:23], off
	v_lshl_add_u64 v[26:27], s[10:11], 0, v[6:7]
	v_lshl_add_u64 v[22:23], v[22:23], 0, s[6:7]
	global_load_dword v28, v[26:27], off
	global_load_dword v25, v[22:23], off
	v_lshl_add_u64 v[26:27], v[26:27], 0, s[6:7]
	v_lshl_add_u64 v[22:23], v[22:23], 0, s[6:7]
	global_load_dword v29, v[26:27], off
	;; [unrolled: 4-line block ×7, first 2 shown]
	v_lshl_add_u64 v[22:23], v[26:27], 0, s[6:7]
	global_load_dword v40, v[26:27], off
	global_load_dword v41, v[22:23], off
	s_waitcnt vmcnt(16)
	ds_bpermute_b32 v22, v13, v0
	ds_bpermute_b32 v23, v14, v0
	;; [unrolled: 1-line block ×8, first 2 shown]
	s_add_u32 s14, s14, s16
	s_addc_u32 s15, s15, 0
	v_cmp_lt_i64_e32 vcc, s[14:15], v[8:9]
	v_lshl_add_u64 v[4:5], v[4:5], 0, s[18:19]
	v_lshl_add_u64 v[2:3], v[2:3], 0, s[16:17]
	;; [unrolled: 1-line block ×3, first 2 shown]
	s_and_b64 vcc, exec, vcc
	s_waitcnt vmcnt(12)
	v_pk_mul_f32 v[24:25], v[24:25], v[28:29]
	s_waitcnt lgkmcnt(6)
	v_pk_mul_f32 v[22:23], v[24:25], v[22:23]
	s_nop 0
	v_add_f32_e32 v21, v1, v22
	v_add_f32_e32 v21, v21, v23
	s_waitcnt vmcnt(8)
	v_pk_mul_f32 v[0:1], v[30:31], v[32:33]
	s_waitcnt lgkmcnt(4)
	v_pk_mul_f32 v[0:1], v[0:1], v[26:27]
	s_waitcnt vmcnt(4)
	v_pk_mul_f32 v[22:23], v[34:35], v[36:37]
	v_add_f32_e32 v0, v21, v0
	v_add_f32_e32 v21, v0, v1
	s_waitcnt lgkmcnt(2)
	v_pk_mul_f32 v[0:1], v[22:23], v[42:43]
	s_waitcnt vmcnt(0)
	v_pk_mul_f32 v[22:23], v[38:39], v[40:41]
	v_add_f32_e32 v0, v21, v0
	v_add_f32_e32 v21, v0, v1
	s_waitcnt lgkmcnt(0)
	v_pk_mul_f32 v[0:1], v[22:23], v[44:45]
	s_nop 0
	v_add_f32_e32 v0, v21, v0
	v_add_f32_e32 v1, v0, v1
	s_cbranch_vccz .LBB156_10
.LBB156_7:                              ; =>This Inner Loop Header: Depth=1
	v_mov_b32_e32 v0, 0
	s_and_saveexec_b64 s[22:23], s[0:1]
	s_cbranch_execz .LBB156_6
; %bb.8:                                ;   in Loop: Header=BB156_7 Depth=1
	v_cmp_gt_i64_e32 vcc, s[4:5], v[2:3]
	v_mov_b32_e32 v0, 0
	s_and_saveexec_b64 s[24:25], vcc
	s_cbranch_execz .LBB156_5
; %bb.9:                                ;   in Loop: Header=BB156_7 Depth=1
	global_load_dword v0, v[4:5], off
	s_branch .LBB156_5
.LBB156_10:
	v_mov_b32_e32 v2, v12
.LBB156_11:
	v_mad_u32_u24 v0, v2, 33, v10
	v_lshl_add_u32 v3, v0, 2, 0
	v_sub_u32_e32 v2, v0, v2
	s_movk_i32 s0, 0x800
	ds_write_b32 v3, v1
	v_mov_b32_e32 v1, 0
	v_cmp_gt_u32_e32 vcc, s0, v2
	ds_write_b32 v3, v1 offset:1056
	s_waitcnt lgkmcnt(0)
	s_barrier
	s_and_saveexec_b64 s[0:1], vcc
	s_cbranch_execz .LBB156_51
; %bb.12:
	v_lshrrev_b32_e32 v0, 6, v2
	v_and_b32_e32 v1, 63, v2
	v_cmp_gt_u32_e32 vcc, 8, v1
	v_mul_u32_u24_e32 v1, 33, v1
	v_lshlrev_b32_e32 v0, 2, v0
                                        ; implicit-def: $vgpr4
	s_and_saveexec_b64 s[0:1], vcc
; %bb.13:
	v_lshlrev_b32_e32 v3, 2, v1
	v_add3_u32 v3, 0, v0, v3
	ds_read_b32 v4, v3
; %bb.14:
	s_or_b64 exec, exec, s[0:1]
	v_mbcnt_hi_u32_b32 v5, -1, v11
	v_and_b32_e32 v3, 64, v5
	v_add_u32_e32 v6, 64, v3
	v_xor_b32_e32 v3, 4, v5
	v_cmp_lt_i32_e64 s[0:1], v3, v6
	v_xor_b32_e32 v8, 2, v5
	s_cmp_lg_u64 s[12:13], 0
	v_cndmask_b32_e64 v3, v5, v3, s[0:1]
	v_lshlrev_b32_e32 v3, 2, v3
	s_waitcnt lgkmcnt(0)
	ds_bpermute_b32 v7, v3, v4
	v_cmp_lt_i32_e64 s[0:1], v8, v6
	s_mov_b32 s3, 0
	s_cselect_b64 s[6:7], -1, 0
	s_waitcnt lgkmcnt(0)
	v_add_f32_e32 v7, v4, v7
	v_cndmask_b32_e64 v4, v5, v8, s[0:1]
	v_lshlrev_b32_e32 v4, 2, v4
	ds_bpermute_b32 v8, v4, v7
	v_cmp_eq_u32_e64 s[0:1], 0, v10
	s_waitcnt lgkmcnt(0)
	v_add_f32_e32 v7, v7, v8
	v_xor_b32_e32 v8, 1, v5
	v_cmp_lt_i32_e64 s[4:5], v8, v6
	s_nop 1
	v_cndmask_b32_e64 v5, v5, v8, s[4:5]
	v_lshlrev_b32_e32 v5, 2, v5
	ds_bpermute_b32 v6, v5, v7
	s_and_b64 s[4:5], s[0:1], s[6:7]
	s_lshl_b64 s[0:1], s[2:3], 7
	s_add_u32 s2, s12, s0
	s_addc_u32 s3, s13, s1
	s_waitcnt lgkmcnt(0)
	v_add_f32_e32 v6, v7, v6
	s_and_saveexec_b64 s[0:1], s[4:5]
	s_cbranch_execz .LBB156_16
; %bb.15:
	global_store_dword v0, v6, s[2:3]
.LBB156_16:
	s_or_b64 exec, exec, s[0:1]
	s_movk_i32 s0, 0x700
	v_cmp_gt_u32_e64 s[0:1], s0, v2
	s_and_b64 exec, exec, s[0:1]
	s_cbranch_execz .LBB156_51
; %bb.17:
	s_and_saveexec_b64 s[0:1], vcc
; %bb.18:
	v_lshlrev_b32_e32 v6, 2, v1
	v_add3_u32 v6, 0, v0, v6
	ds_read_b32 v6, v6 offset:16
; %bb.19:
	s_or_b64 exec, exec, s[0:1]
	s_waitcnt lgkmcnt(0)
	ds_bpermute_b32 v7, v3, v6
	s_waitcnt lgkmcnt(0)
	v_add_f32_e32 v6, v6, v7
	ds_bpermute_b32 v7, v4, v6
	s_waitcnt lgkmcnt(0)
	v_add_f32_e32 v6, v6, v7
	ds_bpermute_b32 v7, v5, v6
	s_waitcnt lgkmcnt(0)
	v_add_f32_e32 v6, v6, v7
	s_and_saveexec_b64 s[0:1], s[4:5]
	s_cbranch_execz .LBB156_21
; %bb.20:
	global_store_dword v0, v6, s[2:3] offset:16
.LBB156_21:
	s_or_b64 exec, exec, s[0:1]
	s_movk_i32 s0, 0x600
	v_cmp_gt_u32_e64 s[0:1], s0, v2
	s_and_b64 exec, exec, s[0:1]
	s_cbranch_execz .LBB156_51
; %bb.22:
	s_and_saveexec_b64 s[0:1], vcc
; %bb.23:
	v_lshlrev_b32_e32 v6, 2, v1
	v_add3_u32 v6, 0, v0, v6
	ds_read_b32 v6, v6 offset:32
; %bb.24:
	s_or_b64 exec, exec, s[0:1]
	s_waitcnt lgkmcnt(0)
	ds_bpermute_b32 v7, v3, v6
	s_waitcnt lgkmcnt(0)
	v_add_f32_e32 v6, v6, v7
	ds_bpermute_b32 v7, v4, v6
	s_waitcnt lgkmcnt(0)
	v_add_f32_e32 v6, v6, v7
	ds_bpermute_b32 v7, v5, v6
	s_waitcnt lgkmcnt(0)
	v_add_f32_e32 v6, v6, v7
	s_and_saveexec_b64 s[0:1], s[4:5]
	s_cbranch_execz .LBB156_26
; %bb.25:
	global_store_dword v0, v6, s[2:3] offset:32
.LBB156_26:
	;; [unrolled: 28-line block ×6, first 2 shown]
	s_or_b64 exec, exec, s[0:1]
	s_movk_i32 s0, 0x100
	v_cmp_gt_u32_e64 s[0:1], s0, v2
	s_and_b64 exec, exec, s[0:1]
	s_cbranch_execz .LBB156_51
; %bb.47:
	s_and_saveexec_b64 s[0:1], vcc
; %bb.48:
	v_lshlrev_b32_e32 v1, 2, v1
	v_add3_u32 v1, 0, v0, v1
	ds_read_b32 v6, v1 offset:112
; %bb.49:
	s_or_b64 exec, exec, s[0:1]
	s_waitcnt lgkmcnt(0)
	ds_bpermute_b32 v1, v3, v6
	s_waitcnt lgkmcnt(0)
	v_add_f32_e32 v1, v6, v1
	ds_bpermute_b32 v2, v4, v1
	s_waitcnt lgkmcnt(0)
	v_add_f32_e32 v1, v1, v2
	ds_bpermute_b32 v2, v5, v1
	s_and_saveexec_b64 s[0:1], s[4:5]
	s_xor_b64 s[0:1], exec, s[0:1]
	s_cbranch_execz .LBB156_51
; %bb.50:
	s_waitcnt lgkmcnt(0)
	v_add_f32_e32 v1, v1, v2
	global_store_dword v0, v1, s[2:3] offset:112
.LBB156_51:
	s_endpgm
	.section	.rodata,"a",@progbits
	.p2align	6, 0x0
	.amdhsa_kernel _ZN2at6native12_GLOBAL__N_135GammaBetaBackwardCUDAKernelTemplateIffLj32ELj8ELj64ELb0ELb1ELb1EEEvllPKT_S5_PKT0_S8_PS3_S9_
		.amdhsa_group_segment_fixed_size 0
		.amdhsa_private_segment_fixed_size 0
		.amdhsa_kernarg_size 320
		.amdhsa_user_sgpr_count 2
		.amdhsa_user_sgpr_dispatch_ptr 0
		.amdhsa_user_sgpr_queue_ptr 0
		.amdhsa_user_sgpr_kernarg_segment_ptr 1
		.amdhsa_user_sgpr_dispatch_id 0
		.amdhsa_user_sgpr_kernarg_preload_length 0
		.amdhsa_user_sgpr_kernarg_preload_offset 0
		.amdhsa_user_sgpr_private_segment_size 0
		.amdhsa_uses_dynamic_stack 0
		.amdhsa_enable_private_segment 0
		.amdhsa_system_sgpr_workgroup_id_x 1
		.amdhsa_system_sgpr_workgroup_id_y 1
		.amdhsa_system_sgpr_workgroup_id_z 0
		.amdhsa_system_sgpr_workgroup_info 0
		.amdhsa_system_vgpr_workitem_id 1
		.amdhsa_next_free_vgpr 46
		.amdhsa_next_free_sgpr 26
		.amdhsa_accum_offset 48
		.amdhsa_reserve_vcc 1
		.amdhsa_float_round_mode_32 0
		.amdhsa_float_round_mode_16_64 0
		.amdhsa_float_denorm_mode_32 3
		.amdhsa_float_denorm_mode_16_64 3
		.amdhsa_dx10_clamp 1
		.amdhsa_ieee_mode 1
		.amdhsa_fp16_overflow 0
		.amdhsa_tg_split 0
		.amdhsa_exception_fp_ieee_invalid_op 0
		.amdhsa_exception_fp_denorm_src 0
		.amdhsa_exception_fp_ieee_div_zero 0
		.amdhsa_exception_fp_ieee_overflow 0
		.amdhsa_exception_fp_ieee_underflow 0
		.amdhsa_exception_fp_ieee_inexact 0
		.amdhsa_exception_int_div_zero 0
	.end_amdhsa_kernel
	.section	.text._ZN2at6native12_GLOBAL__N_135GammaBetaBackwardCUDAKernelTemplateIffLj32ELj8ELj64ELb0ELb1ELb1EEEvllPKT_S5_PKT0_S8_PS3_S9_,"axG",@progbits,_ZN2at6native12_GLOBAL__N_135GammaBetaBackwardCUDAKernelTemplateIffLj32ELj8ELj64ELb0ELb1ELb1EEEvllPKT_S5_PKT0_S8_PS3_S9_,comdat
.Lfunc_end156:
	.size	_ZN2at6native12_GLOBAL__N_135GammaBetaBackwardCUDAKernelTemplateIffLj32ELj8ELj64ELb0ELb1ELb1EEEvllPKT_S5_PKT0_S8_PS3_S9_, .Lfunc_end156-_ZN2at6native12_GLOBAL__N_135GammaBetaBackwardCUDAKernelTemplateIffLj32ELj8ELj64ELb0ELb1ELb1EEEvllPKT_S5_PKT0_S8_PS3_S9_
                                        ; -- End function
	.set _ZN2at6native12_GLOBAL__N_135GammaBetaBackwardCUDAKernelTemplateIffLj32ELj8ELj64ELb0ELb1ELb1EEEvllPKT_S5_PKT0_S8_PS3_S9_.num_vgpr, 46
	.set _ZN2at6native12_GLOBAL__N_135GammaBetaBackwardCUDAKernelTemplateIffLj32ELj8ELj64ELb0ELb1ELb1EEEvllPKT_S5_PKT0_S8_PS3_S9_.num_agpr, 0
	.set _ZN2at6native12_GLOBAL__N_135GammaBetaBackwardCUDAKernelTemplateIffLj32ELj8ELj64ELb0ELb1ELb1EEEvllPKT_S5_PKT0_S8_PS3_S9_.numbered_sgpr, 26
	.set _ZN2at6native12_GLOBAL__N_135GammaBetaBackwardCUDAKernelTemplateIffLj32ELj8ELj64ELb0ELb1ELb1EEEvllPKT_S5_PKT0_S8_PS3_S9_.num_named_barrier, 0
	.set _ZN2at6native12_GLOBAL__N_135GammaBetaBackwardCUDAKernelTemplateIffLj32ELj8ELj64ELb0ELb1ELb1EEEvllPKT_S5_PKT0_S8_PS3_S9_.private_seg_size, 0
	.set _ZN2at6native12_GLOBAL__N_135GammaBetaBackwardCUDAKernelTemplateIffLj32ELj8ELj64ELb0ELb1ELb1EEEvllPKT_S5_PKT0_S8_PS3_S9_.uses_vcc, 1
	.set _ZN2at6native12_GLOBAL__N_135GammaBetaBackwardCUDAKernelTemplateIffLj32ELj8ELj64ELb0ELb1ELb1EEEvllPKT_S5_PKT0_S8_PS3_S9_.uses_flat_scratch, 0
	.set _ZN2at6native12_GLOBAL__N_135GammaBetaBackwardCUDAKernelTemplateIffLj32ELj8ELj64ELb0ELb1ELb1EEEvllPKT_S5_PKT0_S8_PS3_S9_.has_dyn_sized_stack, 0
	.set _ZN2at6native12_GLOBAL__N_135GammaBetaBackwardCUDAKernelTemplateIffLj32ELj8ELj64ELb0ELb1ELb1EEEvllPKT_S5_PKT0_S8_PS3_S9_.has_recursion, 0
	.set _ZN2at6native12_GLOBAL__N_135GammaBetaBackwardCUDAKernelTemplateIffLj32ELj8ELj64ELb0ELb1ELb1EEEvllPKT_S5_PKT0_S8_PS3_S9_.has_indirect_call, 0
	.section	.AMDGPU.csdata,"",@progbits
; Kernel info:
; codeLenInByte = 2060
; TotalNumSgprs: 32
; NumVgprs: 46
; NumAgprs: 0
; TotalNumVgprs: 46
; ScratchSize: 0
; MemoryBound: 0
; FloatMode: 240
; IeeeMode: 1
; LDSByteSize: 0 bytes/workgroup (compile time only)
; SGPRBlocks: 3
; VGPRBlocks: 5
; NumSGPRsForWavesPerEU: 32
; NumVGPRsForWavesPerEU: 46
; AccumOffset: 48
; Occupancy: 8
; WaveLimiterHint : 0
; COMPUTE_PGM_RSRC2:SCRATCH_EN: 0
; COMPUTE_PGM_RSRC2:USER_SGPR: 2
; COMPUTE_PGM_RSRC2:TRAP_HANDLER: 0
; COMPUTE_PGM_RSRC2:TGID_X_EN: 1
; COMPUTE_PGM_RSRC2:TGID_Y_EN: 1
; COMPUTE_PGM_RSRC2:TGID_Z_EN: 0
; COMPUTE_PGM_RSRC2:TIDIG_COMP_CNT: 1
; COMPUTE_PGM_RSRC3_GFX90A:ACCUM_OFFSET: 11
; COMPUTE_PGM_RSRC3_GFX90A:TG_SPLIT: 0
	.section	.text._ZN2at6native12_GLOBAL__N_135GammaBetaBackwardCUDAKernelTemplateIffLj32ELj8ELj64ELb0ELb0ELb1EEEvllPKT_S5_PKT0_S8_PS3_S9_,"axG",@progbits,_ZN2at6native12_GLOBAL__N_135GammaBetaBackwardCUDAKernelTemplateIffLj32ELj8ELj64ELb0ELb0ELb1EEEvllPKT_S5_PKT0_S8_PS3_S9_,comdat
	.globl	_ZN2at6native12_GLOBAL__N_135GammaBetaBackwardCUDAKernelTemplateIffLj32ELj8ELj64ELb0ELb0ELb1EEEvllPKT_S5_PKT0_S8_PS3_S9_ ; -- Begin function _ZN2at6native12_GLOBAL__N_135GammaBetaBackwardCUDAKernelTemplateIffLj32ELj8ELj64ELb0ELb0ELb1EEEvllPKT_S5_PKT0_S8_PS3_S9_
	.p2align	8
	.type	_ZN2at6native12_GLOBAL__N_135GammaBetaBackwardCUDAKernelTemplateIffLj32ELj8ELj64ELb0ELb0ELb1EEEvllPKT_S5_PKT0_S8_PS3_S9_,@function
_ZN2at6native12_GLOBAL__N_135GammaBetaBackwardCUDAKernelTemplateIffLj32ELj8ELj64ELb0ELb0ELb1EEEvllPKT_S5_PKT0_S8_PS3_S9_: ; @_ZN2at6native12_GLOBAL__N_135GammaBetaBackwardCUDAKernelTemplateIffLj32ELj8ELj64ELb0ELb0ELb1EEEvllPKT_S5_PKT0_S8_PS3_S9_
; %bb.0:
	s_load_dwordx8 s[8:15], s[0:1], 0x0
	s_load_dwordx2 s[16:17], s[0:1], 0x28
	s_lshl_b32 s33, s2, 5
	s_mov_b32 s19, 0
	s_lshl_b32 s18, s3, 6
	s_or_b32 s4, s33, 31
	v_mov_b64_e32 v[4:5], s[18:19]
	v_mov_b32_e32 v2, s4
	v_mov_b32_e32 v3, 0
	s_waitcnt lgkmcnt(0)
	v_cmp_gt_i64_e64 s[4:5], s[8:9], v[4:5]
	v_cmp_le_i64_e32 vcc, s[10:11], v[2:3]
	s_nop 0
	v_cndmask_b32_e64 v1, 0, 1, s[4:5]
	v_cmp_ne_u32_e64 s[4:5], 1, v1
	s_cbranch_vccz .LBB157_49
; %bb.1:
	s_and_b64 vcc, exec, s[4:5]
	s_cbranch_vccnz .LBB157_50
; %bb.2:
	v_and_b32_e32 v1, 0x3ff, v0
	v_mov_b32_e32 v2, 0
	v_bfe_u32 v58, v0, 10, 10
	v_add_u32_e32 v4, s33, v1
	v_mov_b32_e32 v5, v2
	v_lshlrev_b32_e32 v20, 3, v58
	v_mov_b32_e32 v21, v2
	v_cmp_gt_i64_e64 s[6:7], s[10:11], v[4:5]
	v_lshlrev_b64 v[22:23], 2, v[4:5]
	v_lshl_add_u64 v[4:5], v[20:21], 0, s[18:19]
	v_mul_lo_u32 v3, s11, v4
	v_mul_lo_u32 v8, s10, v5
	v_mad_u64_u32 v[6:7], s[22:23], s10, v4, 0
	v_add3_u32 v7, v7, v8, v3
	v_lshlrev_b64 v[6:7], 2, v[6:7]
	v_lshl_add_u64 v[24:25], s[12:13], 0, v[6:7]
	v_lshl_add_u64 v[26:27], s[14:15], 0, v[6:7]
	v_lshl_add_u64 v[6:7], v[4:5], 0, 7
	v_mul_lo_u32 v9, s11, v6
	v_mul_lo_u32 v10, s10, v7
	v_mad_u64_u32 v[6:7], s[24:25], s10, v6, 0
	v_add3_u32 v7, v7, v10, v9
	v_lshlrev_b64 v[6:7], 2, v[6:7]
	v_lshl_add_u64 v[28:29], s[12:13], 0, v[6:7]
	v_lshl_add_u64 v[30:31], s[14:15], 0, v[6:7]
	v_lshl_add_u64 v[6:7], v[4:5], 0, 6
	v_mul_lo_u32 v9, s11, v6
	v_mul_lo_u32 v10, s10, v7
	v_mad_u64_u32 v[6:7], s[24:25], s10, v6, 0
	v_add3_u32 v7, v7, v10, v9
	v_lshlrev_b64 v[6:7], 2, v[6:7]
	v_lshl_add_u64 v[32:33], s[12:13], 0, v[6:7]
	v_lshl_add_u64 v[34:35], s[14:15], 0, v[6:7]
	v_lshl_add_u64 v[6:7], v[4:5], 0, 5
	v_mul_lo_u32 v9, s11, v6
	v_mul_lo_u32 v10, s10, v7
	v_mad_u64_u32 v[6:7], s[24:25], s10, v6, 0
	v_add3_u32 v7, v7, v10, v9
	v_lshlrev_b64 v[6:7], 2, v[6:7]
	v_lshl_add_u64 v[36:37], s[12:13], 0, v[6:7]
	v_lshl_add_u64 v[38:39], s[14:15], 0, v[6:7]
	v_lshl_add_u64 v[6:7], v[4:5], 0, 4
	v_mul_lo_u32 v9, s11, v6
	v_mul_lo_u32 v10, s10, v7
	v_mad_u64_u32 v[6:7], s[24:25], s10, v6, 0
	v_add3_u32 v7, v7, v10, v9
	v_lshlrev_b64 v[6:7], 2, v[6:7]
	v_lshl_add_u64 v[40:41], s[12:13], 0, v[6:7]
	v_lshl_add_u64 v[42:43], s[14:15], 0, v[6:7]
	v_lshl_add_u64 v[6:7], v[4:5], 0, 3
	v_mul_lo_u32 v9, s11, v6
	v_mul_lo_u32 v10, s10, v7
	v_mad_u64_u32 v[6:7], s[24:25], s10, v6, 0
	v_add3_u32 v7, v7, v10, v9
	s_load_dword s3, s[0:1], 0x44
	v_lshlrev_b64 v[6:7], 2, v[6:7]
	v_lshl_add_u64 v[44:45], s[12:13], 0, v[6:7]
	v_lshl_add_u64 v[46:47], s[14:15], 0, v[6:7]
	;; [unrolled: 1-line block ×3, first 2 shown]
	v_mul_lo_u32 v5, s11, v6
	v_mul_lo_u32 v9, s10, v7
	v_mad_u64_u32 v[6:7], s[24:25], s10, v6, 0
	v_add3_u32 v7, v7, v9, v5
	s_add_u32 s20, s0, 64
	v_lshlrev_b64 v[6:7], 2, v[6:7]
	s_addc_u32 s21, s1, 0
	s_waitcnt lgkmcnt(0)
	s_lshl_b32 s3, s3, 6
	v_lshl_add_u64 v[48:49], s[12:13], 0, v[6:7]
	v_lshl_add_u64 v[50:51], s[14:15], 0, v[6:7]
	v_mov_b64_e32 v[6:7], s[10:11]
	s_mul_i32 s22, s11, s3
	s_mul_hi_u32 s23, s10, s3
	v_mad_u64_u32 v[4:5], s[24:25], s10, v4, v[6:7]
	s_add_i32 s23, s23, s22
	s_mul_i32 s22, s10, s3
	v_add3_u32 v5, v3, v5, v8
	v_mbcnt_lo_u32_b32 v3, -1, 0
	s_lshl_b64 s[22:23], s[22:23], 2
	v_mbcnt_hi_u32_b32 v3, -1, v3
	v_lshlrev_b64 v[4:5], 2, v[4:5]
	s_add_u32 s24, s18, 63
	s_movk_i32 s26, 0xffc1
	s_movk_i32 s28, 0xffc2
	;; [unrolled: 1-line block ×8, first 2 shown]
	v_lshlrev_b32_e32 v3, 2, v3
	v_lshl_add_u64 v[52:53], s[12:13], 0, v[4:5]
	v_lshl_add_u64 v[54:55], s[14:15], 0, v[4:5]
	s_addc_u32 s25, 0, 0
	s_mov_b32 s27, -1
	s_mov_b32 s29, -1
	;; [unrolled: 1-line block ×8, first 2 shown]
	v_and_b32_e32 v59, 0x100, v3
	s_mov_b64 s[44:45], s[18:19]
	v_mov_b32_e32 v60, 0
.LBB157_3:                              ; =>This Inner Loop Header: Depth=1
	v_mov_b64_e32 v[4:5], s[8:9]
	v_cmp_ge_i64_e32 vcc, s[24:25], v[4:5]
	v_lshl_add_u64 v[56:57], v[20:21], 0, s[24:25]
	s_mov_b64 s[46:47], -1
	s_and_b64 vcc, exec, vcc
                                        ; implicit-def: $vgpr4_vgpr5_vgpr6_vgpr7_vgpr8_vgpr9_vgpr10_vgpr11
                                        ; implicit-def: $vgpr3
                                        ; implicit-def: $vgpr12_vgpr13_vgpr14_vgpr15_vgpr16_vgpr17_vgpr18_vgpr19
                                        ; implicit-def: $vgpr4
	s_cbranch_vccz .LBB157_25
; %bb.4:                                ;   in Loop: Header=BB157_3 Depth=1
	s_load_dword s46, s[20:21], 0xc
	v_mov_b32_e32 v61, 0
	s_waitcnt lgkmcnt(0)
	s_and_b32 s46, s46, 0xffff
	v_mad_u32_u24 v3, v58, s46, v1
	v_and_b32_e32 v4, 63, v3
	v_cmp_gt_u32_e32 vcc, 8, v4
	s_and_saveexec_b64 s[46:47], vcc
	s_cbranch_execz .LBB157_8
; %bb.5:                                ;   in Loop: Header=BB157_3 Depth=1
	v_mov_b32_e32 v5, v2
	v_lshl_add_u64 v[4:5], v[56:57], 0, v[4:5]
	v_lshl_add_u64 v[4:5], v[4:5], 0, s[26:27]
	v_cmp_gt_i64_e32 vcc, s[8:9], v[4:5]
	v_mov_b32_e32 v61, 0
	s_and_saveexec_b64 s[48:49], vcc
	s_cbranch_execz .LBB157_7
; %bb.6:                                ;   in Loop: Header=BB157_3 Depth=1
	v_lshl_add_u64 v[4:5], v[4:5], 2, s[16:17]
	global_load_dword v61, v[4:5], off
.LBB157_7:                              ;   in Loop: Header=BB157_3 Depth=1
	s_or_b64 exec, exec, s[48:49]
.LBB157_8:                              ;   in Loop: Header=BB157_3 Depth=1
	s_or_b64 exec, exec, s[46:47]
	v_lshl_add_u64 v[4:5], v[56:57], 0, s[26:27]
	v_mov_b32_e32 v8, v2
	v_mov_b32_e32 v9, v2
	v_cmp_gt_i64_e32 vcc, s[8:9], v[4:5]
	v_mov_b32_e32 v3, v2
	v_mov_b32_e32 v4, v2
	v_mov_b32_e32 v5, v2
	v_mov_b32_e32 v6, v2
	v_mov_b32_e32 v7, v2
	v_mov_b64_e32 v[18:19], v[8:9]
	v_mov_b64_e32 v[16:17], v[6:7]
	;; [unrolled: 1-line block ×5, first 2 shown]
	s_and_b64 s[48:49], s[6:7], vcc
	v_mov_b64_e32 v[8:9], v[6:7]
	v_mov_b64_e32 v[6:7], v[4:5]
	;; [unrolled: 1-line block ×3, first 2 shown]
	s_and_saveexec_b64 s[46:47], s[48:49]
	s_cbranch_execz .LBB157_10
; %bb.9:                                ;   in Loop: Header=BB157_3 Depth=1
	v_lshl_add_u64 v[4:5], v[24:25], 0, v[22:23]
	v_lshl_add_u64 v[6:7], v[26:27], 0, v[22:23]
	global_load_dword v4, v[4:5], off
	v_mov_b32_e32 v5, v2
	global_load_dword v12, v[6:7], off
	v_mov_b32_e32 v6, v2
	v_mov_b32_e32 v7, v2
	;; [unrolled: 1-line block ×13, first 2 shown]
.LBB157_10:                             ;   in Loop: Header=BB157_3 Depth=1
	s_or_b64 exec, exec, s[46:47]
	v_lshl_add_u64 v[62:63], v[56:57], 0, s[28:29]
	v_cmp_gt_i64_e32 vcc, s[8:9], v[62:63]
	s_and_b64 s[48:49], s[6:7], vcc
	s_and_saveexec_b64 s[46:47], s[48:49]
	s_cbranch_execz .LBB157_12
; %bb.11:                               ;   in Loop: Header=BB157_3 Depth=1
	v_lshl_add_u64 v[62:63], v[52:53], 0, v[22:23]
	global_load_dword v5, v[62:63], off
	v_lshl_add_u64 v[62:63], v[54:55], 0, v[22:23]
	global_load_dword v13, v[62:63], off
.LBB157_12:                             ;   in Loop: Header=BB157_3 Depth=1
	s_or_b64 exec, exec, s[46:47]
	v_lshl_add_u64 v[62:63], v[56:57], 0, s[30:31]
	v_cmp_gt_i64_e32 vcc, s[8:9], v[62:63]
	s_and_b64 s[48:49], s[6:7], vcc
	s_and_saveexec_b64 s[46:47], s[48:49]
	s_cbranch_execz .LBB157_14
; %bb.13:                               ;   in Loop: Header=BB157_3 Depth=1
	v_lshl_add_u64 v[62:63], v[48:49], 0, v[22:23]
	global_load_dword v6, v[62:63], off
	v_lshl_add_u64 v[62:63], v[50:51], 0, v[22:23]
	global_load_dword v14, v[62:63], off
.LBB157_14:                             ;   in Loop: Header=BB157_3 Depth=1
	s_or_b64 exec, exec, s[46:47]
	v_lshl_add_u64 v[62:63], v[56:57], 0, s[34:35]
	v_cmp_gt_i64_e32 vcc, s[8:9], v[62:63]
	s_and_b64 s[48:49], s[6:7], vcc
	s_and_saveexec_b64 s[46:47], s[48:49]
	s_cbranch_execz .LBB157_16
; %bb.15:                               ;   in Loop: Header=BB157_3 Depth=1
	v_lshl_add_u64 v[62:63], v[44:45], 0, v[22:23]
	global_load_dword v7, v[62:63], off
	v_lshl_add_u64 v[62:63], v[46:47], 0, v[22:23]
	global_load_dword v15, v[62:63], off
.LBB157_16:                             ;   in Loop: Header=BB157_3 Depth=1
	s_or_b64 exec, exec, s[46:47]
	v_lshl_add_u64 v[62:63], v[56:57], 0, s[36:37]
	v_cmp_gt_i64_e32 vcc, s[8:9], v[62:63]
	s_and_b64 s[48:49], s[6:7], vcc
	s_and_saveexec_b64 s[46:47], s[48:49]
	s_cbranch_execz .LBB157_18
; %bb.17:                               ;   in Loop: Header=BB157_3 Depth=1
	v_lshl_add_u64 v[62:63], v[40:41], 0, v[22:23]
	global_load_dword v8, v[62:63], off
	v_lshl_add_u64 v[62:63], v[42:43], 0, v[22:23]
	global_load_dword v16, v[62:63], off
.LBB157_18:                             ;   in Loop: Header=BB157_3 Depth=1
	s_or_b64 exec, exec, s[46:47]
	v_lshl_add_u64 v[62:63], v[56:57], 0, s[38:39]
	v_cmp_gt_i64_e32 vcc, s[8:9], v[62:63]
	s_and_b64 s[48:49], s[6:7], vcc
	s_and_saveexec_b64 s[46:47], s[48:49]
	s_cbranch_execz .LBB157_20
; %bb.19:                               ;   in Loop: Header=BB157_3 Depth=1
	v_lshl_add_u64 v[62:63], v[36:37], 0, v[22:23]
	global_load_dword v9, v[62:63], off
	v_lshl_add_u64 v[62:63], v[38:39], 0, v[22:23]
	global_load_dword v17, v[62:63], off
.LBB157_20:                             ;   in Loop: Header=BB157_3 Depth=1
	s_or_b64 exec, exec, s[46:47]
	v_lshl_add_u64 v[62:63], v[56:57], 0, s[40:41]
	v_cmp_gt_i64_e32 vcc, s[8:9], v[62:63]
	s_and_b64 s[48:49], s[6:7], vcc
	s_and_saveexec_b64 s[46:47], s[48:49]
	s_cbranch_execz .LBB157_22
; %bb.21:                               ;   in Loop: Header=BB157_3 Depth=1
	v_lshl_add_u64 v[62:63], v[32:33], 0, v[22:23]
	global_load_dword v10, v[62:63], off
	v_lshl_add_u64 v[62:63], v[34:35], 0, v[22:23]
	global_load_dword v18, v[62:63], off
.LBB157_22:                             ;   in Loop: Header=BB157_3 Depth=1
	s_or_b64 exec, exec, s[46:47]
	v_lshl_add_u64 v[62:63], v[56:57], 0, s[42:43]
	v_cmp_gt_i64_e32 vcc, s[8:9], v[62:63]
	s_and_b64 s[48:49], s[6:7], vcc
	s_and_saveexec_b64 s[46:47], s[48:49]
	s_cbranch_execz .LBB157_24
; %bb.23:                               ;   in Loop: Header=BB157_3 Depth=1
	v_lshl_add_u64 v[62:63], v[28:29], 0, v[22:23]
	global_load_dword v11, v[62:63], off
	v_lshl_add_u64 v[62:63], v[30:31], 0, v[22:23]
	global_load_dword v19, v[62:63], off
.LBB157_24:                             ;   in Loop: Header=BB157_3 Depth=1
	s_or_b64 exec, exec, s[46:47]
	s_waitcnt vmcnt(0)
	ds_bpermute_b32 v3, v59, v61
	ds_bpermute_b32 v62, v59, v61 offset:4
	ds_bpermute_b32 v63, v59, v61 offset:8
	v_mul_f32_e32 v4, v12, v4
	v_pk_mul_f32 v[8:9], v[16:17], v[8:9]
	s_waitcnt lgkmcnt(2)
	v_fma_f32 v16, v4, v3, v60
	v_pk_mul_f32 v[6:7], v[14:15], v[6:7]
	v_mul_f32_e32 v3, v13, v5
	ds_bpermute_b32 v14, v59, v61 offset:12
	ds_bpermute_b32 v15, v59, v61 offset:16
	v_pk_mov_b32 v[12:13], v[2:3], v[6:7] op_sel:[1,0]
	v_pk_mov_b32 v[6:7], v[6:7], v[8:9] op_sel:[1,0]
	s_waitcnt lgkmcnt(2)
	v_pk_mul_f32 v[12:13], v[12:13], v[62:63]
	v_mul_f32_e32 v4, v18, v10
	v_add_f32_e32 v3, v16, v12
	v_add_f32_e32 v3, v3, v13
	ds_bpermute_b32 v12, v59, v61 offset:20
	ds_bpermute_b32 v13, v59, v61 offset:24
	s_waitcnt lgkmcnt(2)
	v_pk_mul_f32 v[6:7], v[6:7], v[14:15]
	s_mov_b64 s[46:47], 0
	v_add_f32_e32 v3, v3, v6
	v_add_f32_e32 v3, v3, v7
	v_pk_mov_b32 v[6:7], v[8:9], v[4:5] op_sel:[1,0]
	ds_bpermute_b32 v4, v59, v61 offset:28
	s_waitcnt lgkmcnt(1)
	v_pk_mul_f32 v[6:7], v[6:7], v[12:13]
	s_nop 0
	v_add_f32_e32 v3, v3, v6
	v_add_f32_e32 v3, v3, v7
.LBB157_25:                             ;   in Loop: Header=BB157_3 Depth=1
	s_and_b64 vcc, exec, s[46:47]
	s_cbranch_vccz .LBB157_40
; %bb.26:                               ;   in Loop: Header=BB157_3 Depth=1
	s_load_dword s46, s[20:21], 0x0
	v_mov_b32_e32 v61, 0
	s_waitcnt lgkmcnt(0)
	s_cmp_lt_u32 s2, s46
	s_cselect_b32 s46, 12, 18
	s_add_u32 s46, s20, s46
	s_addc_u32 s47, s21, 0
	global_load_ushort v3, v2, s[46:47]
	s_waitcnt vmcnt(0)
	v_mad_u32_u24 v3, v58, v3, v1
	v_and_b32_e32 v4, 63, v3
	v_cmp_gt_u32_e32 vcc, 8, v4
	s_and_saveexec_b64 s[46:47], vcc
	s_cbranch_execz .LBB157_30
; %bb.27:                               ;   in Loop: Header=BB157_3 Depth=1
	v_mov_b32_e32 v5, v2
	v_lshl_add_u64 v[4:5], v[56:57], 0, v[4:5]
	v_lshl_add_u64 v[4:5], v[4:5], 0, s[26:27]
	v_cmp_gt_i64_e32 vcc, s[8:9], v[4:5]
	v_mov_b32_e32 v61, 0
	s_and_saveexec_b64 s[48:49], vcc
	s_cbranch_execz .LBB157_29
; %bb.28:                               ;   in Loop: Header=BB157_3 Depth=1
	v_lshl_add_u64 v[4:5], v[4:5], 2, s[16:17]
	global_load_dword v61, v[4:5], off
.LBB157_29:                             ;   in Loop: Header=BB157_3 Depth=1
	s_or_b64 exec, exec, s[48:49]
.LBB157_30:                             ;   in Loop: Header=BB157_3 Depth=1
	s_or_b64 exec, exec, s[46:47]
	v_mov_b32_e32 v8, v2
	v_mov_b32_e32 v9, v2
	;; [unrolled: 1-line block ×7, first 2 shown]
	v_mov_b64_e32 v[18:19], v[8:9]
	v_mov_b64_e32 v[16:17], v[6:7]
	;; [unrolled: 1-line block ×8, first 2 shown]
	s_and_saveexec_b64 s[46:47], s[6:7]
	s_cbranch_execnz .LBB157_42
; %bb.31:                               ;   in Loop: Header=BB157_3 Depth=1
	s_or_b64 exec, exec, s[46:47]
	s_and_saveexec_b64 s[46:47], s[6:7]
	s_cbranch_execnz .LBB157_43
.LBB157_32:                             ;   in Loop: Header=BB157_3 Depth=1
	s_or_b64 exec, exec, s[46:47]
	s_and_saveexec_b64 s[46:47], s[6:7]
	s_cbranch_execnz .LBB157_44
.LBB157_33:                             ;   in Loop: Header=BB157_3 Depth=1
	s_or_b64 exec, exec, s[46:47]
	s_and_saveexec_b64 s[46:47], s[6:7]
	s_cbranch_execnz .LBB157_45
.LBB157_34:                             ;   in Loop: Header=BB157_3 Depth=1
	s_or_b64 exec, exec, s[46:47]
	s_and_saveexec_b64 s[46:47], s[6:7]
	s_cbranch_execnz .LBB157_46
.LBB157_35:                             ;   in Loop: Header=BB157_3 Depth=1
	s_or_b64 exec, exec, s[46:47]
	s_and_saveexec_b64 s[46:47], s[6:7]
	s_cbranch_execnz .LBB157_47
.LBB157_36:                             ;   in Loop: Header=BB157_3 Depth=1
	s_or_b64 exec, exec, s[46:47]
	s_and_saveexec_b64 s[46:47], s[6:7]
	s_cbranch_execnz .LBB157_48
.LBB157_37:                             ;   in Loop: Header=BB157_3 Depth=1
	s_or_b64 exec, exec, s[46:47]
	s_and_saveexec_b64 s[46:47], s[6:7]
	s_cbranch_execz .LBB157_39
.LBB157_38:                             ;   in Loop: Header=BB157_3 Depth=1
	v_lshl_add_u64 v[56:57], v[28:29], 0, v[22:23]
	global_load_dword v11, v[56:57], off
	v_lshl_add_u64 v[56:57], v[30:31], 0, v[22:23]
	global_load_dword v19, v[56:57], off
.LBB157_39:                             ;   in Loop: Header=BB157_3 Depth=1
	s_or_b64 exec, exec, s[46:47]
	s_waitcnt vmcnt(0)
	ds_bpermute_b32 v3, v59, v61
	ds_bpermute_b32 v56, v59, v61 offset:4
	ds_bpermute_b32 v57, v59, v61 offset:8
	v_mul_f32_e32 v4, v12, v4
	v_pk_mul_f32 v[6:7], v[14:15], v[6:7]
	s_waitcnt lgkmcnt(2)
	v_fmac_f32_e32 v60, v4, v3
	v_mul_f32_e32 v3, v13, v5
	v_pk_mov_b32 v[4:5], v[2:3], v[6:7] op_sel:[1,0]
	ds_bpermute_b32 v12, v59, v61 offset:12
	ds_bpermute_b32 v13, v59, v61 offset:16
	s_waitcnt lgkmcnt(2)
	v_pk_mul_f32 v[4:5], v[4:5], v[56:57]
	v_pk_mul_f32 v[8:9], v[16:17], v[8:9]
	v_add_f32_e32 v3, v60, v4
	v_add_f32_e32 v3, v3, v5
	v_pk_mov_b32 v[4:5], v[6:7], v[8:9] op_sel:[1,0]
	ds_bpermute_b32 v6, v59, v61 offset:20
	ds_bpermute_b32 v7, v59, v61 offset:24
	s_waitcnt lgkmcnt(2)
	v_pk_mul_f32 v[4:5], v[4:5], v[12:13]
	v_mul_f32_e32 v10, v18, v10
	v_add_f32_e32 v3, v3, v4
	ds_bpermute_b32 v4, v59, v61 offset:28
	v_pk_mov_b32 v[8:9], v[8:9], v[10:11] op_sel:[1,0]
	v_add_f32_e32 v3, v3, v5
	s_waitcnt lgkmcnt(1)
	v_pk_mul_f32 v[6:7], v[8:9], v[6:7]
	s_nop 0
	v_add_f32_e32 v3, v3, v6
	v_add_f32_e32 v3, v3, v7
.LBB157_40:                             ;   in Loop: Header=BB157_3 Depth=1
	v_mul_f32_e32 v5, v11, v19
	s_add_u32 s44, s44, s3
	s_waitcnt lgkmcnt(0)
	v_fmac_f32_e32 v3, v5, v4
	s_addc_u32 s45, s45, 0
	v_mov_b64_e32 v[4:5], s[8:9]
	s_add_u32 s24, s24, s3
	v_cmp_lt_i64_e32 vcc, s[44:45], v[4:5]
	v_lshl_add_u64 v[24:25], v[24:25], 0, s[22:23]
	v_lshl_add_u64 v[26:27], v[26:27], 0, s[22:23]
	;; [unrolled: 1-line block ×16, first 2 shown]
	s_addc_u32 s25, s25, 0
	s_cbranch_vccz .LBB157_50
; %bb.41:                               ;   in Loop: Header=BB157_3 Depth=1
	v_mov_b32_e32 v60, v3
	s_branch .LBB157_3
.LBB157_42:                             ;   in Loop: Header=BB157_3 Depth=1
	v_lshl_add_u64 v[4:5], v[24:25], 0, v[22:23]
	v_lshl_add_u64 v[6:7], v[26:27], 0, v[22:23]
	global_load_dword v4, v[4:5], off
	v_mov_b32_e32 v5, v2
	global_load_dword v12, v[6:7], off
	v_mov_b32_e32 v6, v2
	v_mov_b32_e32 v7, v2
	;; [unrolled: 1-line block ×13, first 2 shown]
	s_or_b64 exec, exec, s[46:47]
	s_and_saveexec_b64 s[46:47], s[6:7]
	s_cbranch_execz .LBB157_32
.LBB157_43:                             ;   in Loop: Header=BB157_3 Depth=1
	v_lshl_add_u64 v[56:57], v[52:53], 0, v[22:23]
	global_load_dword v5, v[56:57], off
	v_lshl_add_u64 v[56:57], v[54:55], 0, v[22:23]
	global_load_dword v13, v[56:57], off
	s_or_b64 exec, exec, s[46:47]
	s_and_saveexec_b64 s[46:47], s[6:7]
	s_cbranch_execz .LBB157_33
.LBB157_44:                             ;   in Loop: Header=BB157_3 Depth=1
	v_lshl_add_u64 v[56:57], v[48:49], 0, v[22:23]
	global_load_dword v6, v[56:57], off
	v_lshl_add_u64 v[56:57], v[50:51], 0, v[22:23]
	global_load_dword v14, v[56:57], off
	s_or_b64 exec, exec, s[46:47]
	s_and_saveexec_b64 s[46:47], s[6:7]
	s_cbranch_execz .LBB157_34
.LBB157_45:                             ;   in Loop: Header=BB157_3 Depth=1
	v_lshl_add_u64 v[56:57], v[44:45], 0, v[22:23]
	global_load_dword v7, v[56:57], off
	v_lshl_add_u64 v[56:57], v[46:47], 0, v[22:23]
	global_load_dword v15, v[56:57], off
	s_or_b64 exec, exec, s[46:47]
	s_and_saveexec_b64 s[46:47], s[6:7]
	s_cbranch_execz .LBB157_35
.LBB157_46:                             ;   in Loop: Header=BB157_3 Depth=1
	v_lshl_add_u64 v[56:57], v[40:41], 0, v[22:23]
	global_load_dword v8, v[56:57], off
	v_lshl_add_u64 v[56:57], v[42:43], 0, v[22:23]
	global_load_dword v16, v[56:57], off
	s_or_b64 exec, exec, s[46:47]
	s_and_saveexec_b64 s[46:47], s[6:7]
	s_cbranch_execz .LBB157_36
.LBB157_47:                             ;   in Loop: Header=BB157_3 Depth=1
	v_lshl_add_u64 v[56:57], v[36:37], 0, v[22:23]
	global_load_dword v9, v[56:57], off
	v_lshl_add_u64 v[56:57], v[38:39], 0, v[22:23]
	global_load_dword v17, v[56:57], off
	s_or_b64 exec, exec, s[46:47]
	s_and_saveexec_b64 s[46:47], s[6:7]
	s_cbranch_execz .LBB157_37
.LBB157_48:                             ;   in Loop: Header=BB157_3 Depth=1
	v_lshl_add_u64 v[56:57], v[32:33], 0, v[22:23]
	global_load_dword v10, v[56:57], off
	v_lshl_add_u64 v[56:57], v[34:35], 0, v[22:23]
	global_load_dword v18, v[56:57], off
	s_or_b64 exec, exec, s[46:47]
	s_and_saveexec_b64 s[46:47], s[6:7]
	s_cbranch_execnz .LBB157_38
	s_branch .LBB157_39
.LBB157_49:
                                        ; implicit-def: $vgpr3
	s_branch .LBB157_51
.LBB157_50:
	s_cbranch_execnz .LBB157_83
.LBB157_51:
	s_and_b64 vcc, exec, s[4:5]
	v_mov_b32_e32 v3, 0
	s_cbranch_vccnz .LBB157_83
; %bb.52:
	v_mov_b32_e32 v2, 0
	v_bfe_u32 v86, v0, 10, 10
	v_lshlrev_b32_e32 v6, 5, v86
	v_mov_b32_e32 v7, v2
	v_lshl_add_u64 v[6:7], s[18:19], 2, v[6:7]
	v_lshl_add_u64 v[8:9], v[6:7], 0, 4
	v_mov_b64_e32 v[10:11], s[12:13]
	v_lshl_add_u64 v[12:13], v[6:7], 0, 8
	v_lshl_add_u64 v[14:15], v[6:7], 0, 12
	;; [unrolled: 1-line block ×6, first 2 shown]
	v_mad_u64_u32 v[22:23], s[4:5], s10, v8, v[10:11]
	v_mad_u64_u32 v[24:25], s[4:5], s10, v12, v[10:11]
	;; [unrolled: 1-line block ×7, first 2 shown]
	v_mov_b64_e32 v[10:11], s[14:15]
	v_mul_lo_u32 v9, s10, v9
	v_mul_lo_u32 v38, s11, v8
	v_mad_u64_u32 v[36:37], s[4:5], s10, v8, v[10:11]
	v_add3_u32 v23, v38, v23, v9
	v_mul_lo_u32 v13, s10, v13
	v_mul_lo_u32 v40, s11, v12
	v_add3_u32 v37, v38, v37, v9
	v_mad_u64_u32 v[38:39], s[4:5], s10, v12, v[10:11]
	v_add3_u32 v25, v40, v25, v13
	v_mul_lo_u32 v15, s10, v15
	v_mul_lo_u32 v42, s11, v14
	v_add3_u32 v39, v40, v39, v13
	;; [unrolled: 5-line block ×3, first 2 shown]
	v_mad_u64_u32 v[42:43], s[4:5], s10, v16, v[10:11]
	v_lshlrev_b32_e32 v20, 3, v86
	v_mov_b32_e32 v21, v2
	v_add3_u32 v29, v44, v29, v17
	v_mul_lo_u32 v19, s10, v19
	v_mul_lo_u32 v48, s11, v18
	v_mul_lo_u32 v49, s10, v47
	v_mul_lo_u32 v51, s11, v46
	v_add3_u32 v43, v44, v43, v17
	v_mad_u64_u32 v[44:45], s[4:5], s10, v18, v[10:11]
	v_mad_u64_u32 v[46:47], s[4:5], s10, v46, v[10:11]
	v_lshl_add_u64 v[4:5], v[20:21], 0, s[18:19]
	v_add3_u32 v31, v48, v31, v19
	v_add3_u32 v33, v51, v33, v49
	v_mul_lo_u32 v7, s10, v7
	v_mul_lo_u32 v8, s11, v6
	v_add3_u32 v45, v48, v45, v19
	v_add3_u32 v47, v51, v47, v49
	v_mad_u64_u32 v[48:49], s[4:5], s10, v6, v[10:11]
	v_add3_u32 v35, v8, v35, v7
	v_add3_u32 v49, v8, v49, v7
	v_lshl_add_u64 v[6:7], v[4:5], 0, 7
	v_mul_lo_u32 v8, s11, v6
	v_mul_lo_u32 v9, s10, v7
	v_mad_u64_u32 v[6:7], s[4:5], s10, v6, 0
	v_add3_u32 v7, v7, v9, v8
	v_lshl_add_u64 v[8:9], v[4:5], 0, 6
	v_mul_lo_u32 v10, s11, v8
	v_mul_lo_u32 v11, s10, v9
	v_mad_u64_u32 v[8:9], s[4:5], s10, v8, 0
	;; [unrolled: 5-line block ×5, first 2 shown]
	v_add3_u32 v15, v15, v17, v16
	v_lshl_add_u64 v[16:17], v[4:5], 0, 2
	v_mul_lo_u32 v50, s10, v5
	v_mul_lo_u32 v5, s11, v16
	;; [unrolled: 1-line block ×3, first 2 shown]
	v_mad_u64_u32 v[16:17], s[4:5], s10, v16, 0
	v_add3_u32 v17, v17, v18, v5
	v_mov_b64_e32 v[18:19], s[10:11]
	v_mul_lo_u32 v3, s11, v4
	v_mad_u64_u32 v[18:19], s[4:5], s10, v4, v[18:19]
	v_mad_u64_u32 v[4:5], s[4:5], s10, v4, 0
	s_load_dword s3, s[0:1], 0x44
	v_add3_u32 v5, v5, v50, v3
	v_lshlrev_b64 v[4:5], 2, v[4:5]
	v_lshl_add_u64 v[52:53], s[12:13], 0, v[4:5]
	v_lshl_add_u64 v[54:55], s[14:15], 0, v[4:5]
	v_lshlrev_b64 v[4:5], 2, v[6:7]
	v_lshl_add_u64 v[56:57], s[12:13], 0, v[4:5]
	v_lshl_add_u64 v[58:59], s[14:15], 0, v[4:5]
	v_lshlrev_b64 v[4:5], 2, v[8:9]
	s_add_u32 s4, s0, 64
	v_lshl_add_u64 v[60:61], s[12:13], 0, v[4:5]
	v_lshl_add_u64 v[62:63], s[14:15], 0, v[4:5]
	v_lshlrev_b64 v[4:5], 2, v[10:11]
	s_addc_u32 s5, s1, 0
	s_waitcnt lgkmcnt(0)
	s_lshl_b32 s3, s3, 6
	v_lshl_add_u64 v[64:65], s[12:13], 0, v[4:5]
	v_lshl_add_u64 v[66:67], s[14:15], 0, v[4:5]
	v_lshlrev_b64 v[4:5], 2, v[12:13]
	s_mul_i32 s6, s11, s3
	s_mul_hi_u32 s7, s10, s3
	v_lshl_add_u64 v[68:69], s[12:13], 0, v[4:5]
	v_lshl_add_u64 v[70:71], s[14:15], 0, v[4:5]
	v_lshlrev_b64 v[4:5], 2, v[14:15]
	v_add3_u32 v19, v3, v19, v50
	s_add_i32 s7, s7, s6
	s_mul_i32 s6, s10, s3
	v_lshl_add_u64 v[72:73], s[12:13], 0, v[4:5]
	v_lshl_add_u64 v[74:75], s[14:15], 0, v[4:5]
	v_lshlrev_b64 v[4:5], 2, v[16:17]
	v_mbcnt_lo_u32_b32 v3, -1, 0
	v_and_b32_e32 v1, 0x3ff, v0
	s_lshl_b64 s[6:7], s[6:7], 2
	v_lshl_add_u64 v[76:77], s[12:13], 0, v[4:5]
	v_lshl_add_u64 v[78:79], s[14:15], 0, v[4:5]
	v_lshlrev_b64 v[4:5], 2, v[18:19]
	v_mbcnt_hi_u32_b32 v3, -1, v3
	v_add_u32_e32 v50, s33, v1
	v_mov_b32_e32 v51, v2
	s_add_u32 s20, s18, 63
	v_lshl_add_u64 v[80:81], s[12:13], 0, v[4:5]
	v_lshl_add_u64 v[82:83], s[14:15], 0, v[4:5]
	s_movk_i32 s12, 0xffc1
	s_movk_i32 s14, 0xffc2
	;; [unrolled: 1-line block ×8, first 2 shown]
	v_lshlrev_b32_e32 v3, 2, v3
	v_lshlrev_b64 v[50:51], 2, v[50:51]
	s_addc_u32 s21, 0, 0
	s_mov_b32 s13, -1
	s_mov_b32 s15, -1
	;; [unrolled: 1-line block ×8, first 2 shown]
	v_and_b32_e32 v87, 0x100, v3
	v_mov_b32_e32 v88, 0
.LBB157_53:                             ; =>This Inner Loop Header: Depth=1
	v_mov_b64_e32 v[4:5], s[8:9]
	v_cmp_ge_i64_e32 vcc, s[20:21], v[4:5]
	v_lshl_add_u64 v[84:85], v[20:21], 0, s[20:21]
	s_mov_b64 s[36:37], -1
                                        ; implicit-def: $vgpr3
	s_cbranch_vccz .LBB157_75
; %bb.54:                               ;   in Loop: Header=BB157_53 Depth=1
	s_load_dword s33, s[4:5], 0xc
	v_mov_b32_e32 v89, 0
	s_waitcnt lgkmcnt(0)
	s_and_b32 s33, s33, 0xffff
	v_mad_u32_u24 v3, v86, s33, v1
	v_and_b32_e32 v4, 63, v3
	v_cmp_gt_u32_e32 vcc, 8, v4
	s_and_saveexec_b64 s[36:37], vcc
	s_cbranch_execz .LBB157_58
; %bb.55:                               ;   in Loop: Header=BB157_53 Depth=1
	v_mov_b32_e32 v5, v2
	v_lshl_add_u64 v[4:5], v[84:85], 0, v[4:5]
	v_lshl_add_u64 v[4:5], v[4:5], 0, s[12:13]
	v_cmp_gt_i64_e32 vcc, s[8:9], v[4:5]
	v_mov_b32_e32 v89, 0
	s_and_saveexec_b64 s[38:39], vcc
	s_cbranch_execz .LBB157_57
; %bb.56:                               ;   in Loop: Header=BB157_53 Depth=1
	v_lshl_add_u64 v[4:5], v[4:5], 2, s[16:17]
	global_load_dword v89, v[4:5], off
.LBB157_57:                             ;   in Loop: Header=BB157_53 Depth=1
	s_or_b64 exec, exec, s[38:39]
.LBB157_58:                             ;   in Loop: Header=BB157_53 Depth=1
	s_or_b64 exec, exec, s[36:37]
	v_lshl_add_u64 v[4:5], v[84:85], 0, s[12:13]
	v_mov_b32_e32 v8, v2
	v_mov_b32_e32 v9, v2
	v_cmp_gt_i64_e32 vcc, s[8:9], v[4:5]
	v_mov_b32_e32 v3, v2
	v_mov_b32_e32 v4, v2
	;; [unrolled: 1-line block ×5, first 2 shown]
	v_mov_b64_e32 v[18:19], v[8:9]
	v_mov_b64_e32 v[16:17], v[6:7]
	;; [unrolled: 1-line block ×8, first 2 shown]
	s_and_saveexec_b64 s[36:37], vcc
	s_cbranch_execz .LBB157_60
; %bb.59:                               ;   in Loop: Header=BB157_53 Depth=1
	v_lshl_add_u64 v[4:5], v[52:53], 0, v[50:51]
	v_lshl_add_u64 v[6:7], v[54:55], 0, v[50:51]
	global_load_dword v4, v[4:5], off
	v_mov_b32_e32 v5, v2
	global_load_dword v12, v[6:7], off
	v_mov_b32_e32 v6, v2
	v_mov_b32_e32 v7, v2
	;; [unrolled: 1-line block ×13, first 2 shown]
.LBB157_60:                             ;   in Loop: Header=BB157_53 Depth=1
	s_or_b64 exec, exec, s[36:37]
	v_lshl_add_u64 v[90:91], v[84:85], 0, s[14:15]
	v_cmp_gt_i64_e32 vcc, s[8:9], v[90:91]
	s_and_saveexec_b64 s[36:37], vcc
	s_cbranch_execz .LBB157_62
; %bb.61:                               ;   in Loop: Header=BB157_53 Depth=1
	v_lshl_add_u64 v[90:91], v[80:81], 0, v[50:51]
	global_load_dword v5, v[90:91], off
	v_lshl_add_u64 v[90:91], v[82:83], 0, v[50:51]
	global_load_dword v13, v[90:91], off
.LBB157_62:                             ;   in Loop: Header=BB157_53 Depth=1
	s_or_b64 exec, exec, s[36:37]
	v_lshl_add_u64 v[90:91], v[84:85], 0, s[22:23]
	v_cmp_gt_i64_e32 vcc, s[8:9], v[90:91]
	s_and_saveexec_b64 s[36:37], vcc
	s_cbranch_execz .LBB157_64
; %bb.63:                               ;   in Loop: Header=BB157_53 Depth=1
	v_lshl_add_u64 v[90:91], v[76:77], 0, v[50:51]
	global_load_dword v6, v[90:91], off
	v_lshl_add_u64 v[90:91], v[78:79], 0, v[50:51]
	global_load_dword v14, v[90:91], off
.LBB157_64:                             ;   in Loop: Header=BB157_53 Depth=1
	;; [unrolled: 11-line block ×7, first 2 shown]
	s_or_b64 exec, exec, s[36:37]
	s_waitcnt vmcnt(0)
	ds_bpermute_b32 v90, v87, v89
	ds_bpermute_b32 v91, v87, v89 offset:4
	v_pk_mul_f32 v[6:7], v[14:15], v[6:7]
	ds_bpermute_b32 v14, v87, v89 offset:8
	ds_bpermute_b32 v15, v87, v89 offset:12
	v_pk_mul_f32 v[4:5], v[12:13], v[4:5]
	ds_bpermute_b32 v12, v87, v89 offset:24
	s_waitcnt lgkmcnt(3)
	v_pk_mul_f32 v[4:5], v[4:5], v[90:91]
	ds_bpermute_b32 v13, v87, v89 offset:28
	v_add_f32_e32 v3, v88, v4
	v_add_f32_e32 v3, v3, v5
	s_waitcnt lgkmcnt(2)
	v_pk_mul_f32 v[4:5], v[6:7], v[14:15]
	ds_bpermute_b32 v6, v87, v89 offset:16
	ds_bpermute_b32 v7, v87, v89 offset:20
	v_pk_mul_f32 v[8:9], v[16:17], v[8:9]
	v_add_f32_e32 v3, v3, v4
	v_add_f32_e32 v3, v3, v5
	v_pk_mul_f32 v[10:11], v[18:19], v[10:11]
	s_waitcnt lgkmcnt(0)
	v_pk_mul_f32 v[4:5], v[8:9], v[6:7]
	s_mov_b64 s[36:37], 0
	v_add_f32_e32 v3, v3, v4
	v_add_f32_e32 v3, v3, v5
	v_pk_mul_f32 v[4:5], v[10:11], v[12:13]
	s_nop 0
	v_add_f32_e32 v3, v3, v4
	v_add_f32_e32 v3, v3, v5
.LBB157_75:                             ;   in Loop: Header=BB157_53 Depth=1
	s_and_b64 vcc, exec, s[36:37]
	s_cbranch_vccz .LBB157_81
; %bb.76:                               ;   in Loop: Header=BB157_53 Depth=1
	s_load_dword s33, s[4:5], 0x0
	s_waitcnt lgkmcnt(0)
	s_cmp_lt_u32 s2, s33
	s_cselect_b32 s33, 12, 18
	s_add_u32 s36, s4, s33
	s_addc_u32 s37, s5, 0
	global_load_ushort v3, v2, s[36:37]
	s_waitcnt vmcnt(0)
	v_mad_u32_u24 v3, v86, v3, v1
	v_and_b32_e32 v4, 63, v3
	v_cmp_gt_u32_e32 vcc, 8, v4
	v_mov_b32_e32 v3, 0
	s_and_saveexec_b64 s[36:37], vcc
	s_cbranch_execz .LBB157_80
; %bb.77:                               ;   in Loop: Header=BB157_53 Depth=1
	v_mov_b32_e32 v5, v2
	v_lshl_add_u64 v[4:5], v[84:85], 0, v[4:5]
	v_lshl_add_u64 v[4:5], v[4:5], 0, s[12:13]
	v_cmp_gt_i64_e32 vcc, s[8:9], v[4:5]
	v_mov_b32_e32 v3, 0
	s_and_saveexec_b64 s[38:39], vcc
	s_cbranch_execz .LBB157_79
; %bb.78:                               ;   in Loop: Header=BB157_53 Depth=1
	v_lshl_add_u64 v[4:5], v[4:5], 2, s[16:17]
	global_load_dword v3, v[4:5], off
.LBB157_79:                             ;   in Loop: Header=BB157_53 Depth=1
	s_or_b64 exec, exec, s[38:39]
.LBB157_80:                             ;   in Loop: Header=BB157_53 Depth=1
	s_or_b64 exec, exec, s[36:37]
	v_lshl_add_u64 v[4:5], v[52:53], 0, v[50:51]
	v_lshl_add_u64 v[8:9], v[22:23], 0, v[50:51]
	global_load_dword v4, v[4:5], off
	v_lshl_add_u64 v[6:7], v[54:55], 0, v[50:51]
	global_load_dword v5, v[8:9], off
	;; [unrolled: 2-line block ×15, first 2 shown]
	s_waitcnt vmcnt(15)
	ds_bpermute_b32 v90, v87, v3 offset:8
	global_load_dword v19, v[84:85], off
	ds_bpermute_b32 v84, v87, v3
	ds_bpermute_b32 v85, v87, v3 offset:4
	ds_bpermute_b32 v91, v87, v3 offset:12
	;; [unrolled: 1-line block ×6, first 2 shown]
	s_waitcnt vmcnt(12)
	v_pk_mul_f32 v[4:5], v[4:5], v[6:7]
	s_waitcnt lgkmcnt(5)
	v_pk_mul_f32 v[4:5], v[4:5], v[84:85]
	s_waitcnt vmcnt(8)
	v_pk_mul_f32 v[6:7], v[8:9], v[10:11]
	v_add_f32_e32 v3, v88, v4
	s_waitcnt lgkmcnt(4)
	v_pk_mul_f32 v[6:7], v[6:7], v[90:91]
	v_add_f32_e32 v3, v3, v5
	v_add_f32_e32 v3, v3, v6
	v_add_f32_e32 v3, v3, v7
	s_waitcnt vmcnt(4)
	v_pk_mul_f32 v[8:9], v[12:13], v[14:15]
	s_waitcnt lgkmcnt(2)
	v_pk_mul_f32 v[8:9], v[8:9], v[92:93]
	s_waitcnt vmcnt(0)
	v_pk_mul_f32 v[10:11], v[16:17], v[18:19]
	v_add_f32_e32 v3, v3, v8
	v_add_f32_e32 v3, v3, v9
	s_waitcnt lgkmcnt(0)
	v_pk_mul_f32 v[4:5], v[10:11], v[94:95]
	s_nop 0
	v_add_f32_e32 v3, v3, v4
	v_add_f32_e32 v3, v3, v5
.LBB157_81:                             ;   in Loop: Header=BB157_53 Depth=1
	s_add_u32 s18, s18, s3
	s_addc_u32 s19, s19, 0
	v_mov_b64_e32 v[4:5], s[8:9]
	s_add_u32 s20, s20, s3
	v_cmp_ge_i64_e32 vcc, s[18:19], v[4:5]
	v_lshl_add_u64 v[52:53], v[52:53], 0, s[6:7]
	v_lshl_add_u64 v[54:55], v[54:55], 0, s[6:7]
	s_addc_u32 s21, s21, 0
	v_lshl_add_u64 v[22:23], v[22:23], 0, s[6:7]
	v_lshl_add_u64 v[24:25], v[24:25], 0, s[6:7]
	;; [unrolled: 1-line block ×28, first 2 shown]
	s_cbranch_vccnz .LBB157_83
; %bb.82:                               ;   in Loop: Header=BB157_53 Depth=1
	v_mov_b32_e32 v88, v3
	s_branch .LBB157_53
.LBB157_83:
	v_and_b32_e32 v1, 0x3ff, v0
	v_bfe_u32 v0, v0, 10, 10
	v_mad_u32_u24 v2, v0, 33, v1
	v_lshl_add_u32 v4, v2, 2, 0
	v_sub_u32_e32 v5, v2, v0
	s_movk_i32 s3, 0x800
	ds_write_b32 v4, v3
	v_mov_b32_e32 v3, 0
	v_cmp_gt_u32_e32 vcc, s3, v5
	ds_write_b32 v4, v3 offset:1056
	s_waitcnt lgkmcnt(0)
	s_barrier
	s_and_saveexec_b64 s[4:5], vcc
	s_cbranch_execz .LBB157_123
; %bb.84:
	s_load_dwordx2 s[4:5], s[0:1], 0x30
	v_and_b32_e32 v2, 63, v5
	v_lshrrev_b32_e32 v0, 6, v5
	v_cmp_gt_u32_e32 vcc, 8, v2
	v_mul_u32_u24_e32 v4, 33, v2
                                        ; implicit-def: $vgpr2
	s_and_saveexec_b64 s[0:1], vcc
; %bb.85:
	v_lshlrev_b32_e32 v2, 2, v0
	v_lshlrev_b32_e32 v3, 2, v4
	v_add3_u32 v2, 0, v2, v3
	ds_read_b32 v2, v2
; %bb.86:
	s_or_b64 exec, exec, s[0:1]
	v_mbcnt_lo_u32_b32 v3, -1, 0
	v_mbcnt_hi_u32_b32 v3, -1, v3
	v_and_b32_e32 v6, 64, v3
	v_add_u32_e32 v8, 64, v6
	v_xor_b32_e32 v6, 4, v3
	v_cmp_lt_i32_e64 s[0:1], v6, v8
	v_xor_b32_e32 v9, 2, v3
	v_xor_b32_e32 v10, 1, v3
	v_cndmask_b32_e64 v6, v3, v6, s[0:1]
	v_lshlrev_b32_e32 v6, 2, v6
	s_waitcnt lgkmcnt(0)
	ds_bpermute_b32 v7, v6, v2
	v_cmp_lt_i32_e64 s[0:1], v9, v8
	s_mov_b32 s3, 0
	s_lshl_b64 s[6:7], s[2:3], 5
	s_cmp_eq_u64 s[4:5], 0
	s_waitcnt lgkmcnt(0)
	v_add_f32_e32 v2, v2, v7
	v_cndmask_b32_e64 v7, v3, v9, s[0:1]
	v_lshlrev_b32_e32 v7, 2, v7
	ds_bpermute_b32 v9, v7, v2
	v_cmp_lt_i32_e64 s[0:1], v10, v8
	s_cselect_b64 s[8:9], -1, 0
	s_waitcnt lgkmcnt(0)
	v_add_f32_e32 v2, v2, v9
	v_cndmask_b32_e64 v3, v3, v10, s[0:1]
	v_lshlrev_b32_e32 v8, 2, v3
	ds_bpermute_b32 v3, v8, v2
	v_cmp_ne_u32_e64 s[0:1], 0, v1
	s_waitcnt lgkmcnt(0)
	v_add_f32_e32 v9, v2, v3
	v_or_b32_e32 v2, s6, v0
	v_mov_b32_e32 v3, s7
	v_cmp_le_i64_e64 s[2:3], s[10:11], v[2:3]
	s_or_b64 s[2:3], s[0:1], s[2:3]
	s_nor_b64 s[12:13], s[8:9], s[2:3]
	s_and_saveexec_b64 s[2:3], s[12:13]
	s_cbranch_execz .LBB157_88
; %bb.87:
	v_lshl_add_u64 v[2:3], v[2:3], 2, s[4:5]
	global_store_dword v[2:3], v9, off
.LBB157_88:
	s_or_b64 exec, exec, s[2:3]
	s_movk_i32 s2, 0x700
	v_cmp_gt_u32_e64 s[2:3], s2, v5
	s_and_b64 exec, exec, s[2:3]
	s_cbranch_execz .LBB157_123
; %bb.89:
	v_mov_b32_e32 v1, 0
	s_and_saveexec_b64 s[2:3], vcc
; %bb.90:
	v_lshlrev_b32_e32 v2, 2, v0
	v_lshlrev_b32_e32 v3, 2, v4
	v_add3_u32 v2, 0, v2, v3
	ds_read_b32 v9, v2 offset:16
; %bb.91:
	s_or_b64 exec, exec, s[2:3]
	s_waitcnt lgkmcnt(0)
	ds_bpermute_b32 v2, v6, v9
	s_waitcnt lgkmcnt(0)
	v_add_f32_e32 v3, v9, v2
	ds_bpermute_b32 v9, v7, v3
	v_add_u32_e32 v2, 4, v0
	s_waitcnt lgkmcnt(0)
	v_add_f32_e32 v9, v3, v9
	ds_bpermute_b32 v10, v8, v9
	v_mov_b32_e32 v3, v1
	v_lshl_add_u64 v[2:3], s[6:7], 0, v[2:3]
	v_cmp_le_i64_e64 s[2:3], s[10:11], v[2:3]
	s_or_b64 s[2:3], s[0:1], s[2:3]
	s_waitcnt lgkmcnt(0)
	v_add_f32_e32 v2, v9, v10
	s_nor_b64 s[12:13], s[8:9], s[2:3]
	s_and_saveexec_b64 s[2:3], s[12:13]
	s_cbranch_execz .LBB157_93
; %bb.92:
	v_lshl_add_u64 v[10:11], s[6:7], 0, v[0:1]
	v_lshl_add_u64 v[10:11], v[10:11], 2, s[4:5]
	global_store_dword v[10:11], v2, off offset:16
.LBB157_93:
	s_or_b64 exec, exec, s[2:3]
	s_movk_i32 s2, 0x600
	v_cmp_gt_u32_e64 s[2:3], s2, v5
	s_and_b64 exec, exec, s[2:3]
	s_cbranch_execz .LBB157_123
; %bb.94:
	s_and_saveexec_b64 s[2:3], vcc
; %bb.95:
	v_lshlrev_b32_e32 v2, 2, v0
	v_lshlrev_b32_e32 v3, 2, v4
	v_add3_u32 v2, 0, v2, v3
	ds_read_b32 v2, v2 offset:32
; %bb.96:
	s_or_b64 exec, exec, s[2:3]
	s_waitcnt lgkmcnt(0)
	ds_bpermute_b32 v3, v6, v2
	s_waitcnt lgkmcnt(0)
	v_add_f32_e32 v3, v2, v3
	ds_bpermute_b32 v9, v7, v3
	v_add_u32_e32 v2, 8, v0
	s_waitcnt lgkmcnt(0)
	v_add_f32_e32 v9, v3, v9
	ds_bpermute_b32 v10, v8, v9
	v_mov_b32_e32 v3, 0
	v_lshl_add_u64 v[2:3], s[6:7], 0, v[2:3]
	v_cmp_le_i64_e64 s[2:3], s[10:11], v[2:3]
	s_or_b64 s[2:3], s[0:1], s[2:3]
	s_waitcnt lgkmcnt(0)
	v_add_f32_e32 v2, v9, v10
	s_nor_b64 s[12:13], s[8:9], s[2:3]
	s_and_saveexec_b64 s[2:3], s[12:13]
	s_cbranch_execz .LBB157_98
; %bb.97:
	v_lshl_add_u64 v[10:11], s[6:7], 0, v[0:1]
	v_lshl_add_u64 v[10:11], v[10:11], 2, s[4:5]
	global_store_dword v[10:11], v2, off offset:32
.LBB157_98:
	s_or_b64 exec, exec, s[2:3]
	s_movk_i32 s2, 0x500
	v_cmp_gt_u32_e64 s[2:3], s2, v5
	s_and_b64 exec, exec, s[2:3]
	s_cbranch_execz .LBB157_123
; %bb.99:
	;; [unrolled: 37-line block ×3, first 2 shown]
	s_and_saveexec_b64 s[2:3], vcc
; %bb.105:
	v_lshlrev_b32_e32 v2, 2, v0
	v_lshlrev_b32_e32 v3, 2, v4
	v_add3_u32 v2, 0, v2, v3
	ds_read_b32 v2, v2 offset:64
; %bb.106:
	s_or_b64 exec, exec, s[2:3]
	s_waitcnt lgkmcnt(0)
	ds_bpermute_b32 v3, v6, v2
	v_add_u32_e32 v9, 16, v0
	s_waitcnt lgkmcnt(0)
	v_add_f32_e32 v2, v2, v3
	ds_bpermute_b32 v3, v7, v2
	s_waitcnt lgkmcnt(0)
	v_add_f32_e32 v10, v2, v3
	ds_bpermute_b32 v11, v8, v10
	v_mov_b32_e32 v3, s7
	v_or_b32_e32 v2, s6, v9
	v_cmp_le_i64_e64 s[2:3], s[10:11], v[2:3]
	s_or_b64 s[2:3], s[0:1], s[2:3]
	s_waitcnt lgkmcnt(0)
	v_add_f32_e32 v2, v10, v11
	s_nor_b64 s[12:13], s[8:9], s[2:3]
	s_and_saveexec_b64 s[2:3], s[12:13]
	s_cbranch_execz .LBB157_108
; %bb.107:
	v_lshl_add_u64 v[10:11], s[6:7], 0, v[0:1]
	v_lshl_add_u64 v[10:11], v[10:11], 2, s[4:5]
	global_store_dword v[10:11], v2, off offset:64
.LBB157_108:
	s_or_b64 exec, exec, s[2:3]
	s_movk_i32 s2, 0x300
	v_cmp_gt_u32_e64 s[2:3], s2, v5
	s_and_b64 exec, exec, s[2:3]
	s_cbranch_execz .LBB157_123
; %bb.109:
	s_and_saveexec_b64 s[2:3], vcc
; %bb.110:
	v_lshlrev_b32_e32 v2, 2, v0
	v_lshlrev_b32_e32 v3, 2, v4
	v_add3_u32 v2, 0, v2, v3
	ds_read_b32 v2, v2 offset:80
; %bb.111:
	s_or_b64 exec, exec, s[2:3]
	s_waitcnt lgkmcnt(0)
	ds_bpermute_b32 v3, v6, v2
	s_waitcnt lgkmcnt(0)
	v_add_f32_e32 v3, v2, v3
	ds_bpermute_b32 v9, v7, v3
	v_add_u32_e32 v2, 20, v0
	s_waitcnt lgkmcnt(0)
	v_add_f32_e32 v9, v3, v9
	ds_bpermute_b32 v10, v8, v9
	v_mov_b32_e32 v3, 0
	v_lshl_add_u64 v[2:3], s[6:7], 0, v[2:3]
	v_cmp_le_i64_e64 s[2:3], s[10:11], v[2:3]
	s_or_b64 s[2:3], s[0:1], s[2:3]
	s_waitcnt lgkmcnt(0)
	v_add_f32_e32 v2, v9, v10
	s_nor_b64 s[12:13], s[8:9], s[2:3]
	s_and_saveexec_b64 s[2:3], s[12:13]
	s_cbranch_execz .LBB157_113
; %bb.112:
	v_lshl_add_u64 v[10:11], s[6:7], 0, v[0:1]
	v_lshl_add_u64 v[10:11], v[10:11], 2, s[4:5]
	global_store_dword v[10:11], v2, off offset:80
.LBB157_113:
	s_or_b64 exec, exec, s[2:3]
	s_movk_i32 s2, 0x200
	v_cmp_gt_u32_e64 s[2:3], s2, v5
	s_and_b64 exec, exec, s[2:3]
	s_cbranch_execz .LBB157_123
; %bb.114:
	s_and_saveexec_b64 s[2:3], vcc
; %bb.115:
	v_lshlrev_b32_e32 v2, 2, v0
	v_lshlrev_b32_e32 v3, 2, v4
	v_add3_u32 v2, 0, v2, v3
	ds_read_b32 v2, v2 offset:96
; %bb.116:
	s_or_b64 exec, exec, s[2:3]
	s_waitcnt lgkmcnt(0)
	ds_bpermute_b32 v3, v6, v2
	v_add_u32_e32 v9, 24, v0
	s_waitcnt lgkmcnt(0)
	v_add_f32_e32 v2, v2, v3
	ds_bpermute_b32 v3, v7, v2
	s_waitcnt lgkmcnt(0)
	v_add_f32_e32 v10, v2, v3
	ds_bpermute_b32 v11, v8, v10
	v_mov_b32_e32 v3, s7
	v_or_b32_e32 v2, s6, v9
	v_cmp_le_i64_e64 s[2:3], s[10:11], v[2:3]
	s_or_b64 s[2:3], s[0:1], s[2:3]
	s_waitcnt lgkmcnt(0)
	v_add_f32_e32 v2, v10, v11
	s_nor_b64 s[12:13], s[8:9], s[2:3]
	s_and_saveexec_b64 s[2:3], s[12:13]
	s_cbranch_execz .LBB157_118
; %bb.117:
	v_lshl_add_u64 v[10:11], s[6:7], 0, v[0:1]
	v_lshl_add_u64 v[10:11], v[10:11], 2, s[4:5]
	global_store_dword v[10:11], v2, off offset:96
.LBB157_118:
	s_or_b64 exec, exec, s[2:3]
	s_movk_i32 s2, 0x100
	v_cmp_gt_u32_e64 s[2:3], s2, v5
	s_and_b64 exec, exec, s[2:3]
	s_cbranch_execz .LBB157_123
; %bb.119:
	s_and_saveexec_b64 s[2:3], vcc
; %bb.120:
	v_lshlrev_b32_e32 v2, 2, v0
	v_lshlrev_b32_e32 v3, 2, v4
	v_add3_u32 v2, 0, v2, v3
	ds_read_b32 v2, v2 offset:112
; %bb.121:
	s_or_b64 exec, exec, s[2:3]
	s_waitcnt lgkmcnt(0)
	ds_bpermute_b32 v3, v6, v2
	v_add_u32_e32 v4, 28, v0
	v_or_b32_e32 v4, s6, v4
	v_mov_b32_e32 v5, s7
	v_cmp_le_i64_e32 vcc, s[10:11], v[4:5]
	s_waitcnt lgkmcnt(0)
	v_add_f32_e32 v2, v2, v3
	ds_bpermute_b32 v3, v7, v2
	s_or_b64 s[0:1], s[0:1], vcc
	s_nor_b64 s[0:1], s[8:9], s[0:1]
	s_waitcnt lgkmcnt(0)
	v_add_f32_e32 v2, v2, v3
	ds_bpermute_b32 v3, v8, v2
	s_and_saveexec_b64 s[2:3], s[0:1]
	s_xor_b64 s[2:3], exec, s[2:3]
	s_cbranch_execz .LBB157_123
; %bb.122:
	v_lshl_add_u64 v[0:1], s[6:7], 0, v[0:1]
	s_waitcnt lgkmcnt(0)
	v_add_f32_e32 v2, v2, v3
	v_lshl_add_u64 v[0:1], v[0:1], 2, s[4:5]
	global_store_dword v[0:1], v2, off offset:112
.LBB157_123:
	s_endpgm
	.section	.rodata,"a",@progbits
	.p2align	6, 0x0
	.amdhsa_kernel _ZN2at6native12_GLOBAL__N_135GammaBetaBackwardCUDAKernelTemplateIffLj32ELj8ELj64ELb0ELb0ELb1EEEvllPKT_S5_PKT0_S8_PS3_S9_
		.amdhsa_group_segment_fixed_size 0
		.amdhsa_private_segment_fixed_size 0
		.amdhsa_kernarg_size 320
		.amdhsa_user_sgpr_count 2
		.amdhsa_user_sgpr_dispatch_ptr 0
		.amdhsa_user_sgpr_queue_ptr 0
		.amdhsa_user_sgpr_kernarg_segment_ptr 1
		.amdhsa_user_sgpr_dispatch_id 0
		.amdhsa_user_sgpr_kernarg_preload_length 0
		.amdhsa_user_sgpr_kernarg_preload_offset 0
		.amdhsa_user_sgpr_private_segment_size 0
		.amdhsa_uses_dynamic_stack 0
		.amdhsa_enable_private_segment 0
		.amdhsa_system_sgpr_workgroup_id_x 1
		.amdhsa_system_sgpr_workgroup_id_y 1
		.amdhsa_system_sgpr_workgroup_id_z 0
		.amdhsa_system_sgpr_workgroup_info 0
		.amdhsa_system_vgpr_workitem_id 1
		.amdhsa_next_free_vgpr 96
		.amdhsa_next_free_sgpr 50
		.amdhsa_accum_offset 96
		.amdhsa_reserve_vcc 1
		.amdhsa_float_round_mode_32 0
		.amdhsa_float_round_mode_16_64 0
		.amdhsa_float_denorm_mode_32 3
		.amdhsa_float_denorm_mode_16_64 3
		.amdhsa_dx10_clamp 1
		.amdhsa_ieee_mode 1
		.amdhsa_fp16_overflow 0
		.amdhsa_tg_split 0
		.amdhsa_exception_fp_ieee_invalid_op 0
		.amdhsa_exception_fp_denorm_src 0
		.amdhsa_exception_fp_ieee_div_zero 0
		.amdhsa_exception_fp_ieee_overflow 0
		.amdhsa_exception_fp_ieee_underflow 0
		.amdhsa_exception_fp_ieee_inexact 0
		.amdhsa_exception_int_div_zero 0
	.end_amdhsa_kernel
	.section	.text._ZN2at6native12_GLOBAL__N_135GammaBetaBackwardCUDAKernelTemplateIffLj32ELj8ELj64ELb0ELb0ELb1EEEvllPKT_S5_PKT0_S8_PS3_S9_,"axG",@progbits,_ZN2at6native12_GLOBAL__N_135GammaBetaBackwardCUDAKernelTemplateIffLj32ELj8ELj64ELb0ELb0ELb1EEEvllPKT_S5_PKT0_S8_PS3_S9_,comdat
.Lfunc_end157:
	.size	_ZN2at6native12_GLOBAL__N_135GammaBetaBackwardCUDAKernelTemplateIffLj32ELj8ELj64ELb0ELb0ELb1EEEvllPKT_S5_PKT0_S8_PS3_S9_, .Lfunc_end157-_ZN2at6native12_GLOBAL__N_135GammaBetaBackwardCUDAKernelTemplateIffLj32ELj8ELj64ELb0ELb0ELb1EEEvllPKT_S5_PKT0_S8_PS3_S9_
                                        ; -- End function
	.set _ZN2at6native12_GLOBAL__N_135GammaBetaBackwardCUDAKernelTemplateIffLj32ELj8ELj64ELb0ELb0ELb1EEEvllPKT_S5_PKT0_S8_PS3_S9_.num_vgpr, 96
	.set _ZN2at6native12_GLOBAL__N_135GammaBetaBackwardCUDAKernelTemplateIffLj32ELj8ELj64ELb0ELb0ELb1EEEvllPKT_S5_PKT0_S8_PS3_S9_.num_agpr, 0
	.set _ZN2at6native12_GLOBAL__N_135GammaBetaBackwardCUDAKernelTemplateIffLj32ELj8ELj64ELb0ELb0ELb1EEEvllPKT_S5_PKT0_S8_PS3_S9_.numbered_sgpr, 50
	.set _ZN2at6native12_GLOBAL__N_135GammaBetaBackwardCUDAKernelTemplateIffLj32ELj8ELj64ELb0ELb0ELb1EEEvllPKT_S5_PKT0_S8_PS3_S9_.num_named_barrier, 0
	.set _ZN2at6native12_GLOBAL__N_135GammaBetaBackwardCUDAKernelTemplateIffLj32ELj8ELj64ELb0ELb0ELb1EEEvllPKT_S5_PKT0_S8_PS3_S9_.private_seg_size, 0
	.set _ZN2at6native12_GLOBAL__N_135GammaBetaBackwardCUDAKernelTemplateIffLj32ELj8ELj64ELb0ELb0ELb1EEEvllPKT_S5_PKT0_S8_PS3_S9_.uses_vcc, 1
	.set _ZN2at6native12_GLOBAL__N_135GammaBetaBackwardCUDAKernelTemplateIffLj32ELj8ELj64ELb0ELb0ELb1EEEvllPKT_S5_PKT0_S8_PS3_S9_.uses_flat_scratch, 0
	.set _ZN2at6native12_GLOBAL__N_135GammaBetaBackwardCUDAKernelTemplateIffLj32ELj8ELj64ELb0ELb0ELb1EEEvllPKT_S5_PKT0_S8_PS3_S9_.has_dyn_sized_stack, 0
	.set _ZN2at6native12_GLOBAL__N_135GammaBetaBackwardCUDAKernelTemplateIffLj32ELj8ELj64ELb0ELb0ELb1EEEvllPKT_S5_PKT0_S8_PS3_S9_.has_recursion, 0
	.set _ZN2at6native12_GLOBAL__N_135GammaBetaBackwardCUDAKernelTemplateIffLj32ELj8ELj64ELb0ELb0ELb1EEEvllPKT_S5_PKT0_S8_PS3_S9_.has_indirect_call, 0
	.section	.AMDGPU.csdata,"",@progbits
; Kernel info:
; codeLenInByte = 7204
; TotalNumSgprs: 56
; NumVgprs: 96
; NumAgprs: 0
; TotalNumVgprs: 96
; ScratchSize: 0
; MemoryBound: 0
; FloatMode: 240
; IeeeMode: 1
; LDSByteSize: 0 bytes/workgroup (compile time only)
; SGPRBlocks: 6
; VGPRBlocks: 11
; NumSGPRsForWavesPerEU: 56
; NumVGPRsForWavesPerEU: 96
; AccumOffset: 96
; Occupancy: 5
; WaveLimiterHint : 0
; COMPUTE_PGM_RSRC2:SCRATCH_EN: 0
; COMPUTE_PGM_RSRC2:USER_SGPR: 2
; COMPUTE_PGM_RSRC2:TRAP_HANDLER: 0
; COMPUTE_PGM_RSRC2:TGID_X_EN: 1
; COMPUTE_PGM_RSRC2:TGID_Y_EN: 1
; COMPUTE_PGM_RSRC2:TGID_Z_EN: 0
; COMPUTE_PGM_RSRC2:TIDIG_COMP_CNT: 1
; COMPUTE_PGM_RSRC3_GFX90A:ACCUM_OFFSET: 23
; COMPUTE_PGM_RSRC3_GFX90A:TG_SPLIT: 0
	.section	.text._ZN2at6native12_GLOBAL__N_135GammaBetaBackwardCUDAKernelTemplateIffLj32ELj16ELj128ELb0ELb1ELb1EEEvllPKT_S5_PKT0_S8_PS3_S9_,"axG",@progbits,_ZN2at6native12_GLOBAL__N_135GammaBetaBackwardCUDAKernelTemplateIffLj32ELj16ELj128ELb0ELb1ELb1EEEvllPKT_S5_PKT0_S8_PS3_S9_,comdat
	.globl	_ZN2at6native12_GLOBAL__N_135GammaBetaBackwardCUDAKernelTemplateIffLj32ELj16ELj128ELb0ELb1ELb1EEEvllPKT_S5_PKT0_S8_PS3_S9_ ; -- Begin function _ZN2at6native12_GLOBAL__N_135GammaBetaBackwardCUDAKernelTemplateIffLj32ELj16ELj128ELb0ELb1ELb1EEEvllPKT_S5_PKT0_S8_PS3_S9_
	.p2align	8
	.type	_ZN2at6native12_GLOBAL__N_135GammaBetaBackwardCUDAKernelTemplateIffLj32ELj16ELj128ELb0ELb1ELb1EEEvllPKT_S5_PKT0_S8_PS3_S9_,@function
_ZN2at6native12_GLOBAL__N_135GammaBetaBackwardCUDAKernelTemplateIffLj32ELj16ELj128ELb0ELb1ELb1EEEvllPKT_S5_PKT0_S8_PS3_S9_: ; @_ZN2at6native12_GLOBAL__N_135GammaBetaBackwardCUDAKernelTemplateIffLj32ELj16ELj128ELb0ELb1ELb1EEEvllPKT_S5_PKT0_S8_PS3_S9_
; %bb.0:
	s_load_dwordx4 s[4:7], s[0:1], 0x0
	s_lshl_b32 s14, s3, 7
	s_mov_b32 s15, 0
	v_mov_b64_e32 v[2:3], s[14:15]
	v_bfe_u32 v12, v0, 10, 10
	s_waitcnt lgkmcnt(0)
	v_cmp_gt_i64_e32 vcc, s[4:5], v[2:3]
	s_cbranch_vccnz .LBB158_2
; %bb.1:
	s_mov_b64 s[8:9], 0
	v_bfe_u32 v2, v0, 10, 10
	s_branch .LBB158_3
.LBB158_2:
	s_mov_b64 s[8:9], -1
                                        ; implicit-def: $vgpr2
.LBB158_3:
	s_load_dwordx2 s[12:13], s[0:1], 0x30
	v_and_b32_e32 v10, 0x3ff, v0
	v_mov_b32_e32 v1, 0
	s_andn2_b64 vcc, exec, s[8:9]
	v_mbcnt_lo_u32_b32 v11, -1, 0
	s_cbranch_vccnz .LBB158_11
; %bb.4:
	s_load_dword s3, s[0:1], 0x4c
	s_load_dword s16, s[0:1], 0x44
	s_load_dwordx2 s[18:19], s[0:1], 0x28
	s_load_dwordx4 s[8:11], s[0:1], 0x10
	v_lshlrev_b32_e32 v0, 3, v12
	s_waitcnt lgkmcnt(0)
	s_and_b32 s0, s3, 0xffff
	v_mad_u32_u24 v1, v12, s0, v10
	v_and_b32_e32 v2, 63, v1
	v_mov_b32_e32 v1, 0
	v_mov_b32_e32 v3, v1
	v_lshl_add_u64 v[8:9], v[0:1], 0, s[14:15]
	v_cmp_gt_u32_e64 s[0:1], 8, v2
	v_mbcnt_hi_u32_b32 v4, -1, v11
	s_lshl_b32 s16, s16, 7
	v_lshl_add_u64 v[2:3], v[8:9], 0, v[2:3]
	v_mul_lo_u32 v0, s7, v8
	v_mul_lo_u32 v21, s6, v9
	v_mad_u64_u32 v[8:9], s[20:21], s6, v8, 0
	v_lshl_add_u32 v6, s2, 5, v10
	v_mov_b32_e32 v7, v1
	v_lshlrev_b32_e32 v4, 2, v4
	s_mul_i32 s3, s7, s16
	s_mul_hi_u32 s20, s6, s16
	s_mov_b32 s17, 0
	v_and_b32_e32 v13, 0x100, v4
	v_add3_u32 v9, v9, v21, v0
	v_lshlrev_b64 v[6:7], 2, v[6:7]
	s_add_i32 s21, s20, s3
	s_mul_i32 s20, s6, s16
	v_or_b32_e32 v14, 4, v13
	v_or_b32_e32 v15, 8, v13
	;; [unrolled: 1-line block ×7, first 2 shown]
	v_lshl_add_u64 v[4:5], v[2:3], 2, s[18:19]
	s_lshl_b64 s[18:19], s[16:17], 2
	v_lshl_add_u64 v[6:7], v[8:9], 2, v[6:7]
	s_lshl_b64 s[20:21], s[20:21], 2
	s_lshl_b64 s[6:7], s[6:7], 2
	v_mov_b64_e32 v[8:9], s[4:5]
	s_branch .LBB158_7
.LBB158_5:                              ;   in Loop: Header=BB158_7 Depth=1
	s_or_b64 exec, exec, s[24:25]
.LBB158_6:                              ;   in Loop: Header=BB158_7 Depth=1
	s_or_b64 exec, exec, s[22:23]
	v_lshl_add_u64 v[22:23], s[8:9], 0, v[6:7]
	global_load_dword v24, v[22:23], off
	v_lshl_add_u64 v[26:27], s[10:11], 0, v[6:7]
	v_lshl_add_u64 v[22:23], v[22:23], 0, s[6:7]
	global_load_dword v28, v[26:27], off
	global_load_dword v25, v[22:23], off
	v_lshl_add_u64 v[26:27], v[26:27], 0, s[6:7]
	v_lshl_add_u64 v[22:23], v[22:23], 0, s[6:7]
	global_load_dword v29, v[26:27], off
	;; [unrolled: 4-line block ×7, first 2 shown]
	v_lshl_add_u64 v[22:23], v[26:27], 0, s[6:7]
	global_load_dword v40, v[26:27], off
	global_load_dword v41, v[22:23], off
	s_waitcnt vmcnt(16)
	ds_bpermute_b32 v22, v13, v0
	ds_bpermute_b32 v23, v14, v0
	;; [unrolled: 1-line block ×8, first 2 shown]
	s_add_u32 s14, s14, s16
	s_addc_u32 s15, s15, 0
	v_cmp_lt_i64_e32 vcc, s[14:15], v[8:9]
	v_lshl_add_u64 v[4:5], v[4:5], 0, s[18:19]
	v_lshl_add_u64 v[2:3], v[2:3], 0, s[16:17]
	;; [unrolled: 1-line block ×3, first 2 shown]
	s_and_b64 vcc, exec, vcc
	s_waitcnt vmcnt(12)
	v_pk_mul_f32 v[24:25], v[24:25], v[28:29]
	s_waitcnt lgkmcnt(6)
	v_pk_mul_f32 v[22:23], v[24:25], v[22:23]
	s_nop 0
	v_add_f32_e32 v21, v1, v22
	v_add_f32_e32 v21, v21, v23
	s_waitcnt vmcnt(8)
	v_pk_mul_f32 v[0:1], v[30:31], v[32:33]
	s_waitcnt lgkmcnt(4)
	v_pk_mul_f32 v[0:1], v[0:1], v[26:27]
	s_waitcnt vmcnt(4)
	v_pk_mul_f32 v[22:23], v[34:35], v[36:37]
	v_add_f32_e32 v0, v21, v0
	v_add_f32_e32 v21, v0, v1
	s_waitcnt lgkmcnt(2)
	v_pk_mul_f32 v[0:1], v[22:23], v[42:43]
	s_waitcnt vmcnt(0)
	v_pk_mul_f32 v[22:23], v[38:39], v[40:41]
	v_add_f32_e32 v0, v21, v0
	v_add_f32_e32 v21, v0, v1
	s_waitcnt lgkmcnt(0)
	v_pk_mul_f32 v[0:1], v[22:23], v[44:45]
	s_nop 0
	v_add_f32_e32 v0, v21, v0
	v_add_f32_e32 v1, v0, v1
	s_cbranch_vccz .LBB158_10
.LBB158_7:                              ; =>This Inner Loop Header: Depth=1
	v_mov_b32_e32 v0, 0
	s_and_saveexec_b64 s[22:23], s[0:1]
	s_cbranch_execz .LBB158_6
; %bb.8:                                ;   in Loop: Header=BB158_7 Depth=1
	v_cmp_gt_i64_e32 vcc, s[4:5], v[2:3]
	v_mov_b32_e32 v0, 0
	s_and_saveexec_b64 s[24:25], vcc
	s_cbranch_execz .LBB158_5
; %bb.9:                                ;   in Loop: Header=BB158_7 Depth=1
	global_load_dword v0, v[4:5], off
	s_branch .LBB158_5
.LBB158_10:
	v_mov_b32_e32 v2, v12
.LBB158_11:
	v_mad_u32_u24 v0, v2, 33, v10
	v_lshl_add_u32 v3, v0, 2, 0
	v_sub_u32_e32 v2, v0, v2
	s_movk_i32 s0, 0x800
	ds_write_b32 v3, v1
	v_mov_b32_e32 v1, 0
	v_cmp_gt_u32_e32 vcc, s0, v2
	ds_write_b32 v3, v1 offset:2112
	s_waitcnt lgkmcnt(0)
	s_barrier
	s_and_saveexec_b64 s[0:1], vcc
	s_cbranch_execz .LBB158_31
; %bb.12:
	v_lshrrev_b32_e32 v0, 6, v2
	v_and_b32_e32 v1, 63, v2
	v_cmp_gt_u32_e32 vcc, 16, v1
	v_mul_u32_u24_e32 v1, 33, v1
	v_lshlrev_b32_e32 v0, 2, v0
                                        ; implicit-def: $vgpr4
	s_and_saveexec_b64 s[0:1], vcc
; %bb.13:
	v_lshlrev_b32_e32 v3, 2, v1
	v_add3_u32 v3, 0, v0, v3
	ds_read_b32 v4, v3
; %bb.14:
	s_or_b64 exec, exec, s[0:1]
	v_mbcnt_hi_u32_b32 v6, -1, v11
	v_and_b32_e32 v3, 64, v6
	v_add_u32_e32 v7, 64, v3
	v_xor_b32_e32 v3, 8, v6
	v_cmp_lt_i32_e64 s[0:1], v3, v7
	v_xor_b32_e32 v8, 4, v6
	v_xor_b32_e32 v9, 2, v6
	v_cndmask_b32_e64 v3, v6, v3, s[0:1]
	v_lshlrev_b32_e32 v3, 2, v3
	s_waitcnt lgkmcnt(0)
	ds_bpermute_b32 v5, v3, v4
	v_cmp_lt_i32_e64 s[0:1], v8, v7
	s_cmp_lg_u64 s[12:13], 0
	s_mov_b32 s3, 0
	s_cselect_b64 s[6:7], -1, 0
	s_waitcnt lgkmcnt(0)
	v_add_f32_e32 v5, v4, v5
	v_cndmask_b32_e64 v4, v6, v8, s[0:1]
	v_lshlrev_b32_e32 v4, 2, v4
	ds_bpermute_b32 v8, v4, v5
	v_cmp_lt_i32_e64 s[0:1], v9, v7
	s_waitcnt lgkmcnt(0)
	v_add_f32_e32 v8, v5, v8
	v_cndmask_b32_e64 v5, v6, v9, s[0:1]
	v_lshlrev_b32_e32 v5, 2, v5
	ds_bpermute_b32 v9, v5, v8
	v_cmp_eq_u32_e64 s[0:1], 0, v10
	s_waitcnt lgkmcnt(0)
	v_add_f32_e32 v8, v8, v9
	v_xor_b32_e32 v9, 1, v6
	v_cmp_lt_i32_e64 s[4:5], v9, v7
	s_nop 1
	v_cndmask_b32_e64 v6, v6, v9, s[4:5]
	v_lshlrev_b32_e32 v6, 2, v6
	ds_bpermute_b32 v7, v6, v8
	s_and_b64 s[4:5], s[0:1], s[6:7]
	s_lshl_b64 s[0:1], s[2:3], 7
	s_add_u32 s2, s12, s0
	s_addc_u32 s3, s13, s1
	s_waitcnt lgkmcnt(0)
	v_add_f32_e32 v7, v8, v7
	s_and_saveexec_b64 s[0:1], s[4:5]
	s_cbranch_execz .LBB158_16
; %bb.15:
	global_store_dword v0, v7, s[2:3]
.LBB158_16:
	s_or_b64 exec, exec, s[0:1]
	s_movk_i32 s0, 0x600
	v_cmp_gt_u32_e64 s[0:1], s0, v2
	s_and_b64 exec, exec, s[0:1]
	s_cbranch_execz .LBB158_31
; %bb.17:
	s_and_saveexec_b64 s[0:1], vcc
; %bb.18:
	v_lshlrev_b32_e32 v7, 2, v1
	v_add3_u32 v7, 0, v0, v7
	ds_read_b32 v7, v7 offset:32
; %bb.19:
	s_or_b64 exec, exec, s[0:1]
	s_waitcnt lgkmcnt(0)
	ds_bpermute_b32 v8, v3, v7
	s_waitcnt lgkmcnt(0)
	v_add_f32_e32 v7, v7, v8
	ds_bpermute_b32 v8, v4, v7
	s_waitcnt lgkmcnt(0)
	v_add_f32_e32 v7, v7, v8
	;; [unrolled: 3-line block ×4, first 2 shown]
	s_and_saveexec_b64 s[0:1], s[4:5]
	s_cbranch_execz .LBB158_21
; %bb.20:
	global_store_dword v0, v7, s[2:3] offset:32
.LBB158_21:
	s_or_b64 exec, exec, s[0:1]
	s_movk_i32 s0, 0x400
	v_cmp_gt_u32_e64 s[0:1], s0, v2
	s_and_b64 exec, exec, s[0:1]
	s_cbranch_execz .LBB158_31
; %bb.22:
	s_and_saveexec_b64 s[0:1], vcc
; %bb.23:
	v_lshlrev_b32_e32 v7, 2, v1
	v_add3_u32 v7, 0, v0, v7
	ds_read_b32 v7, v7 offset:64
; %bb.24:
	s_or_b64 exec, exec, s[0:1]
	s_waitcnt lgkmcnt(0)
	ds_bpermute_b32 v8, v3, v7
	s_waitcnt lgkmcnt(0)
	v_add_f32_e32 v7, v7, v8
	ds_bpermute_b32 v8, v4, v7
	s_waitcnt lgkmcnt(0)
	v_add_f32_e32 v7, v7, v8
	;; [unrolled: 3-line block ×4, first 2 shown]
	s_and_saveexec_b64 s[0:1], s[4:5]
	s_cbranch_execz .LBB158_26
; %bb.25:
	global_store_dword v0, v7, s[2:3] offset:64
.LBB158_26:
	s_or_b64 exec, exec, s[0:1]
	s_movk_i32 s0, 0x200
	v_cmp_gt_u32_e64 s[0:1], s0, v2
	s_and_b64 exec, exec, s[0:1]
	s_cbranch_execz .LBB158_31
; %bb.27:
	s_and_saveexec_b64 s[0:1], vcc
; %bb.28:
	v_lshlrev_b32_e32 v1, 2, v1
	v_add3_u32 v1, 0, v0, v1
	ds_read_b32 v7, v1 offset:96
; %bb.29:
	s_or_b64 exec, exec, s[0:1]
	s_waitcnt lgkmcnt(0)
	ds_bpermute_b32 v1, v3, v7
	s_waitcnt lgkmcnt(0)
	v_add_f32_e32 v1, v7, v1
	ds_bpermute_b32 v2, v4, v1
	s_waitcnt lgkmcnt(0)
	v_add_f32_e32 v1, v1, v2
	;; [unrolled: 3-line block ×3, first 2 shown]
	ds_bpermute_b32 v2, v6, v1
	s_and_saveexec_b64 s[0:1], s[4:5]
	s_xor_b64 s[0:1], exec, s[0:1]
	s_cbranch_execz .LBB158_31
; %bb.30:
	s_waitcnt lgkmcnt(0)
	v_add_f32_e32 v1, v1, v2
	global_store_dword v0, v1, s[2:3] offset:96
.LBB158_31:
	s_endpgm
	.section	.rodata,"a",@progbits
	.p2align	6, 0x0
	.amdhsa_kernel _ZN2at6native12_GLOBAL__N_135GammaBetaBackwardCUDAKernelTemplateIffLj32ELj16ELj128ELb0ELb1ELb1EEEvllPKT_S5_PKT0_S8_PS3_S9_
		.amdhsa_group_segment_fixed_size 0
		.amdhsa_private_segment_fixed_size 0
		.amdhsa_kernarg_size 320
		.amdhsa_user_sgpr_count 2
		.amdhsa_user_sgpr_dispatch_ptr 0
		.amdhsa_user_sgpr_queue_ptr 0
		.amdhsa_user_sgpr_kernarg_segment_ptr 1
		.amdhsa_user_sgpr_dispatch_id 0
		.amdhsa_user_sgpr_kernarg_preload_length 0
		.amdhsa_user_sgpr_kernarg_preload_offset 0
		.amdhsa_user_sgpr_private_segment_size 0
		.amdhsa_uses_dynamic_stack 0
		.amdhsa_enable_private_segment 0
		.amdhsa_system_sgpr_workgroup_id_x 1
		.amdhsa_system_sgpr_workgroup_id_y 1
		.amdhsa_system_sgpr_workgroup_id_z 0
		.amdhsa_system_sgpr_workgroup_info 0
		.amdhsa_system_vgpr_workitem_id 1
		.amdhsa_next_free_vgpr 46
		.amdhsa_next_free_sgpr 26
		.amdhsa_accum_offset 48
		.amdhsa_reserve_vcc 1
		.amdhsa_float_round_mode_32 0
		.amdhsa_float_round_mode_16_64 0
		.amdhsa_float_denorm_mode_32 3
		.amdhsa_float_denorm_mode_16_64 3
		.amdhsa_dx10_clamp 1
		.amdhsa_ieee_mode 1
		.amdhsa_fp16_overflow 0
		.amdhsa_tg_split 0
		.amdhsa_exception_fp_ieee_invalid_op 0
		.amdhsa_exception_fp_denorm_src 0
		.amdhsa_exception_fp_ieee_div_zero 0
		.amdhsa_exception_fp_ieee_overflow 0
		.amdhsa_exception_fp_ieee_underflow 0
		.amdhsa_exception_fp_ieee_inexact 0
		.amdhsa_exception_int_div_zero 0
	.end_amdhsa_kernel
	.section	.text._ZN2at6native12_GLOBAL__N_135GammaBetaBackwardCUDAKernelTemplateIffLj32ELj16ELj128ELb0ELb1ELb1EEEvllPKT_S5_PKT0_S8_PS3_S9_,"axG",@progbits,_ZN2at6native12_GLOBAL__N_135GammaBetaBackwardCUDAKernelTemplateIffLj32ELj16ELj128ELb0ELb1ELb1EEEvllPKT_S5_PKT0_S8_PS3_S9_,comdat
.Lfunc_end158:
	.size	_ZN2at6native12_GLOBAL__N_135GammaBetaBackwardCUDAKernelTemplateIffLj32ELj16ELj128ELb0ELb1ELb1EEEvllPKT_S5_PKT0_S8_PS3_S9_, .Lfunc_end158-_ZN2at6native12_GLOBAL__N_135GammaBetaBackwardCUDAKernelTemplateIffLj32ELj16ELj128ELb0ELb1ELb1EEEvllPKT_S5_PKT0_S8_PS3_S9_
                                        ; -- End function
	.set _ZN2at6native12_GLOBAL__N_135GammaBetaBackwardCUDAKernelTemplateIffLj32ELj16ELj128ELb0ELb1ELb1EEEvllPKT_S5_PKT0_S8_PS3_S9_.num_vgpr, 46
	.set _ZN2at6native12_GLOBAL__N_135GammaBetaBackwardCUDAKernelTemplateIffLj32ELj16ELj128ELb0ELb1ELb1EEEvllPKT_S5_PKT0_S8_PS3_S9_.num_agpr, 0
	.set _ZN2at6native12_GLOBAL__N_135GammaBetaBackwardCUDAKernelTemplateIffLj32ELj16ELj128ELb0ELb1ELb1EEEvllPKT_S5_PKT0_S8_PS3_S9_.numbered_sgpr, 26
	.set _ZN2at6native12_GLOBAL__N_135GammaBetaBackwardCUDAKernelTemplateIffLj32ELj16ELj128ELb0ELb1ELb1EEEvllPKT_S5_PKT0_S8_PS3_S9_.num_named_barrier, 0
	.set _ZN2at6native12_GLOBAL__N_135GammaBetaBackwardCUDAKernelTemplateIffLj32ELj16ELj128ELb0ELb1ELb1EEEvllPKT_S5_PKT0_S8_PS3_S9_.private_seg_size, 0
	.set _ZN2at6native12_GLOBAL__N_135GammaBetaBackwardCUDAKernelTemplateIffLj32ELj16ELj128ELb0ELb1ELb1EEEvllPKT_S5_PKT0_S8_PS3_S9_.uses_vcc, 1
	.set _ZN2at6native12_GLOBAL__N_135GammaBetaBackwardCUDAKernelTemplateIffLj32ELj16ELj128ELb0ELb1ELb1EEEvllPKT_S5_PKT0_S8_PS3_S9_.uses_flat_scratch, 0
	.set _ZN2at6native12_GLOBAL__N_135GammaBetaBackwardCUDAKernelTemplateIffLj32ELj16ELj128ELb0ELb1ELb1EEEvllPKT_S5_PKT0_S8_PS3_S9_.has_dyn_sized_stack, 0
	.set _ZN2at6native12_GLOBAL__N_135GammaBetaBackwardCUDAKernelTemplateIffLj32ELj16ELj128ELb0ELb1ELb1EEEvllPKT_S5_PKT0_S8_PS3_S9_.has_recursion, 0
	.set _ZN2at6native12_GLOBAL__N_135GammaBetaBackwardCUDAKernelTemplateIffLj32ELj16ELj128ELb0ELb1ELb1EEEvllPKT_S5_PKT0_S8_PS3_S9_.has_indirect_call, 0
	.section	.AMDGPU.csdata,"",@progbits
; Kernel info:
; codeLenInByte = 1668
; TotalNumSgprs: 32
; NumVgprs: 46
; NumAgprs: 0
; TotalNumVgprs: 46
; ScratchSize: 0
; MemoryBound: 0
; FloatMode: 240
; IeeeMode: 1
; LDSByteSize: 0 bytes/workgroup (compile time only)
; SGPRBlocks: 3
; VGPRBlocks: 5
; NumSGPRsForWavesPerEU: 32
; NumVGPRsForWavesPerEU: 46
; AccumOffset: 48
; Occupancy: 8
; WaveLimiterHint : 0
; COMPUTE_PGM_RSRC2:SCRATCH_EN: 0
; COMPUTE_PGM_RSRC2:USER_SGPR: 2
; COMPUTE_PGM_RSRC2:TRAP_HANDLER: 0
; COMPUTE_PGM_RSRC2:TGID_X_EN: 1
; COMPUTE_PGM_RSRC2:TGID_Y_EN: 1
; COMPUTE_PGM_RSRC2:TGID_Z_EN: 0
; COMPUTE_PGM_RSRC2:TIDIG_COMP_CNT: 1
; COMPUTE_PGM_RSRC3_GFX90A:ACCUM_OFFSET: 11
; COMPUTE_PGM_RSRC3_GFX90A:TG_SPLIT: 0
	.section	.text._ZN2at6native12_GLOBAL__N_135GammaBetaBackwardCUDAKernelTemplateIffLj32ELj16ELj128ELb0ELb0ELb1EEEvllPKT_S5_PKT0_S8_PS3_S9_,"axG",@progbits,_ZN2at6native12_GLOBAL__N_135GammaBetaBackwardCUDAKernelTemplateIffLj32ELj16ELj128ELb0ELb0ELb1EEEvllPKT_S5_PKT0_S8_PS3_S9_,comdat
	.globl	_ZN2at6native12_GLOBAL__N_135GammaBetaBackwardCUDAKernelTemplateIffLj32ELj16ELj128ELb0ELb0ELb1EEEvllPKT_S5_PKT0_S8_PS3_S9_ ; -- Begin function _ZN2at6native12_GLOBAL__N_135GammaBetaBackwardCUDAKernelTemplateIffLj32ELj16ELj128ELb0ELb0ELb1EEEvllPKT_S5_PKT0_S8_PS3_S9_
	.p2align	8
	.type	_ZN2at6native12_GLOBAL__N_135GammaBetaBackwardCUDAKernelTemplateIffLj32ELj16ELj128ELb0ELb0ELb1EEEvllPKT_S5_PKT0_S8_PS3_S9_,@function
_ZN2at6native12_GLOBAL__N_135GammaBetaBackwardCUDAKernelTemplateIffLj32ELj16ELj128ELb0ELb0ELb1EEEvllPKT_S5_PKT0_S8_PS3_S9_: ; @_ZN2at6native12_GLOBAL__N_135GammaBetaBackwardCUDAKernelTemplateIffLj32ELj16ELj128ELb0ELb0ELb1EEEvllPKT_S5_PKT0_S8_PS3_S9_
; %bb.0:
	s_load_dwordx8 s[8:15], s[0:1], 0x0
	s_load_dwordx2 s[16:17], s[0:1], 0x28
	s_lshl_b32 s33, s2, 5
	s_mov_b32 s19, 0
	s_lshl_b32 s18, s3, 7
	s_or_b32 s4, s33, 31
	v_mov_b64_e32 v[4:5], s[18:19]
	v_mov_b32_e32 v2, s4
	v_mov_b32_e32 v3, 0
	s_waitcnt lgkmcnt(0)
	v_cmp_gt_i64_e64 s[4:5], s[8:9], v[4:5]
	v_cmp_le_i64_e32 vcc, s[10:11], v[2:3]
	s_nop 0
	v_cndmask_b32_e64 v1, 0, 1, s[4:5]
	v_cmp_ne_u32_e64 s[4:5], 1, v1
	s_cbranch_vccz .LBB159_49
; %bb.1:
	s_and_b64 vcc, exec, s[4:5]
	s_cbranch_vccnz .LBB159_50
; %bb.2:
	v_and_b32_e32 v1, 0x3ff, v0
	v_mov_b32_e32 v2, 0
	v_bfe_u32 v58, v0, 10, 10
	v_add_u32_e32 v4, s33, v1
	v_mov_b32_e32 v5, v2
	v_lshlrev_b32_e32 v20, 3, v58
	v_mov_b32_e32 v21, v2
	v_cmp_gt_i64_e64 s[6:7], s[10:11], v[4:5]
	v_lshlrev_b64 v[22:23], 2, v[4:5]
	v_lshl_add_u64 v[4:5], v[20:21], 0, s[18:19]
	v_mul_lo_u32 v3, s11, v4
	v_mul_lo_u32 v8, s10, v5
	v_mad_u64_u32 v[6:7], s[22:23], s10, v4, 0
	v_add3_u32 v7, v7, v8, v3
	v_lshlrev_b64 v[6:7], 2, v[6:7]
	v_lshl_add_u64 v[24:25], s[12:13], 0, v[6:7]
	v_lshl_add_u64 v[26:27], s[14:15], 0, v[6:7]
	v_lshl_add_u64 v[6:7], v[4:5], 0, 7
	v_mul_lo_u32 v9, s11, v6
	v_mul_lo_u32 v10, s10, v7
	v_mad_u64_u32 v[6:7], s[24:25], s10, v6, 0
	v_add3_u32 v7, v7, v10, v9
	v_lshlrev_b64 v[6:7], 2, v[6:7]
	v_lshl_add_u64 v[28:29], s[12:13], 0, v[6:7]
	v_lshl_add_u64 v[30:31], s[14:15], 0, v[6:7]
	;; [unrolled: 8-line block ×5, first 2 shown]
	v_lshl_add_u64 v[6:7], v[4:5], 0, 3
	v_mul_lo_u32 v9, s11, v6
	v_mul_lo_u32 v10, s10, v7
	v_mad_u64_u32 v[6:7], s[24:25], s10, v6, 0
	v_add3_u32 v7, v7, v10, v9
	s_load_dword s3, s[0:1], 0x44
	v_lshlrev_b64 v[6:7], 2, v[6:7]
	v_lshl_add_u64 v[44:45], s[12:13], 0, v[6:7]
	v_lshl_add_u64 v[46:47], s[14:15], 0, v[6:7]
	;; [unrolled: 1-line block ×3, first 2 shown]
	v_mul_lo_u32 v5, s11, v6
	v_mul_lo_u32 v9, s10, v7
	v_mad_u64_u32 v[6:7], s[24:25], s10, v6, 0
	v_add3_u32 v7, v7, v9, v5
	s_add_u32 s20, s0, 64
	v_lshlrev_b64 v[6:7], 2, v[6:7]
	s_addc_u32 s21, s1, 0
	s_waitcnt lgkmcnt(0)
	s_lshl_b32 s3, s3, 7
	v_lshl_add_u64 v[48:49], s[12:13], 0, v[6:7]
	v_lshl_add_u64 v[50:51], s[14:15], 0, v[6:7]
	v_mov_b64_e32 v[6:7], s[10:11]
	s_mul_i32 s22, s11, s3
	s_mul_hi_u32 s23, s10, s3
	v_mad_u64_u32 v[4:5], s[24:25], s10, v4, v[6:7]
	s_add_i32 s23, s23, s22
	s_mul_i32 s22, s10, s3
	v_add3_u32 v5, v3, v5, v8
	v_mbcnt_lo_u32_b32 v3, -1, 0
	s_lshl_b64 s[22:23], s[22:23], 2
	v_mbcnt_hi_u32_b32 v3, -1, v3
	v_lshlrev_b64 v[4:5], 2, v[4:5]
	s_add_u32 s24, s18, 0x7f
	s_movk_i32 s26, 0xff81
	s_movk_i32 s28, 0xff82
	;; [unrolled: 1-line block ×8, first 2 shown]
	v_lshlrev_b32_e32 v3, 2, v3
	v_lshl_add_u64 v[52:53], s[12:13], 0, v[4:5]
	v_lshl_add_u64 v[54:55], s[14:15], 0, v[4:5]
	s_addc_u32 s25, 0, 0
	s_mov_b32 s27, -1
	s_mov_b32 s29, -1
	;; [unrolled: 1-line block ×8, first 2 shown]
	v_and_b32_e32 v59, 0x100, v3
	s_mov_b64 s[44:45], s[18:19]
	v_mov_b32_e32 v60, 0
.LBB159_3:                              ; =>This Inner Loop Header: Depth=1
	v_mov_b64_e32 v[4:5], s[8:9]
	v_cmp_ge_i64_e32 vcc, s[24:25], v[4:5]
	v_lshl_add_u64 v[56:57], v[20:21], 0, s[24:25]
	s_mov_b64 s[46:47], -1
	s_and_b64 vcc, exec, vcc
                                        ; implicit-def: $vgpr4_vgpr5_vgpr6_vgpr7_vgpr8_vgpr9_vgpr10_vgpr11
                                        ; implicit-def: $vgpr3
                                        ; implicit-def: $vgpr12_vgpr13_vgpr14_vgpr15_vgpr16_vgpr17_vgpr18_vgpr19
                                        ; implicit-def: $vgpr4
	s_cbranch_vccz .LBB159_25
; %bb.4:                                ;   in Loop: Header=BB159_3 Depth=1
	s_load_dword s46, s[20:21], 0xc
	v_mov_b32_e32 v61, 0
	s_waitcnt lgkmcnt(0)
	s_and_b32 s46, s46, 0xffff
	v_mad_u32_u24 v3, v58, s46, v1
	v_and_b32_e32 v4, 63, v3
	v_cmp_gt_u32_e32 vcc, 8, v4
	s_and_saveexec_b64 s[46:47], vcc
	s_cbranch_execz .LBB159_8
; %bb.5:                                ;   in Loop: Header=BB159_3 Depth=1
	v_mov_b32_e32 v5, v2
	v_lshl_add_u64 v[4:5], v[56:57], 0, v[4:5]
	v_lshl_add_u64 v[4:5], v[4:5], 0, s[26:27]
	v_cmp_gt_i64_e32 vcc, s[8:9], v[4:5]
	v_mov_b32_e32 v61, 0
	s_and_saveexec_b64 s[48:49], vcc
	s_cbranch_execz .LBB159_7
; %bb.6:                                ;   in Loop: Header=BB159_3 Depth=1
	v_lshl_add_u64 v[4:5], v[4:5], 2, s[16:17]
	global_load_dword v61, v[4:5], off
.LBB159_7:                              ;   in Loop: Header=BB159_3 Depth=1
	s_or_b64 exec, exec, s[48:49]
.LBB159_8:                              ;   in Loop: Header=BB159_3 Depth=1
	s_or_b64 exec, exec, s[46:47]
	v_lshl_add_u64 v[4:5], v[56:57], 0, s[26:27]
	v_mov_b32_e32 v8, v2
	v_mov_b32_e32 v9, v2
	v_cmp_gt_i64_e32 vcc, s[8:9], v[4:5]
	v_mov_b32_e32 v3, v2
	v_mov_b32_e32 v4, v2
	;; [unrolled: 1-line block ×5, first 2 shown]
	v_mov_b64_e32 v[18:19], v[8:9]
	v_mov_b64_e32 v[16:17], v[6:7]
	v_mov_b64_e32 v[14:15], v[4:5]
	v_mov_b64_e32 v[12:13], v[2:3]
	v_mov_b64_e32 v[10:11], v[8:9]
	s_and_b64 s[48:49], s[6:7], vcc
	v_mov_b64_e32 v[8:9], v[6:7]
	v_mov_b64_e32 v[6:7], v[4:5]
	;; [unrolled: 1-line block ×3, first 2 shown]
	s_and_saveexec_b64 s[46:47], s[48:49]
	s_cbranch_execz .LBB159_10
; %bb.9:                                ;   in Loop: Header=BB159_3 Depth=1
	v_lshl_add_u64 v[4:5], v[24:25], 0, v[22:23]
	v_lshl_add_u64 v[6:7], v[26:27], 0, v[22:23]
	global_load_dword v4, v[4:5], off
	v_mov_b32_e32 v5, v2
	global_load_dword v12, v[6:7], off
	v_mov_b32_e32 v6, v2
	v_mov_b32_e32 v7, v2
	v_mov_b32_e32 v8, v2
	v_mov_b32_e32 v9, v2
	v_mov_b32_e32 v10, v2
	v_mov_b32_e32 v11, v2
	v_mov_b32_e32 v13, v2
	v_mov_b32_e32 v14, v2
	v_mov_b32_e32 v15, v2
	v_mov_b32_e32 v16, v2
	v_mov_b32_e32 v17, v2
	v_mov_b32_e32 v18, v2
	v_mov_b32_e32 v19, v2
.LBB159_10:                             ;   in Loop: Header=BB159_3 Depth=1
	s_or_b64 exec, exec, s[46:47]
	v_lshl_add_u64 v[62:63], v[56:57], 0, s[28:29]
	v_cmp_gt_i64_e32 vcc, s[8:9], v[62:63]
	s_and_b64 s[48:49], s[6:7], vcc
	s_and_saveexec_b64 s[46:47], s[48:49]
	s_cbranch_execz .LBB159_12
; %bb.11:                               ;   in Loop: Header=BB159_3 Depth=1
	v_lshl_add_u64 v[62:63], v[52:53], 0, v[22:23]
	global_load_dword v5, v[62:63], off
	v_lshl_add_u64 v[62:63], v[54:55], 0, v[22:23]
	global_load_dword v13, v[62:63], off
.LBB159_12:                             ;   in Loop: Header=BB159_3 Depth=1
	s_or_b64 exec, exec, s[46:47]
	v_lshl_add_u64 v[62:63], v[56:57], 0, s[30:31]
	v_cmp_gt_i64_e32 vcc, s[8:9], v[62:63]
	s_and_b64 s[48:49], s[6:7], vcc
	s_and_saveexec_b64 s[46:47], s[48:49]
	s_cbranch_execz .LBB159_14
; %bb.13:                               ;   in Loop: Header=BB159_3 Depth=1
	v_lshl_add_u64 v[62:63], v[48:49], 0, v[22:23]
	global_load_dword v6, v[62:63], off
	v_lshl_add_u64 v[62:63], v[50:51], 0, v[22:23]
	global_load_dword v14, v[62:63], off
.LBB159_14:                             ;   in Loop: Header=BB159_3 Depth=1
	;; [unrolled: 12-line block ×7, first 2 shown]
	s_or_b64 exec, exec, s[46:47]
	s_waitcnt vmcnt(0)
	ds_bpermute_b32 v3, v59, v61
	ds_bpermute_b32 v62, v59, v61 offset:4
	ds_bpermute_b32 v63, v59, v61 offset:8
	v_mul_f32_e32 v4, v12, v4
	v_pk_mul_f32 v[8:9], v[16:17], v[8:9]
	s_waitcnt lgkmcnt(2)
	v_fma_f32 v16, v4, v3, v60
	v_pk_mul_f32 v[6:7], v[14:15], v[6:7]
	v_mul_f32_e32 v3, v13, v5
	ds_bpermute_b32 v14, v59, v61 offset:12
	ds_bpermute_b32 v15, v59, v61 offset:16
	v_pk_mov_b32 v[12:13], v[2:3], v[6:7] op_sel:[1,0]
	v_pk_mov_b32 v[6:7], v[6:7], v[8:9] op_sel:[1,0]
	s_waitcnt lgkmcnt(2)
	v_pk_mul_f32 v[12:13], v[12:13], v[62:63]
	v_mul_f32_e32 v4, v18, v10
	v_add_f32_e32 v3, v16, v12
	v_add_f32_e32 v3, v3, v13
	ds_bpermute_b32 v12, v59, v61 offset:20
	ds_bpermute_b32 v13, v59, v61 offset:24
	s_waitcnt lgkmcnt(2)
	v_pk_mul_f32 v[6:7], v[6:7], v[14:15]
	s_mov_b64 s[46:47], 0
	v_add_f32_e32 v3, v3, v6
	v_add_f32_e32 v3, v3, v7
	v_pk_mov_b32 v[6:7], v[8:9], v[4:5] op_sel:[1,0]
	ds_bpermute_b32 v4, v59, v61 offset:28
	s_waitcnt lgkmcnt(1)
	v_pk_mul_f32 v[6:7], v[6:7], v[12:13]
	s_nop 0
	v_add_f32_e32 v3, v3, v6
	v_add_f32_e32 v3, v3, v7
.LBB159_25:                             ;   in Loop: Header=BB159_3 Depth=1
	s_and_b64 vcc, exec, s[46:47]
	s_cbranch_vccz .LBB159_40
; %bb.26:                               ;   in Loop: Header=BB159_3 Depth=1
	s_load_dword s46, s[20:21], 0x0
	v_mov_b32_e32 v61, 0
	s_waitcnt lgkmcnt(0)
	s_cmp_lt_u32 s2, s46
	s_cselect_b32 s46, 12, 18
	s_add_u32 s46, s20, s46
	s_addc_u32 s47, s21, 0
	global_load_ushort v3, v2, s[46:47]
	s_waitcnt vmcnt(0)
	v_mad_u32_u24 v3, v58, v3, v1
	v_and_b32_e32 v4, 63, v3
	v_cmp_gt_u32_e32 vcc, 8, v4
	s_and_saveexec_b64 s[46:47], vcc
	s_cbranch_execz .LBB159_30
; %bb.27:                               ;   in Loop: Header=BB159_3 Depth=1
	v_mov_b32_e32 v5, v2
	v_lshl_add_u64 v[4:5], v[56:57], 0, v[4:5]
	v_lshl_add_u64 v[4:5], v[4:5], 0, s[26:27]
	v_cmp_gt_i64_e32 vcc, s[8:9], v[4:5]
	v_mov_b32_e32 v61, 0
	s_and_saveexec_b64 s[48:49], vcc
	s_cbranch_execz .LBB159_29
; %bb.28:                               ;   in Loop: Header=BB159_3 Depth=1
	v_lshl_add_u64 v[4:5], v[4:5], 2, s[16:17]
	global_load_dword v61, v[4:5], off
.LBB159_29:                             ;   in Loop: Header=BB159_3 Depth=1
	s_or_b64 exec, exec, s[48:49]
.LBB159_30:                             ;   in Loop: Header=BB159_3 Depth=1
	s_or_b64 exec, exec, s[46:47]
	v_mov_b32_e32 v8, v2
	v_mov_b32_e32 v9, v2
	;; [unrolled: 1-line block ×7, first 2 shown]
	v_mov_b64_e32 v[18:19], v[8:9]
	v_mov_b64_e32 v[16:17], v[6:7]
	;; [unrolled: 1-line block ×8, first 2 shown]
	s_and_saveexec_b64 s[46:47], s[6:7]
	s_cbranch_execnz .LBB159_42
; %bb.31:                               ;   in Loop: Header=BB159_3 Depth=1
	s_or_b64 exec, exec, s[46:47]
	s_and_saveexec_b64 s[46:47], s[6:7]
	s_cbranch_execnz .LBB159_43
.LBB159_32:                             ;   in Loop: Header=BB159_3 Depth=1
	s_or_b64 exec, exec, s[46:47]
	s_and_saveexec_b64 s[46:47], s[6:7]
	s_cbranch_execnz .LBB159_44
.LBB159_33:                             ;   in Loop: Header=BB159_3 Depth=1
	s_or_b64 exec, exec, s[46:47]
	s_and_saveexec_b64 s[46:47], s[6:7]
	s_cbranch_execnz .LBB159_45
.LBB159_34:                             ;   in Loop: Header=BB159_3 Depth=1
	s_or_b64 exec, exec, s[46:47]
	s_and_saveexec_b64 s[46:47], s[6:7]
	s_cbranch_execnz .LBB159_46
.LBB159_35:                             ;   in Loop: Header=BB159_3 Depth=1
	s_or_b64 exec, exec, s[46:47]
	s_and_saveexec_b64 s[46:47], s[6:7]
	s_cbranch_execnz .LBB159_47
.LBB159_36:                             ;   in Loop: Header=BB159_3 Depth=1
	s_or_b64 exec, exec, s[46:47]
	s_and_saveexec_b64 s[46:47], s[6:7]
	s_cbranch_execnz .LBB159_48
.LBB159_37:                             ;   in Loop: Header=BB159_3 Depth=1
	s_or_b64 exec, exec, s[46:47]
	s_and_saveexec_b64 s[46:47], s[6:7]
	s_cbranch_execz .LBB159_39
.LBB159_38:                             ;   in Loop: Header=BB159_3 Depth=1
	v_lshl_add_u64 v[56:57], v[28:29], 0, v[22:23]
	global_load_dword v11, v[56:57], off
	v_lshl_add_u64 v[56:57], v[30:31], 0, v[22:23]
	global_load_dword v19, v[56:57], off
.LBB159_39:                             ;   in Loop: Header=BB159_3 Depth=1
	s_or_b64 exec, exec, s[46:47]
	s_waitcnt vmcnt(0)
	ds_bpermute_b32 v3, v59, v61
	ds_bpermute_b32 v56, v59, v61 offset:4
	ds_bpermute_b32 v57, v59, v61 offset:8
	v_mul_f32_e32 v4, v12, v4
	v_pk_mul_f32 v[6:7], v[14:15], v[6:7]
	s_waitcnt lgkmcnt(2)
	v_fmac_f32_e32 v60, v4, v3
	v_mul_f32_e32 v3, v13, v5
	v_pk_mov_b32 v[4:5], v[2:3], v[6:7] op_sel:[1,0]
	ds_bpermute_b32 v12, v59, v61 offset:12
	ds_bpermute_b32 v13, v59, v61 offset:16
	s_waitcnt lgkmcnt(2)
	v_pk_mul_f32 v[4:5], v[4:5], v[56:57]
	v_pk_mul_f32 v[8:9], v[16:17], v[8:9]
	v_add_f32_e32 v3, v60, v4
	v_add_f32_e32 v3, v3, v5
	v_pk_mov_b32 v[4:5], v[6:7], v[8:9] op_sel:[1,0]
	ds_bpermute_b32 v6, v59, v61 offset:20
	ds_bpermute_b32 v7, v59, v61 offset:24
	s_waitcnt lgkmcnt(2)
	v_pk_mul_f32 v[4:5], v[4:5], v[12:13]
	v_mul_f32_e32 v10, v18, v10
	v_add_f32_e32 v3, v3, v4
	ds_bpermute_b32 v4, v59, v61 offset:28
	v_pk_mov_b32 v[8:9], v[8:9], v[10:11] op_sel:[1,0]
	v_add_f32_e32 v3, v3, v5
	s_waitcnt lgkmcnt(1)
	v_pk_mul_f32 v[6:7], v[8:9], v[6:7]
	s_nop 0
	v_add_f32_e32 v3, v3, v6
	v_add_f32_e32 v3, v3, v7
.LBB159_40:                             ;   in Loop: Header=BB159_3 Depth=1
	v_mul_f32_e32 v5, v11, v19
	s_add_u32 s44, s44, s3
	s_waitcnt lgkmcnt(0)
	v_fmac_f32_e32 v3, v5, v4
	s_addc_u32 s45, s45, 0
	v_mov_b64_e32 v[4:5], s[8:9]
	s_add_u32 s24, s24, s3
	v_cmp_lt_i64_e32 vcc, s[44:45], v[4:5]
	v_lshl_add_u64 v[24:25], v[24:25], 0, s[22:23]
	v_lshl_add_u64 v[26:27], v[26:27], 0, s[22:23]
	;; [unrolled: 1-line block ×16, first 2 shown]
	s_addc_u32 s25, s25, 0
	s_cbranch_vccz .LBB159_50
; %bb.41:                               ;   in Loop: Header=BB159_3 Depth=1
	v_mov_b32_e32 v60, v3
	s_branch .LBB159_3
.LBB159_42:                             ;   in Loop: Header=BB159_3 Depth=1
	v_lshl_add_u64 v[4:5], v[24:25], 0, v[22:23]
	v_lshl_add_u64 v[6:7], v[26:27], 0, v[22:23]
	global_load_dword v4, v[4:5], off
	v_mov_b32_e32 v5, v2
	global_load_dword v12, v[6:7], off
	v_mov_b32_e32 v6, v2
	v_mov_b32_e32 v7, v2
	;; [unrolled: 1-line block ×13, first 2 shown]
	s_or_b64 exec, exec, s[46:47]
	s_and_saveexec_b64 s[46:47], s[6:7]
	s_cbranch_execz .LBB159_32
.LBB159_43:                             ;   in Loop: Header=BB159_3 Depth=1
	v_lshl_add_u64 v[56:57], v[52:53], 0, v[22:23]
	global_load_dword v5, v[56:57], off
	v_lshl_add_u64 v[56:57], v[54:55], 0, v[22:23]
	global_load_dword v13, v[56:57], off
	s_or_b64 exec, exec, s[46:47]
	s_and_saveexec_b64 s[46:47], s[6:7]
	s_cbranch_execz .LBB159_33
.LBB159_44:                             ;   in Loop: Header=BB159_3 Depth=1
	v_lshl_add_u64 v[56:57], v[48:49], 0, v[22:23]
	global_load_dword v6, v[56:57], off
	v_lshl_add_u64 v[56:57], v[50:51], 0, v[22:23]
	global_load_dword v14, v[56:57], off
	s_or_b64 exec, exec, s[46:47]
	s_and_saveexec_b64 s[46:47], s[6:7]
	s_cbranch_execz .LBB159_34
.LBB159_45:                             ;   in Loop: Header=BB159_3 Depth=1
	v_lshl_add_u64 v[56:57], v[44:45], 0, v[22:23]
	global_load_dword v7, v[56:57], off
	v_lshl_add_u64 v[56:57], v[46:47], 0, v[22:23]
	global_load_dword v15, v[56:57], off
	s_or_b64 exec, exec, s[46:47]
	s_and_saveexec_b64 s[46:47], s[6:7]
	s_cbranch_execz .LBB159_35
.LBB159_46:                             ;   in Loop: Header=BB159_3 Depth=1
	v_lshl_add_u64 v[56:57], v[40:41], 0, v[22:23]
	global_load_dword v8, v[56:57], off
	v_lshl_add_u64 v[56:57], v[42:43], 0, v[22:23]
	global_load_dword v16, v[56:57], off
	s_or_b64 exec, exec, s[46:47]
	s_and_saveexec_b64 s[46:47], s[6:7]
	s_cbranch_execz .LBB159_36
.LBB159_47:                             ;   in Loop: Header=BB159_3 Depth=1
	v_lshl_add_u64 v[56:57], v[36:37], 0, v[22:23]
	global_load_dword v9, v[56:57], off
	v_lshl_add_u64 v[56:57], v[38:39], 0, v[22:23]
	global_load_dword v17, v[56:57], off
	s_or_b64 exec, exec, s[46:47]
	s_and_saveexec_b64 s[46:47], s[6:7]
	s_cbranch_execz .LBB159_37
.LBB159_48:                             ;   in Loop: Header=BB159_3 Depth=1
	v_lshl_add_u64 v[56:57], v[32:33], 0, v[22:23]
	global_load_dword v10, v[56:57], off
	v_lshl_add_u64 v[56:57], v[34:35], 0, v[22:23]
	global_load_dword v18, v[56:57], off
	s_or_b64 exec, exec, s[46:47]
	s_and_saveexec_b64 s[46:47], s[6:7]
	s_cbranch_execnz .LBB159_38
	s_branch .LBB159_39
.LBB159_49:
                                        ; implicit-def: $vgpr3
	s_branch .LBB159_51
.LBB159_50:
	s_cbranch_execnz .LBB159_83
.LBB159_51:
	s_and_b64 vcc, exec, s[4:5]
	v_mov_b32_e32 v3, 0
	s_cbranch_vccnz .LBB159_83
; %bb.52:
	v_mov_b32_e32 v2, 0
	v_bfe_u32 v86, v0, 10, 10
	v_lshlrev_b32_e32 v6, 5, v86
	v_mov_b32_e32 v7, v2
	v_lshl_add_u64 v[6:7], s[18:19], 2, v[6:7]
	v_lshl_add_u64 v[8:9], v[6:7], 0, 4
	v_mov_b64_e32 v[10:11], s[12:13]
	v_lshl_add_u64 v[12:13], v[6:7], 0, 8
	v_lshl_add_u64 v[14:15], v[6:7], 0, 12
	;; [unrolled: 1-line block ×6, first 2 shown]
	v_mad_u64_u32 v[22:23], s[4:5], s10, v8, v[10:11]
	v_mad_u64_u32 v[24:25], s[4:5], s10, v12, v[10:11]
	;; [unrolled: 1-line block ×7, first 2 shown]
	v_mov_b64_e32 v[10:11], s[14:15]
	v_mul_lo_u32 v9, s10, v9
	v_mul_lo_u32 v38, s11, v8
	v_mad_u64_u32 v[36:37], s[4:5], s10, v8, v[10:11]
	v_add3_u32 v23, v38, v23, v9
	v_mul_lo_u32 v13, s10, v13
	v_mul_lo_u32 v40, s11, v12
	v_add3_u32 v37, v38, v37, v9
	v_mad_u64_u32 v[38:39], s[4:5], s10, v12, v[10:11]
	v_add3_u32 v25, v40, v25, v13
	v_mul_lo_u32 v15, s10, v15
	v_mul_lo_u32 v42, s11, v14
	v_add3_u32 v39, v40, v39, v13
	;; [unrolled: 5-line block ×3, first 2 shown]
	v_mad_u64_u32 v[42:43], s[4:5], s10, v16, v[10:11]
	v_lshlrev_b32_e32 v20, 3, v86
	v_mov_b32_e32 v21, v2
	v_add3_u32 v29, v44, v29, v17
	v_mul_lo_u32 v19, s10, v19
	v_mul_lo_u32 v48, s11, v18
	;; [unrolled: 1-line block ×4, first 2 shown]
	v_add3_u32 v43, v44, v43, v17
	v_mad_u64_u32 v[44:45], s[4:5], s10, v18, v[10:11]
	v_mad_u64_u32 v[46:47], s[4:5], s10, v46, v[10:11]
	v_lshl_add_u64 v[4:5], v[20:21], 0, s[18:19]
	v_add3_u32 v31, v48, v31, v19
	v_add3_u32 v33, v51, v33, v49
	v_mul_lo_u32 v7, s10, v7
	v_mul_lo_u32 v8, s11, v6
	v_add3_u32 v45, v48, v45, v19
	v_add3_u32 v47, v51, v47, v49
	v_mad_u64_u32 v[48:49], s[4:5], s10, v6, v[10:11]
	v_add3_u32 v35, v8, v35, v7
	v_add3_u32 v49, v8, v49, v7
	v_lshl_add_u64 v[6:7], v[4:5], 0, 7
	v_mul_lo_u32 v8, s11, v6
	v_mul_lo_u32 v9, s10, v7
	v_mad_u64_u32 v[6:7], s[4:5], s10, v6, 0
	v_add3_u32 v7, v7, v9, v8
	v_lshl_add_u64 v[8:9], v[4:5], 0, 6
	v_mul_lo_u32 v10, s11, v8
	v_mul_lo_u32 v11, s10, v9
	v_mad_u64_u32 v[8:9], s[4:5], s10, v8, 0
	;; [unrolled: 5-line block ×5, first 2 shown]
	v_add3_u32 v15, v15, v17, v16
	v_lshl_add_u64 v[16:17], v[4:5], 0, 2
	v_mul_lo_u32 v50, s10, v5
	v_mul_lo_u32 v5, s11, v16
	;; [unrolled: 1-line block ×3, first 2 shown]
	v_mad_u64_u32 v[16:17], s[4:5], s10, v16, 0
	v_add3_u32 v17, v17, v18, v5
	v_mov_b64_e32 v[18:19], s[10:11]
	v_mul_lo_u32 v3, s11, v4
	v_mad_u64_u32 v[18:19], s[4:5], s10, v4, v[18:19]
	v_mad_u64_u32 v[4:5], s[4:5], s10, v4, 0
	s_load_dword s3, s[0:1], 0x44
	v_add3_u32 v5, v5, v50, v3
	v_lshlrev_b64 v[4:5], 2, v[4:5]
	v_lshl_add_u64 v[52:53], s[12:13], 0, v[4:5]
	v_lshl_add_u64 v[54:55], s[14:15], 0, v[4:5]
	v_lshlrev_b64 v[4:5], 2, v[6:7]
	v_lshl_add_u64 v[56:57], s[12:13], 0, v[4:5]
	v_lshl_add_u64 v[58:59], s[14:15], 0, v[4:5]
	v_lshlrev_b64 v[4:5], 2, v[8:9]
	s_add_u32 s4, s0, 64
	v_lshl_add_u64 v[60:61], s[12:13], 0, v[4:5]
	v_lshl_add_u64 v[62:63], s[14:15], 0, v[4:5]
	v_lshlrev_b64 v[4:5], 2, v[10:11]
	s_addc_u32 s5, s1, 0
	s_waitcnt lgkmcnt(0)
	s_lshl_b32 s3, s3, 7
	v_lshl_add_u64 v[64:65], s[12:13], 0, v[4:5]
	v_lshl_add_u64 v[66:67], s[14:15], 0, v[4:5]
	v_lshlrev_b64 v[4:5], 2, v[12:13]
	s_mul_i32 s6, s11, s3
	s_mul_hi_u32 s7, s10, s3
	v_lshl_add_u64 v[68:69], s[12:13], 0, v[4:5]
	v_lshl_add_u64 v[70:71], s[14:15], 0, v[4:5]
	v_lshlrev_b64 v[4:5], 2, v[14:15]
	v_add3_u32 v19, v3, v19, v50
	s_add_i32 s7, s7, s6
	s_mul_i32 s6, s10, s3
	v_lshl_add_u64 v[72:73], s[12:13], 0, v[4:5]
	v_lshl_add_u64 v[74:75], s[14:15], 0, v[4:5]
	v_lshlrev_b64 v[4:5], 2, v[16:17]
	v_mbcnt_lo_u32_b32 v3, -1, 0
	v_and_b32_e32 v1, 0x3ff, v0
	s_lshl_b64 s[6:7], s[6:7], 2
	v_lshl_add_u64 v[76:77], s[12:13], 0, v[4:5]
	v_lshl_add_u64 v[78:79], s[14:15], 0, v[4:5]
	v_lshlrev_b64 v[4:5], 2, v[18:19]
	v_mbcnt_hi_u32_b32 v3, -1, v3
	v_add_u32_e32 v50, s33, v1
	v_mov_b32_e32 v51, v2
	s_add_u32 s20, s18, 0x7f
	v_lshl_add_u64 v[80:81], s[12:13], 0, v[4:5]
	v_lshl_add_u64 v[82:83], s[14:15], 0, v[4:5]
	s_movk_i32 s12, 0xff81
	s_movk_i32 s14, 0xff82
	s_movk_i32 s22, 0xff83
	s_movk_i32 s24, 0xff84
	s_movk_i32 s26, 0xff85
	s_movk_i32 s28, 0xff86
	s_movk_i32 s30, 0xff87
	s_movk_i32 s34, 0xff88
	v_lshlrev_b32_e32 v3, 2, v3
	v_lshlrev_b64 v[50:51], 2, v[50:51]
	s_addc_u32 s21, 0, 0
	s_mov_b32 s13, -1
	s_mov_b32 s15, -1
	;; [unrolled: 1-line block ×8, first 2 shown]
	v_and_b32_e32 v87, 0x100, v3
	v_mov_b32_e32 v88, 0
.LBB159_53:                             ; =>This Inner Loop Header: Depth=1
	v_mov_b64_e32 v[4:5], s[8:9]
	v_cmp_ge_i64_e32 vcc, s[20:21], v[4:5]
	v_lshl_add_u64 v[84:85], v[20:21], 0, s[20:21]
	s_mov_b64 s[36:37], -1
                                        ; implicit-def: $vgpr3
	s_cbranch_vccz .LBB159_75
; %bb.54:                               ;   in Loop: Header=BB159_53 Depth=1
	s_load_dword s33, s[4:5], 0xc
	v_mov_b32_e32 v89, 0
	s_waitcnt lgkmcnt(0)
	s_and_b32 s33, s33, 0xffff
	v_mad_u32_u24 v3, v86, s33, v1
	v_and_b32_e32 v4, 63, v3
	v_cmp_gt_u32_e32 vcc, 8, v4
	s_and_saveexec_b64 s[36:37], vcc
	s_cbranch_execz .LBB159_58
; %bb.55:                               ;   in Loop: Header=BB159_53 Depth=1
	v_mov_b32_e32 v5, v2
	v_lshl_add_u64 v[4:5], v[84:85], 0, v[4:5]
	v_lshl_add_u64 v[4:5], v[4:5], 0, s[12:13]
	v_cmp_gt_i64_e32 vcc, s[8:9], v[4:5]
	v_mov_b32_e32 v89, 0
	s_and_saveexec_b64 s[38:39], vcc
	s_cbranch_execz .LBB159_57
; %bb.56:                               ;   in Loop: Header=BB159_53 Depth=1
	v_lshl_add_u64 v[4:5], v[4:5], 2, s[16:17]
	global_load_dword v89, v[4:5], off
.LBB159_57:                             ;   in Loop: Header=BB159_53 Depth=1
	s_or_b64 exec, exec, s[38:39]
.LBB159_58:                             ;   in Loop: Header=BB159_53 Depth=1
	s_or_b64 exec, exec, s[36:37]
	v_lshl_add_u64 v[4:5], v[84:85], 0, s[12:13]
	v_mov_b32_e32 v8, v2
	v_mov_b32_e32 v9, v2
	v_cmp_gt_i64_e32 vcc, s[8:9], v[4:5]
	v_mov_b32_e32 v3, v2
	v_mov_b32_e32 v4, v2
	;; [unrolled: 1-line block ×5, first 2 shown]
	v_mov_b64_e32 v[18:19], v[8:9]
	v_mov_b64_e32 v[16:17], v[6:7]
	;; [unrolled: 1-line block ×8, first 2 shown]
	s_and_saveexec_b64 s[36:37], vcc
	s_cbranch_execz .LBB159_60
; %bb.59:                               ;   in Loop: Header=BB159_53 Depth=1
	v_lshl_add_u64 v[4:5], v[52:53], 0, v[50:51]
	v_lshl_add_u64 v[6:7], v[54:55], 0, v[50:51]
	global_load_dword v4, v[4:5], off
	v_mov_b32_e32 v5, v2
	global_load_dword v12, v[6:7], off
	v_mov_b32_e32 v6, v2
	v_mov_b32_e32 v7, v2
	;; [unrolled: 1-line block ×13, first 2 shown]
.LBB159_60:                             ;   in Loop: Header=BB159_53 Depth=1
	s_or_b64 exec, exec, s[36:37]
	v_lshl_add_u64 v[90:91], v[84:85], 0, s[14:15]
	v_cmp_gt_i64_e32 vcc, s[8:9], v[90:91]
	s_and_saveexec_b64 s[36:37], vcc
	s_cbranch_execz .LBB159_62
; %bb.61:                               ;   in Loop: Header=BB159_53 Depth=1
	v_lshl_add_u64 v[90:91], v[80:81], 0, v[50:51]
	global_load_dword v5, v[90:91], off
	v_lshl_add_u64 v[90:91], v[82:83], 0, v[50:51]
	global_load_dword v13, v[90:91], off
.LBB159_62:                             ;   in Loop: Header=BB159_53 Depth=1
	s_or_b64 exec, exec, s[36:37]
	v_lshl_add_u64 v[90:91], v[84:85], 0, s[22:23]
	v_cmp_gt_i64_e32 vcc, s[8:9], v[90:91]
	s_and_saveexec_b64 s[36:37], vcc
	s_cbranch_execz .LBB159_64
; %bb.63:                               ;   in Loop: Header=BB159_53 Depth=1
	v_lshl_add_u64 v[90:91], v[76:77], 0, v[50:51]
	global_load_dword v6, v[90:91], off
	v_lshl_add_u64 v[90:91], v[78:79], 0, v[50:51]
	global_load_dword v14, v[90:91], off
.LBB159_64:                             ;   in Loop: Header=BB159_53 Depth=1
	;; [unrolled: 11-line block ×7, first 2 shown]
	s_or_b64 exec, exec, s[36:37]
	s_waitcnt vmcnt(0)
	ds_bpermute_b32 v90, v87, v89
	ds_bpermute_b32 v91, v87, v89 offset:4
	v_pk_mul_f32 v[6:7], v[14:15], v[6:7]
	ds_bpermute_b32 v14, v87, v89 offset:8
	ds_bpermute_b32 v15, v87, v89 offset:12
	v_pk_mul_f32 v[4:5], v[12:13], v[4:5]
	ds_bpermute_b32 v12, v87, v89 offset:24
	s_waitcnt lgkmcnt(3)
	v_pk_mul_f32 v[4:5], v[4:5], v[90:91]
	ds_bpermute_b32 v13, v87, v89 offset:28
	v_add_f32_e32 v3, v88, v4
	v_add_f32_e32 v3, v3, v5
	s_waitcnt lgkmcnt(2)
	v_pk_mul_f32 v[4:5], v[6:7], v[14:15]
	ds_bpermute_b32 v6, v87, v89 offset:16
	ds_bpermute_b32 v7, v87, v89 offset:20
	v_pk_mul_f32 v[8:9], v[16:17], v[8:9]
	v_add_f32_e32 v3, v3, v4
	v_add_f32_e32 v3, v3, v5
	v_pk_mul_f32 v[10:11], v[18:19], v[10:11]
	s_waitcnt lgkmcnt(0)
	v_pk_mul_f32 v[4:5], v[8:9], v[6:7]
	s_mov_b64 s[36:37], 0
	v_add_f32_e32 v3, v3, v4
	v_add_f32_e32 v3, v3, v5
	v_pk_mul_f32 v[4:5], v[10:11], v[12:13]
	s_nop 0
	v_add_f32_e32 v3, v3, v4
	v_add_f32_e32 v3, v3, v5
.LBB159_75:                             ;   in Loop: Header=BB159_53 Depth=1
	s_and_b64 vcc, exec, s[36:37]
	s_cbranch_vccz .LBB159_81
; %bb.76:                               ;   in Loop: Header=BB159_53 Depth=1
	s_load_dword s33, s[4:5], 0x0
	s_waitcnt lgkmcnt(0)
	s_cmp_lt_u32 s2, s33
	s_cselect_b32 s33, 12, 18
	s_add_u32 s36, s4, s33
	s_addc_u32 s37, s5, 0
	global_load_ushort v3, v2, s[36:37]
	s_waitcnt vmcnt(0)
	v_mad_u32_u24 v3, v86, v3, v1
	v_and_b32_e32 v4, 63, v3
	v_cmp_gt_u32_e32 vcc, 8, v4
	v_mov_b32_e32 v3, 0
	s_and_saveexec_b64 s[36:37], vcc
	s_cbranch_execz .LBB159_80
; %bb.77:                               ;   in Loop: Header=BB159_53 Depth=1
	v_mov_b32_e32 v5, v2
	v_lshl_add_u64 v[4:5], v[84:85], 0, v[4:5]
	v_lshl_add_u64 v[4:5], v[4:5], 0, s[12:13]
	v_cmp_gt_i64_e32 vcc, s[8:9], v[4:5]
	v_mov_b32_e32 v3, 0
	s_and_saveexec_b64 s[38:39], vcc
	s_cbranch_execz .LBB159_79
; %bb.78:                               ;   in Loop: Header=BB159_53 Depth=1
	v_lshl_add_u64 v[4:5], v[4:5], 2, s[16:17]
	global_load_dword v3, v[4:5], off
.LBB159_79:                             ;   in Loop: Header=BB159_53 Depth=1
	s_or_b64 exec, exec, s[38:39]
.LBB159_80:                             ;   in Loop: Header=BB159_53 Depth=1
	s_or_b64 exec, exec, s[36:37]
	v_lshl_add_u64 v[4:5], v[52:53], 0, v[50:51]
	v_lshl_add_u64 v[8:9], v[22:23], 0, v[50:51]
	global_load_dword v4, v[4:5], off
	v_lshl_add_u64 v[6:7], v[54:55], 0, v[50:51]
	global_load_dword v5, v[8:9], off
	;; [unrolled: 2-line block ×15, first 2 shown]
	s_waitcnt vmcnt(15)
	ds_bpermute_b32 v90, v87, v3 offset:8
	global_load_dword v19, v[84:85], off
	ds_bpermute_b32 v84, v87, v3
	ds_bpermute_b32 v85, v87, v3 offset:4
	ds_bpermute_b32 v91, v87, v3 offset:12
	;; [unrolled: 1-line block ×6, first 2 shown]
	s_waitcnt vmcnt(12)
	v_pk_mul_f32 v[4:5], v[4:5], v[6:7]
	s_waitcnt lgkmcnt(5)
	v_pk_mul_f32 v[4:5], v[4:5], v[84:85]
	s_waitcnt vmcnt(8)
	v_pk_mul_f32 v[6:7], v[8:9], v[10:11]
	v_add_f32_e32 v3, v88, v4
	s_waitcnt lgkmcnt(4)
	v_pk_mul_f32 v[6:7], v[6:7], v[90:91]
	v_add_f32_e32 v3, v3, v5
	v_add_f32_e32 v3, v3, v6
	;; [unrolled: 1-line block ×3, first 2 shown]
	s_waitcnt vmcnt(4)
	v_pk_mul_f32 v[8:9], v[12:13], v[14:15]
	s_waitcnt lgkmcnt(2)
	v_pk_mul_f32 v[8:9], v[8:9], v[92:93]
	s_waitcnt vmcnt(0)
	v_pk_mul_f32 v[10:11], v[16:17], v[18:19]
	v_add_f32_e32 v3, v3, v8
	v_add_f32_e32 v3, v3, v9
	s_waitcnt lgkmcnt(0)
	v_pk_mul_f32 v[4:5], v[10:11], v[94:95]
	s_nop 0
	v_add_f32_e32 v3, v3, v4
	v_add_f32_e32 v3, v3, v5
.LBB159_81:                             ;   in Loop: Header=BB159_53 Depth=1
	s_add_u32 s18, s18, s3
	s_addc_u32 s19, s19, 0
	v_mov_b64_e32 v[4:5], s[8:9]
	s_add_u32 s20, s20, s3
	v_cmp_ge_i64_e32 vcc, s[18:19], v[4:5]
	v_lshl_add_u64 v[52:53], v[52:53], 0, s[6:7]
	v_lshl_add_u64 v[54:55], v[54:55], 0, s[6:7]
	s_addc_u32 s21, s21, 0
	v_lshl_add_u64 v[22:23], v[22:23], 0, s[6:7]
	v_lshl_add_u64 v[24:25], v[24:25], 0, s[6:7]
	;; [unrolled: 1-line block ×28, first 2 shown]
	s_cbranch_vccnz .LBB159_83
; %bb.82:                               ;   in Loop: Header=BB159_53 Depth=1
	v_mov_b32_e32 v88, v3
	s_branch .LBB159_53
.LBB159_83:
	v_and_b32_e32 v1, 0x3ff, v0
	v_bfe_u32 v0, v0, 10, 10
	v_mad_u32_u24 v2, v0, 33, v1
	v_lshl_add_u32 v4, v2, 2, 0
	v_sub_u32_e32 v5, v2, v0
	s_movk_i32 s3, 0x800
	ds_write_b32 v4, v3
	v_mov_b32_e32 v3, 0
	v_cmp_gt_u32_e32 vcc, s3, v5
	ds_write_b32 v4, v3 offset:2112
	s_waitcnt lgkmcnt(0)
	s_barrier
	s_and_saveexec_b64 s[4:5], vcc
	s_cbranch_execz .LBB159_103
; %bb.84:
	s_load_dwordx2 s[4:5], s[0:1], 0x30
	v_and_b32_e32 v2, 63, v5
	v_lshrrev_b32_e32 v0, 6, v5
	v_cmp_gt_u32_e32 vcc, 16, v2
	v_mul_u32_u24_e32 v4, 33, v2
                                        ; implicit-def: $vgpr2
	s_and_saveexec_b64 s[0:1], vcc
; %bb.85:
	v_lshlrev_b32_e32 v2, 2, v0
	v_lshlrev_b32_e32 v3, 2, v4
	v_add3_u32 v2, 0, v2, v3
	ds_read_b32 v2, v2
; %bb.86:
	s_or_b64 exec, exec, s[0:1]
	v_mbcnt_lo_u32_b32 v3, -1, 0
	v_mbcnt_hi_u32_b32 v3, -1, v3
	v_and_b32_e32 v6, 64, v3
	v_add_u32_e32 v9, 64, v6
	v_xor_b32_e32 v6, 8, v3
	v_cmp_lt_i32_e64 s[0:1], v6, v9
	v_xor_b32_e32 v8, 4, v3
	v_xor_b32_e32 v10, 2, v3
	v_cndmask_b32_e64 v6, v3, v6, s[0:1]
	v_lshlrev_b32_e32 v6, 2, v6
	s_waitcnt lgkmcnt(0)
	ds_bpermute_b32 v7, v6, v2
	v_cmp_lt_i32_e64 s[0:1], v8, v9
	v_xor_b32_e32 v11, 1, v3
	s_mov_b32 s3, 0
	s_lshl_b64 s[6:7], s[2:3], 5
	s_waitcnt lgkmcnt(0)
	v_add_f32_e32 v2, v2, v7
	v_cndmask_b32_e64 v7, v3, v8, s[0:1]
	v_lshlrev_b32_e32 v7, 2, v7
	ds_bpermute_b32 v8, v7, v2
	v_cmp_lt_i32_e64 s[0:1], v10, v9
	s_cmp_eq_u64 s[4:5], 0
	s_cselect_b64 s[8:9], -1, 0
	s_waitcnt lgkmcnt(0)
	v_add_f32_e32 v2, v2, v8
	v_cndmask_b32_e64 v8, v3, v10, s[0:1]
	v_lshlrev_b32_e32 v8, 2, v8
	ds_bpermute_b32 v10, v8, v2
	v_cmp_lt_i32_e64 s[0:1], v11, v9
	s_waitcnt lgkmcnt(0)
	v_add_f32_e32 v2, v2, v10
	v_cndmask_b32_e64 v3, v3, v11, s[0:1]
	v_lshlrev_b32_e32 v9, 2, v3
	ds_bpermute_b32 v3, v9, v2
	v_cmp_ne_u32_e64 s[0:1], 0, v1
	s_waitcnt lgkmcnt(0)
	v_add_f32_e32 v10, v2, v3
	v_or_b32_e32 v2, s6, v0
	v_mov_b32_e32 v3, s7
	v_cmp_le_i64_e64 s[2:3], s[10:11], v[2:3]
	s_or_b64 s[2:3], s[0:1], s[2:3]
	s_nor_b64 s[12:13], s[8:9], s[2:3]
	s_and_saveexec_b64 s[2:3], s[12:13]
	s_cbranch_execz .LBB159_88
; %bb.87:
	v_lshl_add_u64 v[2:3], v[2:3], 2, s[4:5]
	global_store_dword v[2:3], v10, off
.LBB159_88:
	s_or_b64 exec, exec, s[2:3]
	s_movk_i32 s2, 0x600
	v_cmp_gt_u32_e64 s[2:3], s2, v5
	s_and_b64 exec, exec, s[2:3]
	s_cbranch_execz .LBB159_103
; %bb.89:
	v_mov_b32_e32 v1, 0
	s_and_saveexec_b64 s[2:3], vcc
; %bb.90:
	v_lshlrev_b32_e32 v2, 2, v0
	v_lshlrev_b32_e32 v3, 2, v4
	v_add3_u32 v2, 0, v2, v3
	ds_read_b32 v10, v2 offset:32
; %bb.91:
	s_or_b64 exec, exec, s[2:3]
	s_waitcnt lgkmcnt(0)
	ds_bpermute_b32 v2, v6, v10
	s_waitcnt lgkmcnt(0)
	v_add_f32_e32 v2, v10, v2
	ds_bpermute_b32 v3, v7, v2
	s_waitcnt lgkmcnt(0)
	v_add_f32_e32 v3, v2, v3
	ds_bpermute_b32 v10, v8, v3
	v_add_u32_e32 v2, 8, v0
	s_waitcnt lgkmcnt(0)
	v_add_f32_e32 v10, v3, v10
	ds_bpermute_b32 v11, v9, v10
	v_mov_b32_e32 v3, v1
	v_lshl_add_u64 v[2:3], s[6:7], 0, v[2:3]
	v_cmp_le_i64_e64 s[2:3], s[10:11], v[2:3]
	s_or_b64 s[2:3], s[0:1], s[2:3]
	s_waitcnt lgkmcnt(0)
	v_add_f32_e32 v2, v10, v11
	s_nor_b64 s[12:13], s[8:9], s[2:3]
	s_and_saveexec_b64 s[2:3], s[12:13]
	s_cbranch_execz .LBB159_93
; %bb.92:
	v_lshl_add_u64 v[10:11], s[6:7], 0, v[0:1]
	v_lshl_add_u64 v[10:11], v[10:11], 2, s[4:5]
	global_store_dword v[10:11], v2, off offset:32
.LBB159_93:
	s_or_b64 exec, exec, s[2:3]
	s_movk_i32 s2, 0x400
	v_cmp_gt_u32_e64 s[2:3], s2, v5
	s_and_b64 exec, exec, s[2:3]
	s_cbranch_execz .LBB159_103
; %bb.94:
	s_and_saveexec_b64 s[2:3], vcc
; %bb.95:
	v_lshlrev_b32_e32 v2, 2, v0
	v_lshlrev_b32_e32 v3, 2, v4
	v_add3_u32 v2, 0, v2, v3
	ds_read_b32 v2, v2 offset:64
; %bb.96:
	s_or_b64 exec, exec, s[2:3]
	s_waitcnt lgkmcnt(0)
	ds_bpermute_b32 v3, v6, v2
	v_add_u32_e32 v10, 16, v0
	s_waitcnt lgkmcnt(0)
	v_add_f32_e32 v2, v2, v3
	ds_bpermute_b32 v3, v7, v2
	s_waitcnt lgkmcnt(0)
	v_add_f32_e32 v2, v2, v3
	ds_bpermute_b32 v3, v8, v2
	;; [unrolled: 3-line block ×3, first 2 shown]
	v_mov_b32_e32 v3, s7
	v_or_b32_e32 v2, s6, v10
	v_cmp_le_i64_e64 s[2:3], s[10:11], v[2:3]
	s_or_b64 s[2:3], s[0:1], s[2:3]
	s_waitcnt lgkmcnt(0)
	v_add_f32_e32 v2, v11, v12
	s_nor_b64 s[12:13], s[8:9], s[2:3]
	s_and_saveexec_b64 s[2:3], s[12:13]
	s_cbranch_execz .LBB159_98
; %bb.97:
	v_lshl_add_u64 v[10:11], s[6:7], 0, v[0:1]
	v_lshl_add_u64 v[10:11], v[10:11], 2, s[4:5]
	global_store_dword v[10:11], v2, off offset:64
.LBB159_98:
	s_or_b64 exec, exec, s[2:3]
	s_movk_i32 s2, 0x200
	v_cmp_gt_u32_e64 s[2:3], s2, v5
	s_and_b64 exec, exec, s[2:3]
	s_cbranch_execz .LBB159_103
; %bb.99:
	s_and_saveexec_b64 s[2:3], vcc
; %bb.100:
	v_lshlrev_b32_e32 v2, 2, v0
	v_lshlrev_b32_e32 v3, 2, v4
	v_add3_u32 v2, 0, v2, v3
	ds_read_b32 v2, v2 offset:96
; %bb.101:
	s_or_b64 exec, exec, s[2:3]
	s_waitcnt lgkmcnt(0)
	ds_bpermute_b32 v3, v6, v2
	v_add_u32_e32 v4, 24, v0
	v_or_b32_e32 v4, s6, v4
	v_mov_b32_e32 v5, s7
	v_cmp_le_i64_e32 vcc, s[10:11], v[4:5]
	s_waitcnt lgkmcnt(0)
	v_add_f32_e32 v2, v2, v3
	ds_bpermute_b32 v3, v7, v2
	s_or_b64 s[0:1], s[0:1], vcc
	s_nor_b64 s[0:1], s[8:9], s[0:1]
	s_waitcnt lgkmcnt(0)
	v_add_f32_e32 v2, v2, v3
	ds_bpermute_b32 v3, v8, v2
	s_waitcnt lgkmcnt(0)
	v_add_f32_e32 v2, v2, v3
	ds_bpermute_b32 v3, v9, v2
	s_and_saveexec_b64 s[2:3], s[0:1]
	s_xor_b64 s[2:3], exec, s[2:3]
	s_cbranch_execz .LBB159_103
; %bb.102:
	v_lshl_add_u64 v[0:1], s[6:7], 0, v[0:1]
	s_waitcnt lgkmcnt(0)
	v_add_f32_e32 v2, v2, v3
	v_lshl_add_u64 v[0:1], v[0:1], 2, s[4:5]
	global_store_dword v[0:1], v2, off offset:96
.LBB159_103:
	s_endpgm
	.section	.rodata,"a",@progbits
	.p2align	6, 0x0
	.amdhsa_kernel _ZN2at6native12_GLOBAL__N_135GammaBetaBackwardCUDAKernelTemplateIffLj32ELj16ELj128ELb0ELb0ELb1EEEvllPKT_S5_PKT0_S8_PS3_S9_
		.amdhsa_group_segment_fixed_size 0
		.amdhsa_private_segment_fixed_size 0
		.amdhsa_kernarg_size 320
		.amdhsa_user_sgpr_count 2
		.amdhsa_user_sgpr_dispatch_ptr 0
		.amdhsa_user_sgpr_queue_ptr 0
		.amdhsa_user_sgpr_kernarg_segment_ptr 1
		.amdhsa_user_sgpr_dispatch_id 0
		.amdhsa_user_sgpr_kernarg_preload_length 0
		.amdhsa_user_sgpr_kernarg_preload_offset 0
		.amdhsa_user_sgpr_private_segment_size 0
		.amdhsa_uses_dynamic_stack 0
		.amdhsa_enable_private_segment 0
		.amdhsa_system_sgpr_workgroup_id_x 1
		.amdhsa_system_sgpr_workgroup_id_y 1
		.amdhsa_system_sgpr_workgroup_id_z 0
		.amdhsa_system_sgpr_workgroup_info 0
		.amdhsa_system_vgpr_workitem_id 1
		.amdhsa_next_free_vgpr 96
		.amdhsa_next_free_sgpr 50
		.amdhsa_accum_offset 96
		.amdhsa_reserve_vcc 1
		.amdhsa_float_round_mode_32 0
		.amdhsa_float_round_mode_16_64 0
		.amdhsa_float_denorm_mode_32 3
		.amdhsa_float_denorm_mode_16_64 3
		.amdhsa_dx10_clamp 1
		.amdhsa_ieee_mode 1
		.amdhsa_fp16_overflow 0
		.amdhsa_tg_split 0
		.amdhsa_exception_fp_ieee_invalid_op 0
		.amdhsa_exception_fp_denorm_src 0
		.amdhsa_exception_fp_ieee_div_zero 0
		.amdhsa_exception_fp_ieee_overflow 0
		.amdhsa_exception_fp_ieee_underflow 0
		.amdhsa_exception_fp_ieee_inexact 0
		.amdhsa_exception_int_div_zero 0
	.end_amdhsa_kernel
	.section	.text._ZN2at6native12_GLOBAL__N_135GammaBetaBackwardCUDAKernelTemplateIffLj32ELj16ELj128ELb0ELb0ELb1EEEvllPKT_S5_PKT0_S8_PS3_S9_,"axG",@progbits,_ZN2at6native12_GLOBAL__N_135GammaBetaBackwardCUDAKernelTemplateIffLj32ELj16ELj128ELb0ELb0ELb1EEEvllPKT_S5_PKT0_S8_PS3_S9_,comdat
.Lfunc_end159:
	.size	_ZN2at6native12_GLOBAL__N_135GammaBetaBackwardCUDAKernelTemplateIffLj32ELj16ELj128ELb0ELb0ELb1EEEvllPKT_S5_PKT0_S8_PS3_S9_, .Lfunc_end159-_ZN2at6native12_GLOBAL__N_135GammaBetaBackwardCUDAKernelTemplateIffLj32ELj16ELj128ELb0ELb0ELb1EEEvllPKT_S5_PKT0_S8_PS3_S9_
                                        ; -- End function
	.set _ZN2at6native12_GLOBAL__N_135GammaBetaBackwardCUDAKernelTemplateIffLj32ELj16ELj128ELb0ELb0ELb1EEEvllPKT_S5_PKT0_S8_PS3_S9_.num_vgpr, 96
	.set _ZN2at6native12_GLOBAL__N_135GammaBetaBackwardCUDAKernelTemplateIffLj32ELj16ELj128ELb0ELb0ELb1EEEvllPKT_S5_PKT0_S8_PS3_S9_.num_agpr, 0
	.set _ZN2at6native12_GLOBAL__N_135GammaBetaBackwardCUDAKernelTemplateIffLj32ELj16ELj128ELb0ELb0ELb1EEEvllPKT_S5_PKT0_S8_PS3_S9_.numbered_sgpr, 50
	.set _ZN2at6native12_GLOBAL__N_135GammaBetaBackwardCUDAKernelTemplateIffLj32ELj16ELj128ELb0ELb0ELb1EEEvllPKT_S5_PKT0_S8_PS3_S9_.num_named_barrier, 0
	.set _ZN2at6native12_GLOBAL__N_135GammaBetaBackwardCUDAKernelTemplateIffLj32ELj16ELj128ELb0ELb0ELb1EEEvllPKT_S5_PKT0_S8_PS3_S9_.private_seg_size, 0
	.set _ZN2at6native12_GLOBAL__N_135GammaBetaBackwardCUDAKernelTemplateIffLj32ELj16ELj128ELb0ELb0ELb1EEEvllPKT_S5_PKT0_S8_PS3_S9_.uses_vcc, 1
	.set _ZN2at6native12_GLOBAL__N_135GammaBetaBackwardCUDAKernelTemplateIffLj32ELj16ELj128ELb0ELb0ELb1EEEvllPKT_S5_PKT0_S8_PS3_S9_.uses_flat_scratch, 0
	.set _ZN2at6native12_GLOBAL__N_135GammaBetaBackwardCUDAKernelTemplateIffLj32ELj16ELj128ELb0ELb0ELb1EEEvllPKT_S5_PKT0_S8_PS3_S9_.has_dyn_sized_stack, 0
	.set _ZN2at6native12_GLOBAL__N_135GammaBetaBackwardCUDAKernelTemplateIffLj32ELj16ELj128ELb0ELb0ELb1EEEvllPKT_S5_PKT0_S8_PS3_S9_.has_recursion, 0
	.set _ZN2at6native12_GLOBAL__N_135GammaBetaBackwardCUDAKernelTemplateIffLj32ELj16ELj128ELb0ELb0ELb1EEEvllPKT_S5_PKT0_S8_PS3_S9_.has_indirect_call, 0
	.section	.AMDGPU.csdata,"",@progbits
; Kernel info:
; codeLenInByte = 6616
; TotalNumSgprs: 56
; NumVgprs: 96
; NumAgprs: 0
; TotalNumVgprs: 96
; ScratchSize: 0
; MemoryBound: 0
; FloatMode: 240
; IeeeMode: 1
; LDSByteSize: 0 bytes/workgroup (compile time only)
; SGPRBlocks: 6
; VGPRBlocks: 11
; NumSGPRsForWavesPerEU: 56
; NumVGPRsForWavesPerEU: 96
; AccumOffset: 96
; Occupancy: 5
; WaveLimiterHint : 0
; COMPUTE_PGM_RSRC2:SCRATCH_EN: 0
; COMPUTE_PGM_RSRC2:USER_SGPR: 2
; COMPUTE_PGM_RSRC2:TRAP_HANDLER: 0
; COMPUTE_PGM_RSRC2:TGID_X_EN: 1
; COMPUTE_PGM_RSRC2:TGID_Y_EN: 1
; COMPUTE_PGM_RSRC2:TGID_Z_EN: 0
; COMPUTE_PGM_RSRC2:TIDIG_COMP_CNT: 1
; COMPUTE_PGM_RSRC3_GFX90A:ACCUM_OFFSET: 23
; COMPUTE_PGM_RSRC3_GFX90A:TG_SPLIT: 0
	.section	.text._ZN2at6native12_GLOBAL__N_135GammaBetaBackwardCUDAKernelTemplateIffLj32ELj32ELj256ELb0ELb1ELb1EEEvllPKT_S5_PKT0_S8_PS3_S9_,"axG",@progbits,_ZN2at6native12_GLOBAL__N_135GammaBetaBackwardCUDAKernelTemplateIffLj32ELj32ELj256ELb0ELb1ELb1EEEvllPKT_S5_PKT0_S8_PS3_S9_,comdat
	.globl	_ZN2at6native12_GLOBAL__N_135GammaBetaBackwardCUDAKernelTemplateIffLj32ELj32ELj256ELb0ELb1ELb1EEEvllPKT_S5_PKT0_S8_PS3_S9_ ; -- Begin function _ZN2at6native12_GLOBAL__N_135GammaBetaBackwardCUDAKernelTemplateIffLj32ELj32ELj256ELb0ELb1ELb1EEEvllPKT_S5_PKT0_S8_PS3_S9_
	.p2align	8
	.type	_ZN2at6native12_GLOBAL__N_135GammaBetaBackwardCUDAKernelTemplateIffLj32ELj32ELj256ELb0ELb1ELb1EEEvllPKT_S5_PKT0_S8_PS3_S9_,@function
_ZN2at6native12_GLOBAL__N_135GammaBetaBackwardCUDAKernelTemplateIffLj32ELj32ELj256ELb0ELb1ELb1EEEvllPKT_S5_PKT0_S8_PS3_S9_: ; @_ZN2at6native12_GLOBAL__N_135GammaBetaBackwardCUDAKernelTemplateIffLj32ELj32ELj256ELb0ELb1ELb1EEEvllPKT_S5_PKT0_S8_PS3_S9_
; %bb.0:
	s_load_dwordx4 s[4:7], s[0:1], 0x0
	s_lshl_b32 s14, s3, 8
	s_mov_b32 s15, 0
	v_mov_b64_e32 v[2:3], s[14:15]
	v_bfe_u32 v12, v0, 10, 10
	s_waitcnt lgkmcnt(0)
	v_cmp_gt_i64_e32 vcc, s[4:5], v[2:3]
	s_cbranch_vccnz .LBB160_2
; %bb.1:
	s_mov_b64 s[8:9], 0
	v_bfe_u32 v2, v0, 10, 10
	s_branch .LBB160_3
.LBB160_2:
	s_mov_b64 s[8:9], -1
                                        ; implicit-def: $vgpr2
.LBB160_3:
	s_load_dwordx2 s[12:13], s[0:1], 0x30
	v_and_b32_e32 v10, 0x3ff, v0
	v_mov_b32_e32 v1, 0
	s_andn2_b64 vcc, exec, s[8:9]
	v_mbcnt_lo_u32_b32 v11, -1, 0
	s_cbranch_vccnz .LBB160_11
; %bb.4:
	s_load_dword s3, s[0:1], 0x4c
	s_load_dword s16, s[0:1], 0x44
	s_load_dwordx2 s[18:19], s[0:1], 0x28
	s_load_dwordx4 s[8:11], s[0:1], 0x10
	v_lshlrev_b32_e32 v0, 3, v12
	s_waitcnt lgkmcnt(0)
	s_and_b32 s0, s3, 0xffff
	v_mad_u32_u24 v1, v12, s0, v10
	v_and_b32_e32 v2, 63, v1
	v_mov_b32_e32 v1, 0
	v_mov_b32_e32 v3, v1
	v_lshl_add_u64 v[8:9], v[0:1], 0, s[14:15]
	v_cmp_gt_u32_e64 s[0:1], 8, v2
	v_mbcnt_hi_u32_b32 v4, -1, v11
	s_lshl_b32 s16, s16, 8
	v_lshl_add_u64 v[2:3], v[8:9], 0, v[2:3]
	v_mul_lo_u32 v0, s7, v8
	v_mul_lo_u32 v21, s6, v9
	v_mad_u64_u32 v[8:9], s[20:21], s6, v8, 0
	v_lshl_add_u32 v6, s2, 5, v10
	v_mov_b32_e32 v7, v1
	v_lshlrev_b32_e32 v4, 2, v4
	s_mul_i32 s3, s7, s16
	s_mul_hi_u32 s20, s6, s16
	s_mov_b32 s17, 0
	v_and_b32_e32 v13, 0x100, v4
	v_add3_u32 v9, v9, v21, v0
	v_lshlrev_b64 v[6:7], 2, v[6:7]
	s_add_i32 s21, s20, s3
	s_mul_i32 s20, s6, s16
	v_or_b32_e32 v14, 4, v13
	v_or_b32_e32 v15, 8, v13
	;; [unrolled: 1-line block ×7, first 2 shown]
	v_lshl_add_u64 v[4:5], v[2:3], 2, s[18:19]
	s_lshl_b64 s[18:19], s[16:17], 2
	v_lshl_add_u64 v[6:7], v[8:9], 2, v[6:7]
	s_lshl_b64 s[20:21], s[20:21], 2
	s_lshl_b64 s[6:7], s[6:7], 2
	v_mov_b64_e32 v[8:9], s[4:5]
	s_branch .LBB160_7
.LBB160_5:                              ;   in Loop: Header=BB160_7 Depth=1
	s_or_b64 exec, exec, s[24:25]
.LBB160_6:                              ;   in Loop: Header=BB160_7 Depth=1
	s_or_b64 exec, exec, s[22:23]
	v_lshl_add_u64 v[22:23], s[8:9], 0, v[6:7]
	global_load_dword v24, v[22:23], off
	v_lshl_add_u64 v[26:27], s[10:11], 0, v[6:7]
	v_lshl_add_u64 v[22:23], v[22:23], 0, s[6:7]
	global_load_dword v28, v[26:27], off
	global_load_dword v25, v[22:23], off
	v_lshl_add_u64 v[26:27], v[26:27], 0, s[6:7]
	v_lshl_add_u64 v[22:23], v[22:23], 0, s[6:7]
	global_load_dword v29, v[26:27], off
	;; [unrolled: 4-line block ×7, first 2 shown]
	v_lshl_add_u64 v[22:23], v[26:27], 0, s[6:7]
	global_load_dword v40, v[26:27], off
	global_load_dword v41, v[22:23], off
	s_waitcnt vmcnt(16)
	ds_bpermute_b32 v22, v13, v0
	ds_bpermute_b32 v23, v14, v0
	;; [unrolled: 1-line block ×8, first 2 shown]
	s_add_u32 s14, s14, s16
	s_addc_u32 s15, s15, 0
	v_cmp_lt_i64_e32 vcc, s[14:15], v[8:9]
	v_lshl_add_u64 v[4:5], v[4:5], 0, s[18:19]
	v_lshl_add_u64 v[2:3], v[2:3], 0, s[16:17]
	v_lshl_add_u64 v[6:7], v[6:7], 0, s[20:21]
	s_and_b64 vcc, exec, vcc
	s_waitcnt vmcnt(12)
	v_pk_mul_f32 v[24:25], v[24:25], v[28:29]
	s_waitcnt lgkmcnt(6)
	v_pk_mul_f32 v[22:23], v[24:25], v[22:23]
	s_nop 0
	v_add_f32_e32 v21, v1, v22
	v_add_f32_e32 v21, v21, v23
	s_waitcnt vmcnt(8)
	v_pk_mul_f32 v[0:1], v[30:31], v[32:33]
	s_waitcnt lgkmcnt(4)
	v_pk_mul_f32 v[0:1], v[0:1], v[26:27]
	s_waitcnt vmcnt(4)
	v_pk_mul_f32 v[22:23], v[34:35], v[36:37]
	v_add_f32_e32 v0, v21, v0
	v_add_f32_e32 v21, v0, v1
	s_waitcnt lgkmcnt(2)
	v_pk_mul_f32 v[0:1], v[22:23], v[42:43]
	s_waitcnt vmcnt(0)
	v_pk_mul_f32 v[22:23], v[38:39], v[40:41]
	v_add_f32_e32 v0, v21, v0
	v_add_f32_e32 v21, v0, v1
	s_waitcnt lgkmcnt(0)
	v_pk_mul_f32 v[0:1], v[22:23], v[44:45]
	s_nop 0
	v_add_f32_e32 v0, v21, v0
	v_add_f32_e32 v1, v0, v1
	s_cbranch_vccz .LBB160_10
.LBB160_7:                              ; =>This Inner Loop Header: Depth=1
	v_mov_b32_e32 v0, 0
	s_and_saveexec_b64 s[22:23], s[0:1]
	s_cbranch_execz .LBB160_6
; %bb.8:                                ;   in Loop: Header=BB160_7 Depth=1
	v_cmp_gt_i64_e32 vcc, s[4:5], v[2:3]
	v_mov_b32_e32 v0, 0
	s_and_saveexec_b64 s[24:25], vcc
	s_cbranch_execz .LBB160_5
; %bb.9:                                ;   in Loop: Header=BB160_7 Depth=1
	global_load_dword v0, v[4:5], off
	s_branch .LBB160_5
.LBB160_10:
	v_mov_b32_e32 v2, v12
.LBB160_11:
	v_mad_u32_u24 v0, v2, 33, v10
	v_lshl_add_u32 v3, v0, 2, 0
	v_sub_u32_e32 v2, v0, v2
	s_movk_i32 s0, 0x800
	ds_write_b32 v3, v1
	v_mov_b32_e32 v1, 0
	v_cmp_gt_u32_e32 vcc, s0, v2
	ds_write_b32 v3, v1 offset:4224
	s_waitcnt lgkmcnt(0)
	s_barrier
	s_and_saveexec_b64 s[0:1], vcc
	s_cbranch_execz .LBB160_21
; %bb.12:
	v_lshrrev_b32_e32 v0, 6, v2
	v_and_b32_e32 v1, 63, v2
	v_cmp_gt_u32_e32 vcc, 32, v1
	v_mul_u32_u24_e32 v1, 33, v1
	v_lshlrev_b32_e32 v0, 2, v0
                                        ; implicit-def: $vgpr4
	s_and_saveexec_b64 s[0:1], vcc
; %bb.13:
	v_lshlrev_b32_e32 v3, 2, v1
	v_add3_u32 v3, 0, v0, v3
	ds_read_b32 v4, v3
; %bb.14:
	s_or_b64 exec, exec, s[0:1]
	v_mbcnt_hi_u32_b32 v7, -1, v11
	v_and_b32_e32 v3, 64, v7
	v_add_u32_e32 v8, 64, v3
	v_xor_b32_e32 v3, 16, v7
	v_cmp_lt_i32_e64 s[0:1], v3, v8
	v_xor_b32_e32 v6, 8, v7
	v_xor_b32_e32 v9, 4, v7
	v_cndmask_b32_e64 v3, v7, v3, s[0:1]
	v_lshlrev_b32_e32 v3, 2, v3
	s_waitcnt lgkmcnt(0)
	ds_bpermute_b32 v5, v3, v4
	v_cmp_lt_i32_e64 s[0:1], v6, v8
	v_xor_b32_e32 v11, 2, v7
	s_cmp_lg_u64 s[12:13], 0
	s_mov_b32 s3, 0
	s_waitcnt lgkmcnt(0)
	v_add_f32_e32 v5, v4, v5
	v_cndmask_b32_e64 v4, v7, v6, s[0:1]
	v_lshlrev_b32_e32 v4, 2, v4
	ds_bpermute_b32 v6, v4, v5
	v_cmp_lt_i32_e64 s[0:1], v9, v8
	s_cselect_b64 s[6:7], -1, 0
	s_waitcnt lgkmcnt(0)
	v_add_f32_e32 v6, v5, v6
	v_cndmask_b32_e64 v5, v7, v9, s[0:1]
	v_lshlrev_b32_e32 v5, 2, v5
	ds_bpermute_b32 v9, v5, v6
	v_cmp_lt_i32_e64 s[0:1], v11, v8
	s_waitcnt lgkmcnt(0)
	v_add_f32_e32 v9, v6, v9
	v_cndmask_b32_e64 v6, v7, v11, s[0:1]
	v_lshlrev_b32_e32 v6, 2, v6
	ds_bpermute_b32 v11, v6, v9
	v_cmp_eq_u32_e64 s[0:1], 0, v10
	v_xor_b32_e32 v10, 1, v7
	v_cmp_lt_i32_e64 s[4:5], v10, v8
	s_waitcnt lgkmcnt(0)
	v_add_f32_e32 v9, v9, v11
	v_cndmask_b32_e64 v7, v7, v10, s[4:5]
	v_lshlrev_b32_e32 v7, 2, v7
	ds_bpermute_b32 v8, v7, v9
	s_and_b64 s[4:5], s[0:1], s[6:7]
	s_lshl_b64 s[0:1], s[2:3], 7
	s_add_u32 s2, s12, s0
	s_addc_u32 s3, s13, s1
	s_waitcnt lgkmcnt(0)
	v_add_f32_e32 v8, v9, v8
	s_and_saveexec_b64 s[0:1], s[4:5]
	s_cbranch_execz .LBB160_16
; %bb.15:
	global_store_dword v0, v8, s[2:3]
.LBB160_16:
	s_or_b64 exec, exec, s[0:1]
	s_movk_i32 s0, 0x400
	v_cmp_gt_u32_e64 s[0:1], s0, v2
	s_and_b64 exec, exec, s[0:1]
	s_cbranch_execz .LBB160_21
; %bb.17:
	s_and_saveexec_b64 s[0:1], vcc
; %bb.18:
	v_lshlrev_b32_e32 v1, 2, v1
	v_add3_u32 v1, 0, v0, v1
	ds_read_b32 v8, v1 offset:64
; %bb.19:
	s_or_b64 exec, exec, s[0:1]
	s_waitcnt lgkmcnt(0)
	ds_bpermute_b32 v1, v3, v8
	s_waitcnt lgkmcnt(0)
	v_add_f32_e32 v1, v8, v1
	ds_bpermute_b32 v2, v4, v1
	s_waitcnt lgkmcnt(0)
	v_add_f32_e32 v1, v1, v2
	;; [unrolled: 3-line block ×4, first 2 shown]
	ds_bpermute_b32 v2, v7, v1
	s_and_saveexec_b64 s[0:1], s[4:5]
	s_xor_b64 s[0:1], exec, s[0:1]
	s_cbranch_execz .LBB160_21
; %bb.20:
	s_waitcnt lgkmcnt(0)
	v_add_f32_e32 v1, v1, v2
	global_store_dword v0, v1, s[2:3] offset:64
.LBB160_21:
	s_endpgm
	.section	.rodata,"a",@progbits
	.p2align	6, 0x0
	.amdhsa_kernel _ZN2at6native12_GLOBAL__N_135GammaBetaBackwardCUDAKernelTemplateIffLj32ELj32ELj256ELb0ELb1ELb1EEEvllPKT_S5_PKT0_S8_PS3_S9_
		.amdhsa_group_segment_fixed_size 0
		.amdhsa_private_segment_fixed_size 0
		.amdhsa_kernarg_size 320
		.amdhsa_user_sgpr_count 2
		.amdhsa_user_sgpr_dispatch_ptr 0
		.amdhsa_user_sgpr_queue_ptr 0
		.amdhsa_user_sgpr_kernarg_segment_ptr 1
		.amdhsa_user_sgpr_dispatch_id 0
		.amdhsa_user_sgpr_kernarg_preload_length 0
		.amdhsa_user_sgpr_kernarg_preload_offset 0
		.amdhsa_user_sgpr_private_segment_size 0
		.amdhsa_uses_dynamic_stack 0
		.amdhsa_enable_private_segment 0
		.amdhsa_system_sgpr_workgroup_id_x 1
		.amdhsa_system_sgpr_workgroup_id_y 1
		.amdhsa_system_sgpr_workgroup_id_z 0
		.amdhsa_system_sgpr_workgroup_info 0
		.amdhsa_system_vgpr_workitem_id 1
		.amdhsa_next_free_vgpr 46
		.amdhsa_next_free_sgpr 26
		.amdhsa_accum_offset 48
		.amdhsa_reserve_vcc 1
		.amdhsa_float_round_mode_32 0
		.amdhsa_float_round_mode_16_64 0
		.amdhsa_float_denorm_mode_32 3
		.amdhsa_float_denorm_mode_16_64 3
		.amdhsa_dx10_clamp 1
		.amdhsa_ieee_mode 1
		.amdhsa_fp16_overflow 0
		.amdhsa_tg_split 0
		.amdhsa_exception_fp_ieee_invalid_op 0
		.amdhsa_exception_fp_denorm_src 0
		.amdhsa_exception_fp_ieee_div_zero 0
		.amdhsa_exception_fp_ieee_overflow 0
		.amdhsa_exception_fp_ieee_underflow 0
		.amdhsa_exception_fp_ieee_inexact 0
		.amdhsa_exception_int_div_zero 0
	.end_amdhsa_kernel
	.section	.text._ZN2at6native12_GLOBAL__N_135GammaBetaBackwardCUDAKernelTemplateIffLj32ELj32ELj256ELb0ELb1ELb1EEEvllPKT_S5_PKT0_S8_PS3_S9_,"axG",@progbits,_ZN2at6native12_GLOBAL__N_135GammaBetaBackwardCUDAKernelTemplateIffLj32ELj32ELj256ELb0ELb1ELb1EEEvllPKT_S5_PKT0_S8_PS3_S9_,comdat
.Lfunc_end160:
	.size	_ZN2at6native12_GLOBAL__N_135GammaBetaBackwardCUDAKernelTemplateIffLj32ELj32ELj256ELb0ELb1ELb1EEEvllPKT_S5_PKT0_S8_PS3_S9_, .Lfunc_end160-_ZN2at6native12_GLOBAL__N_135GammaBetaBackwardCUDAKernelTemplateIffLj32ELj32ELj256ELb0ELb1ELb1EEEvllPKT_S5_PKT0_S8_PS3_S9_
                                        ; -- End function
	.set _ZN2at6native12_GLOBAL__N_135GammaBetaBackwardCUDAKernelTemplateIffLj32ELj32ELj256ELb0ELb1ELb1EEEvllPKT_S5_PKT0_S8_PS3_S9_.num_vgpr, 46
	.set _ZN2at6native12_GLOBAL__N_135GammaBetaBackwardCUDAKernelTemplateIffLj32ELj32ELj256ELb0ELb1ELb1EEEvllPKT_S5_PKT0_S8_PS3_S9_.num_agpr, 0
	.set _ZN2at6native12_GLOBAL__N_135GammaBetaBackwardCUDAKernelTemplateIffLj32ELj32ELj256ELb0ELb1ELb1EEEvllPKT_S5_PKT0_S8_PS3_S9_.numbered_sgpr, 26
	.set _ZN2at6native12_GLOBAL__N_135GammaBetaBackwardCUDAKernelTemplateIffLj32ELj32ELj256ELb0ELb1ELb1EEEvllPKT_S5_PKT0_S8_PS3_S9_.num_named_barrier, 0
	.set _ZN2at6native12_GLOBAL__N_135GammaBetaBackwardCUDAKernelTemplateIffLj32ELj32ELj256ELb0ELb1ELb1EEEvllPKT_S5_PKT0_S8_PS3_S9_.private_seg_size, 0
	.set _ZN2at6native12_GLOBAL__N_135GammaBetaBackwardCUDAKernelTemplateIffLj32ELj32ELj256ELb0ELb1ELb1EEEvllPKT_S5_PKT0_S8_PS3_S9_.uses_vcc, 1
	.set _ZN2at6native12_GLOBAL__N_135GammaBetaBackwardCUDAKernelTemplateIffLj32ELj32ELj256ELb0ELb1ELb1EEEvllPKT_S5_PKT0_S8_PS3_S9_.uses_flat_scratch, 0
	.set _ZN2at6native12_GLOBAL__N_135GammaBetaBackwardCUDAKernelTemplateIffLj32ELj32ELj256ELb0ELb1ELb1EEEvllPKT_S5_PKT0_S8_PS3_S9_.has_dyn_sized_stack, 0
	.set _ZN2at6native12_GLOBAL__N_135GammaBetaBackwardCUDAKernelTemplateIffLj32ELj32ELj256ELb0ELb1ELb1EEEvllPKT_S5_PKT0_S8_PS3_S9_.has_recursion, 0
	.set _ZN2at6native12_GLOBAL__N_135GammaBetaBackwardCUDAKernelTemplateIffLj32ELj32ELj256ELb0ELb1ELb1EEEvllPKT_S5_PKT0_S8_PS3_S9_.has_indirect_call, 0
	.section	.AMDGPU.csdata,"",@progbits
; Kernel info:
; codeLenInByte = 1448
; TotalNumSgprs: 32
; NumVgprs: 46
; NumAgprs: 0
; TotalNumVgprs: 46
; ScratchSize: 0
; MemoryBound: 0
; FloatMode: 240
; IeeeMode: 1
; LDSByteSize: 0 bytes/workgroup (compile time only)
; SGPRBlocks: 3
; VGPRBlocks: 5
; NumSGPRsForWavesPerEU: 32
; NumVGPRsForWavesPerEU: 46
; AccumOffset: 48
; Occupancy: 8
; WaveLimiterHint : 0
; COMPUTE_PGM_RSRC2:SCRATCH_EN: 0
; COMPUTE_PGM_RSRC2:USER_SGPR: 2
; COMPUTE_PGM_RSRC2:TRAP_HANDLER: 0
; COMPUTE_PGM_RSRC2:TGID_X_EN: 1
; COMPUTE_PGM_RSRC2:TGID_Y_EN: 1
; COMPUTE_PGM_RSRC2:TGID_Z_EN: 0
; COMPUTE_PGM_RSRC2:TIDIG_COMP_CNT: 1
; COMPUTE_PGM_RSRC3_GFX90A:ACCUM_OFFSET: 11
; COMPUTE_PGM_RSRC3_GFX90A:TG_SPLIT: 0
	.section	.text._ZN2at6native12_GLOBAL__N_135GammaBetaBackwardCUDAKernelTemplateIffLj32ELj32ELj256ELb0ELb0ELb1EEEvllPKT_S5_PKT0_S8_PS3_S9_,"axG",@progbits,_ZN2at6native12_GLOBAL__N_135GammaBetaBackwardCUDAKernelTemplateIffLj32ELj32ELj256ELb0ELb0ELb1EEEvllPKT_S5_PKT0_S8_PS3_S9_,comdat
	.globl	_ZN2at6native12_GLOBAL__N_135GammaBetaBackwardCUDAKernelTemplateIffLj32ELj32ELj256ELb0ELb0ELb1EEEvllPKT_S5_PKT0_S8_PS3_S9_ ; -- Begin function _ZN2at6native12_GLOBAL__N_135GammaBetaBackwardCUDAKernelTemplateIffLj32ELj32ELj256ELb0ELb0ELb1EEEvllPKT_S5_PKT0_S8_PS3_S9_
	.p2align	8
	.type	_ZN2at6native12_GLOBAL__N_135GammaBetaBackwardCUDAKernelTemplateIffLj32ELj32ELj256ELb0ELb0ELb1EEEvllPKT_S5_PKT0_S8_PS3_S9_,@function
_ZN2at6native12_GLOBAL__N_135GammaBetaBackwardCUDAKernelTemplateIffLj32ELj32ELj256ELb0ELb0ELb1EEEvllPKT_S5_PKT0_S8_PS3_S9_: ; @_ZN2at6native12_GLOBAL__N_135GammaBetaBackwardCUDAKernelTemplateIffLj32ELj32ELj256ELb0ELb0ELb1EEEvllPKT_S5_PKT0_S8_PS3_S9_
; %bb.0:
	s_load_dwordx8 s[8:15], s[0:1], 0x0
	s_load_dwordx2 s[16:17], s[0:1], 0x28
	s_lshl_b32 s33, s2, 5
	s_mov_b32 s19, 0
	s_lshl_b32 s18, s3, 8
	s_or_b32 s4, s33, 31
	v_mov_b64_e32 v[4:5], s[18:19]
	v_mov_b32_e32 v2, s4
	v_mov_b32_e32 v3, 0
	s_waitcnt lgkmcnt(0)
	v_cmp_gt_i64_e64 s[4:5], s[8:9], v[4:5]
	v_cmp_le_i64_e32 vcc, s[10:11], v[2:3]
	s_nop 0
	v_cndmask_b32_e64 v1, 0, 1, s[4:5]
	v_cmp_ne_u32_e64 s[4:5], 1, v1
	s_cbranch_vccz .LBB161_49
; %bb.1:
	s_and_b64 vcc, exec, s[4:5]
	s_cbranch_vccnz .LBB161_50
; %bb.2:
	v_and_b32_e32 v1, 0x3ff, v0
	v_mov_b32_e32 v2, 0
	v_bfe_u32 v58, v0, 10, 10
	v_add_u32_e32 v4, s33, v1
	v_mov_b32_e32 v5, v2
	v_lshlrev_b32_e32 v20, 3, v58
	v_mov_b32_e32 v21, v2
	v_cmp_gt_i64_e64 s[6:7], s[10:11], v[4:5]
	v_lshlrev_b64 v[22:23], 2, v[4:5]
	v_lshl_add_u64 v[4:5], v[20:21], 0, s[18:19]
	v_mul_lo_u32 v3, s11, v4
	v_mul_lo_u32 v8, s10, v5
	v_mad_u64_u32 v[6:7], s[22:23], s10, v4, 0
	v_add3_u32 v7, v7, v8, v3
	v_lshlrev_b64 v[6:7], 2, v[6:7]
	v_lshl_add_u64 v[24:25], s[12:13], 0, v[6:7]
	v_lshl_add_u64 v[26:27], s[14:15], 0, v[6:7]
	v_lshl_add_u64 v[6:7], v[4:5], 0, 7
	v_mul_lo_u32 v9, s11, v6
	v_mul_lo_u32 v10, s10, v7
	v_mad_u64_u32 v[6:7], s[24:25], s10, v6, 0
	v_add3_u32 v7, v7, v10, v9
	v_lshlrev_b64 v[6:7], 2, v[6:7]
	v_lshl_add_u64 v[28:29], s[12:13], 0, v[6:7]
	v_lshl_add_u64 v[30:31], s[14:15], 0, v[6:7]
	;; [unrolled: 8-line block ×5, first 2 shown]
	v_lshl_add_u64 v[6:7], v[4:5], 0, 3
	v_mul_lo_u32 v9, s11, v6
	v_mul_lo_u32 v10, s10, v7
	v_mad_u64_u32 v[6:7], s[24:25], s10, v6, 0
	v_add3_u32 v7, v7, v10, v9
	s_load_dword s3, s[0:1], 0x44
	v_lshlrev_b64 v[6:7], 2, v[6:7]
	v_lshl_add_u64 v[44:45], s[12:13], 0, v[6:7]
	v_lshl_add_u64 v[46:47], s[14:15], 0, v[6:7]
	;; [unrolled: 1-line block ×3, first 2 shown]
	v_mul_lo_u32 v5, s11, v6
	v_mul_lo_u32 v9, s10, v7
	v_mad_u64_u32 v[6:7], s[24:25], s10, v6, 0
	v_add3_u32 v7, v7, v9, v5
	s_add_u32 s20, s0, 64
	v_lshlrev_b64 v[6:7], 2, v[6:7]
	s_addc_u32 s21, s1, 0
	s_waitcnt lgkmcnt(0)
	s_lshl_b32 s3, s3, 8
	v_lshl_add_u64 v[48:49], s[12:13], 0, v[6:7]
	v_lshl_add_u64 v[50:51], s[14:15], 0, v[6:7]
	v_mov_b64_e32 v[6:7], s[10:11]
	s_mul_i32 s22, s11, s3
	s_mul_hi_u32 s23, s10, s3
	v_mad_u64_u32 v[4:5], s[24:25], s10, v4, v[6:7]
	s_add_i32 s23, s23, s22
	s_mul_i32 s22, s10, s3
	v_add3_u32 v5, v3, v5, v8
	v_mbcnt_lo_u32_b32 v3, -1, 0
	s_lshl_b64 s[22:23], s[22:23], 2
	v_mbcnt_hi_u32_b32 v3, -1, v3
	v_lshlrev_b64 v[4:5], 2, v[4:5]
	s_add_u32 s24, s18, 0xff
	s_movk_i32 s26, 0xff01
	s_movk_i32 s28, 0xff02
	;; [unrolled: 1-line block ×8, first 2 shown]
	v_lshlrev_b32_e32 v3, 2, v3
	v_lshl_add_u64 v[52:53], s[12:13], 0, v[4:5]
	v_lshl_add_u64 v[54:55], s[14:15], 0, v[4:5]
	s_addc_u32 s25, 0, 0
	s_mov_b32 s27, -1
	s_mov_b32 s29, -1
	;; [unrolled: 1-line block ×8, first 2 shown]
	v_and_b32_e32 v59, 0x100, v3
	s_mov_b64 s[44:45], s[18:19]
	v_mov_b32_e32 v60, 0
.LBB161_3:                              ; =>This Inner Loop Header: Depth=1
	v_mov_b64_e32 v[4:5], s[8:9]
	v_cmp_ge_i64_e32 vcc, s[24:25], v[4:5]
	v_lshl_add_u64 v[56:57], v[20:21], 0, s[24:25]
	s_mov_b64 s[46:47], -1
	s_and_b64 vcc, exec, vcc
                                        ; implicit-def: $vgpr4_vgpr5_vgpr6_vgpr7_vgpr8_vgpr9_vgpr10_vgpr11
                                        ; implicit-def: $vgpr3
                                        ; implicit-def: $vgpr12_vgpr13_vgpr14_vgpr15_vgpr16_vgpr17_vgpr18_vgpr19
                                        ; implicit-def: $vgpr4
	s_cbranch_vccz .LBB161_25
; %bb.4:                                ;   in Loop: Header=BB161_3 Depth=1
	s_load_dword s46, s[20:21], 0xc
	v_mov_b32_e32 v61, 0
	s_waitcnt lgkmcnt(0)
	s_and_b32 s46, s46, 0xffff
	v_mad_u32_u24 v3, v58, s46, v1
	v_and_b32_e32 v4, 63, v3
	v_cmp_gt_u32_e32 vcc, 8, v4
	s_and_saveexec_b64 s[46:47], vcc
	s_cbranch_execz .LBB161_8
; %bb.5:                                ;   in Loop: Header=BB161_3 Depth=1
	v_mov_b32_e32 v5, v2
	v_lshl_add_u64 v[4:5], v[56:57], 0, v[4:5]
	v_lshl_add_u64 v[4:5], v[4:5], 0, s[26:27]
	v_cmp_gt_i64_e32 vcc, s[8:9], v[4:5]
	v_mov_b32_e32 v61, 0
	s_and_saveexec_b64 s[48:49], vcc
	s_cbranch_execz .LBB161_7
; %bb.6:                                ;   in Loop: Header=BB161_3 Depth=1
	v_lshl_add_u64 v[4:5], v[4:5], 2, s[16:17]
	global_load_dword v61, v[4:5], off
.LBB161_7:                              ;   in Loop: Header=BB161_3 Depth=1
	s_or_b64 exec, exec, s[48:49]
.LBB161_8:                              ;   in Loop: Header=BB161_3 Depth=1
	s_or_b64 exec, exec, s[46:47]
	v_lshl_add_u64 v[4:5], v[56:57], 0, s[26:27]
	v_mov_b32_e32 v8, v2
	v_mov_b32_e32 v9, v2
	v_cmp_gt_i64_e32 vcc, s[8:9], v[4:5]
	v_mov_b32_e32 v3, v2
	v_mov_b32_e32 v4, v2
	;; [unrolled: 1-line block ×5, first 2 shown]
	v_mov_b64_e32 v[18:19], v[8:9]
	v_mov_b64_e32 v[16:17], v[6:7]
	;; [unrolled: 1-line block ×5, first 2 shown]
	s_and_b64 s[48:49], s[6:7], vcc
	v_mov_b64_e32 v[8:9], v[6:7]
	v_mov_b64_e32 v[6:7], v[4:5]
	;; [unrolled: 1-line block ×3, first 2 shown]
	s_and_saveexec_b64 s[46:47], s[48:49]
	s_cbranch_execz .LBB161_10
; %bb.9:                                ;   in Loop: Header=BB161_3 Depth=1
	v_lshl_add_u64 v[4:5], v[24:25], 0, v[22:23]
	v_lshl_add_u64 v[6:7], v[26:27], 0, v[22:23]
	global_load_dword v4, v[4:5], off
	v_mov_b32_e32 v5, v2
	global_load_dword v12, v[6:7], off
	v_mov_b32_e32 v6, v2
	v_mov_b32_e32 v7, v2
	;; [unrolled: 1-line block ×13, first 2 shown]
.LBB161_10:                             ;   in Loop: Header=BB161_3 Depth=1
	s_or_b64 exec, exec, s[46:47]
	v_lshl_add_u64 v[62:63], v[56:57], 0, s[28:29]
	v_cmp_gt_i64_e32 vcc, s[8:9], v[62:63]
	s_and_b64 s[48:49], s[6:7], vcc
	s_and_saveexec_b64 s[46:47], s[48:49]
	s_cbranch_execz .LBB161_12
; %bb.11:                               ;   in Loop: Header=BB161_3 Depth=1
	v_lshl_add_u64 v[62:63], v[52:53], 0, v[22:23]
	global_load_dword v5, v[62:63], off
	v_lshl_add_u64 v[62:63], v[54:55], 0, v[22:23]
	global_load_dword v13, v[62:63], off
.LBB161_12:                             ;   in Loop: Header=BB161_3 Depth=1
	s_or_b64 exec, exec, s[46:47]
	v_lshl_add_u64 v[62:63], v[56:57], 0, s[30:31]
	v_cmp_gt_i64_e32 vcc, s[8:9], v[62:63]
	s_and_b64 s[48:49], s[6:7], vcc
	s_and_saveexec_b64 s[46:47], s[48:49]
	s_cbranch_execz .LBB161_14
; %bb.13:                               ;   in Loop: Header=BB161_3 Depth=1
	v_lshl_add_u64 v[62:63], v[48:49], 0, v[22:23]
	global_load_dword v6, v[62:63], off
	v_lshl_add_u64 v[62:63], v[50:51], 0, v[22:23]
	global_load_dword v14, v[62:63], off
.LBB161_14:                             ;   in Loop: Header=BB161_3 Depth=1
	;; [unrolled: 12-line block ×7, first 2 shown]
	s_or_b64 exec, exec, s[46:47]
	s_waitcnt vmcnt(0)
	ds_bpermute_b32 v3, v59, v61
	ds_bpermute_b32 v62, v59, v61 offset:4
	ds_bpermute_b32 v63, v59, v61 offset:8
	v_mul_f32_e32 v4, v12, v4
	v_pk_mul_f32 v[8:9], v[16:17], v[8:9]
	s_waitcnt lgkmcnt(2)
	v_fma_f32 v16, v4, v3, v60
	v_pk_mul_f32 v[6:7], v[14:15], v[6:7]
	v_mul_f32_e32 v3, v13, v5
	ds_bpermute_b32 v14, v59, v61 offset:12
	ds_bpermute_b32 v15, v59, v61 offset:16
	v_pk_mov_b32 v[12:13], v[2:3], v[6:7] op_sel:[1,0]
	v_pk_mov_b32 v[6:7], v[6:7], v[8:9] op_sel:[1,0]
	s_waitcnt lgkmcnt(2)
	v_pk_mul_f32 v[12:13], v[12:13], v[62:63]
	v_mul_f32_e32 v4, v18, v10
	v_add_f32_e32 v3, v16, v12
	v_add_f32_e32 v3, v3, v13
	ds_bpermute_b32 v12, v59, v61 offset:20
	ds_bpermute_b32 v13, v59, v61 offset:24
	s_waitcnt lgkmcnt(2)
	v_pk_mul_f32 v[6:7], v[6:7], v[14:15]
	s_mov_b64 s[46:47], 0
	v_add_f32_e32 v3, v3, v6
	v_add_f32_e32 v3, v3, v7
	v_pk_mov_b32 v[6:7], v[8:9], v[4:5] op_sel:[1,0]
	ds_bpermute_b32 v4, v59, v61 offset:28
	s_waitcnt lgkmcnt(1)
	v_pk_mul_f32 v[6:7], v[6:7], v[12:13]
	s_nop 0
	v_add_f32_e32 v3, v3, v6
	v_add_f32_e32 v3, v3, v7
.LBB161_25:                             ;   in Loop: Header=BB161_3 Depth=1
	s_and_b64 vcc, exec, s[46:47]
	s_cbranch_vccz .LBB161_40
; %bb.26:                               ;   in Loop: Header=BB161_3 Depth=1
	s_load_dword s46, s[20:21], 0x0
	v_mov_b32_e32 v61, 0
	s_waitcnt lgkmcnt(0)
	s_cmp_lt_u32 s2, s46
	s_cselect_b32 s46, 12, 18
	s_add_u32 s46, s20, s46
	s_addc_u32 s47, s21, 0
	global_load_ushort v3, v2, s[46:47]
	s_waitcnt vmcnt(0)
	v_mad_u32_u24 v3, v58, v3, v1
	v_and_b32_e32 v4, 63, v3
	v_cmp_gt_u32_e32 vcc, 8, v4
	s_and_saveexec_b64 s[46:47], vcc
	s_cbranch_execz .LBB161_30
; %bb.27:                               ;   in Loop: Header=BB161_3 Depth=1
	v_mov_b32_e32 v5, v2
	v_lshl_add_u64 v[4:5], v[56:57], 0, v[4:5]
	v_lshl_add_u64 v[4:5], v[4:5], 0, s[26:27]
	v_cmp_gt_i64_e32 vcc, s[8:9], v[4:5]
	v_mov_b32_e32 v61, 0
	s_and_saveexec_b64 s[48:49], vcc
	s_cbranch_execz .LBB161_29
; %bb.28:                               ;   in Loop: Header=BB161_3 Depth=1
	v_lshl_add_u64 v[4:5], v[4:5], 2, s[16:17]
	global_load_dword v61, v[4:5], off
.LBB161_29:                             ;   in Loop: Header=BB161_3 Depth=1
	s_or_b64 exec, exec, s[48:49]
.LBB161_30:                             ;   in Loop: Header=BB161_3 Depth=1
	s_or_b64 exec, exec, s[46:47]
	v_mov_b32_e32 v8, v2
	v_mov_b32_e32 v9, v2
	;; [unrolled: 1-line block ×7, first 2 shown]
	v_mov_b64_e32 v[18:19], v[8:9]
	v_mov_b64_e32 v[16:17], v[6:7]
	;; [unrolled: 1-line block ×8, first 2 shown]
	s_and_saveexec_b64 s[46:47], s[6:7]
	s_cbranch_execnz .LBB161_42
; %bb.31:                               ;   in Loop: Header=BB161_3 Depth=1
	s_or_b64 exec, exec, s[46:47]
	s_and_saveexec_b64 s[46:47], s[6:7]
	s_cbranch_execnz .LBB161_43
.LBB161_32:                             ;   in Loop: Header=BB161_3 Depth=1
	s_or_b64 exec, exec, s[46:47]
	s_and_saveexec_b64 s[46:47], s[6:7]
	s_cbranch_execnz .LBB161_44
.LBB161_33:                             ;   in Loop: Header=BB161_3 Depth=1
	s_or_b64 exec, exec, s[46:47]
	s_and_saveexec_b64 s[46:47], s[6:7]
	s_cbranch_execnz .LBB161_45
.LBB161_34:                             ;   in Loop: Header=BB161_3 Depth=1
	s_or_b64 exec, exec, s[46:47]
	s_and_saveexec_b64 s[46:47], s[6:7]
	s_cbranch_execnz .LBB161_46
.LBB161_35:                             ;   in Loop: Header=BB161_3 Depth=1
	s_or_b64 exec, exec, s[46:47]
	s_and_saveexec_b64 s[46:47], s[6:7]
	s_cbranch_execnz .LBB161_47
.LBB161_36:                             ;   in Loop: Header=BB161_3 Depth=1
	s_or_b64 exec, exec, s[46:47]
	s_and_saveexec_b64 s[46:47], s[6:7]
	s_cbranch_execnz .LBB161_48
.LBB161_37:                             ;   in Loop: Header=BB161_3 Depth=1
	s_or_b64 exec, exec, s[46:47]
	s_and_saveexec_b64 s[46:47], s[6:7]
	s_cbranch_execz .LBB161_39
.LBB161_38:                             ;   in Loop: Header=BB161_3 Depth=1
	v_lshl_add_u64 v[56:57], v[28:29], 0, v[22:23]
	global_load_dword v11, v[56:57], off
	v_lshl_add_u64 v[56:57], v[30:31], 0, v[22:23]
	global_load_dword v19, v[56:57], off
.LBB161_39:                             ;   in Loop: Header=BB161_3 Depth=1
	s_or_b64 exec, exec, s[46:47]
	s_waitcnt vmcnt(0)
	ds_bpermute_b32 v3, v59, v61
	ds_bpermute_b32 v56, v59, v61 offset:4
	ds_bpermute_b32 v57, v59, v61 offset:8
	v_mul_f32_e32 v4, v12, v4
	v_pk_mul_f32 v[6:7], v[14:15], v[6:7]
	s_waitcnt lgkmcnt(2)
	v_fmac_f32_e32 v60, v4, v3
	v_mul_f32_e32 v3, v13, v5
	v_pk_mov_b32 v[4:5], v[2:3], v[6:7] op_sel:[1,0]
	ds_bpermute_b32 v12, v59, v61 offset:12
	ds_bpermute_b32 v13, v59, v61 offset:16
	s_waitcnt lgkmcnt(2)
	v_pk_mul_f32 v[4:5], v[4:5], v[56:57]
	v_pk_mul_f32 v[8:9], v[16:17], v[8:9]
	v_add_f32_e32 v3, v60, v4
	v_add_f32_e32 v3, v3, v5
	v_pk_mov_b32 v[4:5], v[6:7], v[8:9] op_sel:[1,0]
	ds_bpermute_b32 v6, v59, v61 offset:20
	ds_bpermute_b32 v7, v59, v61 offset:24
	s_waitcnt lgkmcnt(2)
	v_pk_mul_f32 v[4:5], v[4:5], v[12:13]
	v_mul_f32_e32 v10, v18, v10
	v_add_f32_e32 v3, v3, v4
	ds_bpermute_b32 v4, v59, v61 offset:28
	v_pk_mov_b32 v[8:9], v[8:9], v[10:11] op_sel:[1,0]
	v_add_f32_e32 v3, v3, v5
	s_waitcnt lgkmcnt(1)
	v_pk_mul_f32 v[6:7], v[8:9], v[6:7]
	s_nop 0
	v_add_f32_e32 v3, v3, v6
	v_add_f32_e32 v3, v3, v7
.LBB161_40:                             ;   in Loop: Header=BB161_3 Depth=1
	v_mul_f32_e32 v5, v11, v19
	s_add_u32 s44, s44, s3
	s_waitcnt lgkmcnt(0)
	v_fmac_f32_e32 v3, v5, v4
	s_addc_u32 s45, s45, 0
	v_mov_b64_e32 v[4:5], s[8:9]
	s_add_u32 s24, s24, s3
	v_cmp_lt_i64_e32 vcc, s[44:45], v[4:5]
	v_lshl_add_u64 v[24:25], v[24:25], 0, s[22:23]
	v_lshl_add_u64 v[26:27], v[26:27], 0, s[22:23]
	;; [unrolled: 1-line block ×16, first 2 shown]
	s_addc_u32 s25, s25, 0
	s_cbranch_vccz .LBB161_50
; %bb.41:                               ;   in Loop: Header=BB161_3 Depth=1
	v_mov_b32_e32 v60, v3
	s_branch .LBB161_3
.LBB161_42:                             ;   in Loop: Header=BB161_3 Depth=1
	v_lshl_add_u64 v[4:5], v[24:25], 0, v[22:23]
	v_lshl_add_u64 v[6:7], v[26:27], 0, v[22:23]
	global_load_dword v4, v[4:5], off
	v_mov_b32_e32 v5, v2
	global_load_dword v12, v[6:7], off
	v_mov_b32_e32 v6, v2
	v_mov_b32_e32 v7, v2
	;; [unrolled: 1-line block ×13, first 2 shown]
	s_or_b64 exec, exec, s[46:47]
	s_and_saveexec_b64 s[46:47], s[6:7]
	s_cbranch_execz .LBB161_32
.LBB161_43:                             ;   in Loop: Header=BB161_3 Depth=1
	v_lshl_add_u64 v[56:57], v[52:53], 0, v[22:23]
	global_load_dword v5, v[56:57], off
	v_lshl_add_u64 v[56:57], v[54:55], 0, v[22:23]
	global_load_dword v13, v[56:57], off
	s_or_b64 exec, exec, s[46:47]
	s_and_saveexec_b64 s[46:47], s[6:7]
	s_cbranch_execz .LBB161_33
.LBB161_44:                             ;   in Loop: Header=BB161_3 Depth=1
	v_lshl_add_u64 v[56:57], v[48:49], 0, v[22:23]
	global_load_dword v6, v[56:57], off
	v_lshl_add_u64 v[56:57], v[50:51], 0, v[22:23]
	global_load_dword v14, v[56:57], off
	s_or_b64 exec, exec, s[46:47]
	s_and_saveexec_b64 s[46:47], s[6:7]
	s_cbranch_execz .LBB161_34
.LBB161_45:                             ;   in Loop: Header=BB161_3 Depth=1
	v_lshl_add_u64 v[56:57], v[44:45], 0, v[22:23]
	global_load_dword v7, v[56:57], off
	v_lshl_add_u64 v[56:57], v[46:47], 0, v[22:23]
	global_load_dword v15, v[56:57], off
	s_or_b64 exec, exec, s[46:47]
	s_and_saveexec_b64 s[46:47], s[6:7]
	s_cbranch_execz .LBB161_35
.LBB161_46:                             ;   in Loop: Header=BB161_3 Depth=1
	v_lshl_add_u64 v[56:57], v[40:41], 0, v[22:23]
	global_load_dword v8, v[56:57], off
	v_lshl_add_u64 v[56:57], v[42:43], 0, v[22:23]
	global_load_dword v16, v[56:57], off
	s_or_b64 exec, exec, s[46:47]
	s_and_saveexec_b64 s[46:47], s[6:7]
	s_cbranch_execz .LBB161_36
.LBB161_47:                             ;   in Loop: Header=BB161_3 Depth=1
	v_lshl_add_u64 v[56:57], v[36:37], 0, v[22:23]
	global_load_dword v9, v[56:57], off
	v_lshl_add_u64 v[56:57], v[38:39], 0, v[22:23]
	global_load_dword v17, v[56:57], off
	s_or_b64 exec, exec, s[46:47]
	s_and_saveexec_b64 s[46:47], s[6:7]
	s_cbranch_execz .LBB161_37
.LBB161_48:                             ;   in Loop: Header=BB161_3 Depth=1
	v_lshl_add_u64 v[56:57], v[32:33], 0, v[22:23]
	global_load_dword v10, v[56:57], off
	v_lshl_add_u64 v[56:57], v[34:35], 0, v[22:23]
	global_load_dword v18, v[56:57], off
	s_or_b64 exec, exec, s[46:47]
	s_and_saveexec_b64 s[46:47], s[6:7]
	s_cbranch_execnz .LBB161_38
	s_branch .LBB161_39
.LBB161_49:
                                        ; implicit-def: $vgpr3
	s_branch .LBB161_51
.LBB161_50:
	s_cbranch_execnz .LBB161_83
.LBB161_51:
	s_and_b64 vcc, exec, s[4:5]
	v_mov_b32_e32 v3, 0
	s_cbranch_vccnz .LBB161_83
; %bb.52:
	v_mov_b32_e32 v2, 0
	v_bfe_u32 v86, v0, 10, 10
	v_lshlrev_b32_e32 v6, 5, v86
	v_mov_b32_e32 v7, v2
	v_lshl_add_u64 v[6:7], s[18:19], 2, v[6:7]
	v_lshl_add_u64 v[8:9], v[6:7], 0, 4
	v_mov_b64_e32 v[10:11], s[12:13]
	v_lshl_add_u64 v[12:13], v[6:7], 0, 8
	v_lshl_add_u64 v[14:15], v[6:7], 0, 12
	;; [unrolled: 1-line block ×6, first 2 shown]
	v_mad_u64_u32 v[22:23], s[4:5], s10, v8, v[10:11]
	v_mad_u64_u32 v[24:25], s[4:5], s10, v12, v[10:11]
	;; [unrolled: 1-line block ×7, first 2 shown]
	v_mov_b64_e32 v[10:11], s[14:15]
	v_mul_lo_u32 v9, s10, v9
	v_mul_lo_u32 v38, s11, v8
	v_mad_u64_u32 v[36:37], s[4:5], s10, v8, v[10:11]
	v_add3_u32 v23, v38, v23, v9
	v_mul_lo_u32 v13, s10, v13
	v_mul_lo_u32 v40, s11, v12
	v_add3_u32 v37, v38, v37, v9
	v_mad_u64_u32 v[38:39], s[4:5], s10, v12, v[10:11]
	v_add3_u32 v25, v40, v25, v13
	v_mul_lo_u32 v15, s10, v15
	v_mul_lo_u32 v42, s11, v14
	v_add3_u32 v39, v40, v39, v13
	;; [unrolled: 5-line block ×3, first 2 shown]
	v_mad_u64_u32 v[42:43], s[4:5], s10, v16, v[10:11]
	v_lshlrev_b32_e32 v20, 3, v86
	v_mov_b32_e32 v21, v2
	v_add3_u32 v29, v44, v29, v17
	v_mul_lo_u32 v19, s10, v19
	v_mul_lo_u32 v48, s11, v18
	v_mul_lo_u32 v49, s10, v47
	v_mul_lo_u32 v51, s11, v46
	v_add3_u32 v43, v44, v43, v17
	v_mad_u64_u32 v[44:45], s[4:5], s10, v18, v[10:11]
	v_mad_u64_u32 v[46:47], s[4:5], s10, v46, v[10:11]
	v_lshl_add_u64 v[4:5], v[20:21], 0, s[18:19]
	v_add3_u32 v31, v48, v31, v19
	v_add3_u32 v33, v51, v33, v49
	v_mul_lo_u32 v7, s10, v7
	v_mul_lo_u32 v8, s11, v6
	v_add3_u32 v45, v48, v45, v19
	v_add3_u32 v47, v51, v47, v49
	v_mad_u64_u32 v[48:49], s[4:5], s10, v6, v[10:11]
	v_add3_u32 v35, v8, v35, v7
	v_add3_u32 v49, v8, v49, v7
	v_lshl_add_u64 v[6:7], v[4:5], 0, 7
	v_mul_lo_u32 v8, s11, v6
	v_mul_lo_u32 v9, s10, v7
	v_mad_u64_u32 v[6:7], s[4:5], s10, v6, 0
	v_add3_u32 v7, v7, v9, v8
	v_lshl_add_u64 v[8:9], v[4:5], 0, 6
	v_mul_lo_u32 v10, s11, v8
	v_mul_lo_u32 v11, s10, v9
	v_mad_u64_u32 v[8:9], s[4:5], s10, v8, 0
	;; [unrolled: 5-line block ×5, first 2 shown]
	v_add3_u32 v15, v15, v17, v16
	v_lshl_add_u64 v[16:17], v[4:5], 0, 2
	v_mul_lo_u32 v50, s10, v5
	v_mul_lo_u32 v5, s11, v16
	;; [unrolled: 1-line block ×3, first 2 shown]
	v_mad_u64_u32 v[16:17], s[4:5], s10, v16, 0
	v_add3_u32 v17, v17, v18, v5
	v_mov_b64_e32 v[18:19], s[10:11]
	v_mul_lo_u32 v3, s11, v4
	v_mad_u64_u32 v[18:19], s[4:5], s10, v4, v[18:19]
	v_mad_u64_u32 v[4:5], s[4:5], s10, v4, 0
	s_load_dword s3, s[0:1], 0x44
	v_add3_u32 v5, v5, v50, v3
	v_lshlrev_b64 v[4:5], 2, v[4:5]
	v_lshl_add_u64 v[52:53], s[12:13], 0, v[4:5]
	v_lshl_add_u64 v[54:55], s[14:15], 0, v[4:5]
	v_lshlrev_b64 v[4:5], 2, v[6:7]
	v_lshl_add_u64 v[56:57], s[12:13], 0, v[4:5]
	v_lshl_add_u64 v[58:59], s[14:15], 0, v[4:5]
	v_lshlrev_b64 v[4:5], 2, v[8:9]
	s_add_u32 s4, s0, 64
	v_lshl_add_u64 v[60:61], s[12:13], 0, v[4:5]
	v_lshl_add_u64 v[62:63], s[14:15], 0, v[4:5]
	v_lshlrev_b64 v[4:5], 2, v[10:11]
	s_addc_u32 s5, s1, 0
	s_waitcnt lgkmcnt(0)
	s_lshl_b32 s3, s3, 8
	v_lshl_add_u64 v[64:65], s[12:13], 0, v[4:5]
	v_lshl_add_u64 v[66:67], s[14:15], 0, v[4:5]
	v_lshlrev_b64 v[4:5], 2, v[12:13]
	s_mul_i32 s6, s11, s3
	s_mul_hi_u32 s7, s10, s3
	v_lshl_add_u64 v[68:69], s[12:13], 0, v[4:5]
	v_lshl_add_u64 v[70:71], s[14:15], 0, v[4:5]
	v_lshlrev_b64 v[4:5], 2, v[14:15]
	v_add3_u32 v19, v3, v19, v50
	s_add_i32 s7, s7, s6
	s_mul_i32 s6, s10, s3
	v_lshl_add_u64 v[72:73], s[12:13], 0, v[4:5]
	v_lshl_add_u64 v[74:75], s[14:15], 0, v[4:5]
	v_lshlrev_b64 v[4:5], 2, v[16:17]
	v_mbcnt_lo_u32_b32 v3, -1, 0
	v_and_b32_e32 v1, 0x3ff, v0
	s_lshl_b64 s[6:7], s[6:7], 2
	v_lshl_add_u64 v[76:77], s[12:13], 0, v[4:5]
	v_lshl_add_u64 v[78:79], s[14:15], 0, v[4:5]
	v_lshlrev_b64 v[4:5], 2, v[18:19]
	v_mbcnt_hi_u32_b32 v3, -1, v3
	v_add_u32_e32 v50, s33, v1
	v_mov_b32_e32 v51, v2
	s_add_u32 s20, s18, 0xff
	v_lshl_add_u64 v[80:81], s[12:13], 0, v[4:5]
	v_lshl_add_u64 v[82:83], s[14:15], 0, v[4:5]
	s_movk_i32 s12, 0xff01
	s_movk_i32 s14, 0xff02
	;; [unrolled: 1-line block ×8, first 2 shown]
	v_lshlrev_b32_e32 v3, 2, v3
	v_lshlrev_b64 v[50:51], 2, v[50:51]
	s_addc_u32 s21, 0, 0
	s_mov_b32 s13, -1
	s_mov_b32 s15, -1
	;; [unrolled: 1-line block ×8, first 2 shown]
	v_and_b32_e32 v87, 0x100, v3
	v_mov_b32_e32 v88, 0
.LBB161_53:                             ; =>This Inner Loop Header: Depth=1
	v_mov_b64_e32 v[4:5], s[8:9]
	v_cmp_ge_i64_e32 vcc, s[20:21], v[4:5]
	v_lshl_add_u64 v[84:85], v[20:21], 0, s[20:21]
	s_mov_b64 s[36:37], -1
                                        ; implicit-def: $vgpr3
	s_cbranch_vccz .LBB161_75
; %bb.54:                               ;   in Loop: Header=BB161_53 Depth=1
	s_load_dword s33, s[4:5], 0xc
	v_mov_b32_e32 v89, 0
	s_waitcnt lgkmcnt(0)
	s_and_b32 s33, s33, 0xffff
	v_mad_u32_u24 v3, v86, s33, v1
	v_and_b32_e32 v4, 63, v3
	v_cmp_gt_u32_e32 vcc, 8, v4
	s_and_saveexec_b64 s[36:37], vcc
	s_cbranch_execz .LBB161_58
; %bb.55:                               ;   in Loop: Header=BB161_53 Depth=1
	v_mov_b32_e32 v5, v2
	v_lshl_add_u64 v[4:5], v[84:85], 0, v[4:5]
	v_lshl_add_u64 v[4:5], v[4:5], 0, s[12:13]
	v_cmp_gt_i64_e32 vcc, s[8:9], v[4:5]
	v_mov_b32_e32 v89, 0
	s_and_saveexec_b64 s[38:39], vcc
	s_cbranch_execz .LBB161_57
; %bb.56:                               ;   in Loop: Header=BB161_53 Depth=1
	v_lshl_add_u64 v[4:5], v[4:5], 2, s[16:17]
	global_load_dword v89, v[4:5], off
.LBB161_57:                             ;   in Loop: Header=BB161_53 Depth=1
	s_or_b64 exec, exec, s[38:39]
.LBB161_58:                             ;   in Loop: Header=BB161_53 Depth=1
	s_or_b64 exec, exec, s[36:37]
	v_lshl_add_u64 v[4:5], v[84:85], 0, s[12:13]
	v_mov_b32_e32 v8, v2
	v_mov_b32_e32 v9, v2
	v_cmp_gt_i64_e32 vcc, s[8:9], v[4:5]
	v_mov_b32_e32 v3, v2
	v_mov_b32_e32 v4, v2
	;; [unrolled: 1-line block ×5, first 2 shown]
	v_mov_b64_e32 v[18:19], v[8:9]
	v_mov_b64_e32 v[16:17], v[6:7]
	v_mov_b64_e32 v[14:15], v[4:5]
	v_mov_b64_e32 v[12:13], v[2:3]
	v_mov_b64_e32 v[10:11], v[8:9]
	v_mov_b64_e32 v[8:9], v[6:7]
	v_mov_b64_e32 v[6:7], v[4:5]
	v_mov_b64_e32 v[4:5], v[2:3]
	s_and_saveexec_b64 s[36:37], vcc
	s_cbranch_execz .LBB161_60
; %bb.59:                               ;   in Loop: Header=BB161_53 Depth=1
	v_lshl_add_u64 v[4:5], v[52:53], 0, v[50:51]
	v_lshl_add_u64 v[6:7], v[54:55], 0, v[50:51]
	global_load_dword v4, v[4:5], off
	v_mov_b32_e32 v5, v2
	global_load_dword v12, v[6:7], off
	v_mov_b32_e32 v6, v2
	v_mov_b32_e32 v7, v2
	;; [unrolled: 1-line block ×13, first 2 shown]
.LBB161_60:                             ;   in Loop: Header=BB161_53 Depth=1
	s_or_b64 exec, exec, s[36:37]
	v_lshl_add_u64 v[90:91], v[84:85], 0, s[14:15]
	v_cmp_gt_i64_e32 vcc, s[8:9], v[90:91]
	s_and_saveexec_b64 s[36:37], vcc
	s_cbranch_execz .LBB161_62
; %bb.61:                               ;   in Loop: Header=BB161_53 Depth=1
	v_lshl_add_u64 v[90:91], v[80:81], 0, v[50:51]
	global_load_dword v5, v[90:91], off
	v_lshl_add_u64 v[90:91], v[82:83], 0, v[50:51]
	global_load_dword v13, v[90:91], off
.LBB161_62:                             ;   in Loop: Header=BB161_53 Depth=1
	s_or_b64 exec, exec, s[36:37]
	v_lshl_add_u64 v[90:91], v[84:85], 0, s[22:23]
	v_cmp_gt_i64_e32 vcc, s[8:9], v[90:91]
	s_and_saveexec_b64 s[36:37], vcc
	s_cbranch_execz .LBB161_64
; %bb.63:                               ;   in Loop: Header=BB161_53 Depth=1
	v_lshl_add_u64 v[90:91], v[76:77], 0, v[50:51]
	global_load_dword v6, v[90:91], off
	v_lshl_add_u64 v[90:91], v[78:79], 0, v[50:51]
	global_load_dword v14, v[90:91], off
.LBB161_64:                             ;   in Loop: Header=BB161_53 Depth=1
	;; [unrolled: 11-line block ×7, first 2 shown]
	s_or_b64 exec, exec, s[36:37]
	s_waitcnt vmcnt(0)
	ds_bpermute_b32 v90, v87, v89
	ds_bpermute_b32 v91, v87, v89 offset:4
	v_pk_mul_f32 v[6:7], v[14:15], v[6:7]
	ds_bpermute_b32 v14, v87, v89 offset:8
	ds_bpermute_b32 v15, v87, v89 offset:12
	v_pk_mul_f32 v[4:5], v[12:13], v[4:5]
	ds_bpermute_b32 v12, v87, v89 offset:24
	s_waitcnt lgkmcnt(3)
	v_pk_mul_f32 v[4:5], v[4:5], v[90:91]
	ds_bpermute_b32 v13, v87, v89 offset:28
	v_add_f32_e32 v3, v88, v4
	v_add_f32_e32 v3, v3, v5
	s_waitcnt lgkmcnt(2)
	v_pk_mul_f32 v[4:5], v[6:7], v[14:15]
	ds_bpermute_b32 v6, v87, v89 offset:16
	ds_bpermute_b32 v7, v87, v89 offset:20
	v_pk_mul_f32 v[8:9], v[16:17], v[8:9]
	v_add_f32_e32 v3, v3, v4
	v_add_f32_e32 v3, v3, v5
	v_pk_mul_f32 v[10:11], v[18:19], v[10:11]
	s_waitcnt lgkmcnt(0)
	v_pk_mul_f32 v[4:5], v[8:9], v[6:7]
	s_mov_b64 s[36:37], 0
	v_add_f32_e32 v3, v3, v4
	v_add_f32_e32 v3, v3, v5
	v_pk_mul_f32 v[4:5], v[10:11], v[12:13]
	s_nop 0
	v_add_f32_e32 v3, v3, v4
	v_add_f32_e32 v3, v3, v5
.LBB161_75:                             ;   in Loop: Header=BB161_53 Depth=1
	s_and_b64 vcc, exec, s[36:37]
	s_cbranch_vccz .LBB161_81
; %bb.76:                               ;   in Loop: Header=BB161_53 Depth=1
	s_load_dword s33, s[4:5], 0x0
	s_waitcnt lgkmcnt(0)
	s_cmp_lt_u32 s2, s33
	s_cselect_b32 s33, 12, 18
	s_add_u32 s36, s4, s33
	s_addc_u32 s37, s5, 0
	global_load_ushort v3, v2, s[36:37]
	s_waitcnt vmcnt(0)
	v_mad_u32_u24 v3, v86, v3, v1
	v_and_b32_e32 v4, 63, v3
	v_cmp_gt_u32_e32 vcc, 8, v4
	v_mov_b32_e32 v3, 0
	s_and_saveexec_b64 s[36:37], vcc
	s_cbranch_execz .LBB161_80
; %bb.77:                               ;   in Loop: Header=BB161_53 Depth=1
	v_mov_b32_e32 v5, v2
	v_lshl_add_u64 v[4:5], v[84:85], 0, v[4:5]
	v_lshl_add_u64 v[4:5], v[4:5], 0, s[12:13]
	v_cmp_gt_i64_e32 vcc, s[8:9], v[4:5]
	v_mov_b32_e32 v3, 0
	s_and_saveexec_b64 s[38:39], vcc
	s_cbranch_execz .LBB161_79
; %bb.78:                               ;   in Loop: Header=BB161_53 Depth=1
	v_lshl_add_u64 v[4:5], v[4:5], 2, s[16:17]
	global_load_dword v3, v[4:5], off
.LBB161_79:                             ;   in Loop: Header=BB161_53 Depth=1
	s_or_b64 exec, exec, s[38:39]
.LBB161_80:                             ;   in Loop: Header=BB161_53 Depth=1
	s_or_b64 exec, exec, s[36:37]
	v_lshl_add_u64 v[4:5], v[52:53], 0, v[50:51]
	v_lshl_add_u64 v[8:9], v[22:23], 0, v[50:51]
	global_load_dword v4, v[4:5], off
	v_lshl_add_u64 v[6:7], v[54:55], 0, v[50:51]
	global_load_dword v5, v[8:9], off
	;; [unrolled: 2-line block ×15, first 2 shown]
	s_waitcnt vmcnt(15)
	ds_bpermute_b32 v90, v87, v3 offset:8
	global_load_dword v19, v[84:85], off
	ds_bpermute_b32 v84, v87, v3
	ds_bpermute_b32 v85, v87, v3 offset:4
	ds_bpermute_b32 v91, v87, v3 offset:12
	ds_bpermute_b32 v92, v87, v3 offset:16
	ds_bpermute_b32 v93, v87, v3 offset:20
	ds_bpermute_b32 v94, v87, v3 offset:24
	ds_bpermute_b32 v95, v87, v3 offset:28
	s_waitcnt vmcnt(12)
	v_pk_mul_f32 v[4:5], v[4:5], v[6:7]
	s_waitcnt lgkmcnt(5)
	v_pk_mul_f32 v[4:5], v[4:5], v[84:85]
	s_waitcnt vmcnt(8)
	v_pk_mul_f32 v[6:7], v[8:9], v[10:11]
	v_add_f32_e32 v3, v88, v4
	s_waitcnt lgkmcnt(4)
	v_pk_mul_f32 v[6:7], v[6:7], v[90:91]
	v_add_f32_e32 v3, v3, v5
	v_add_f32_e32 v3, v3, v6
	;; [unrolled: 1-line block ×3, first 2 shown]
	s_waitcnt vmcnt(4)
	v_pk_mul_f32 v[8:9], v[12:13], v[14:15]
	s_waitcnt lgkmcnt(2)
	v_pk_mul_f32 v[8:9], v[8:9], v[92:93]
	s_waitcnt vmcnt(0)
	v_pk_mul_f32 v[10:11], v[16:17], v[18:19]
	v_add_f32_e32 v3, v3, v8
	v_add_f32_e32 v3, v3, v9
	s_waitcnt lgkmcnt(0)
	v_pk_mul_f32 v[4:5], v[10:11], v[94:95]
	s_nop 0
	v_add_f32_e32 v3, v3, v4
	v_add_f32_e32 v3, v3, v5
.LBB161_81:                             ;   in Loop: Header=BB161_53 Depth=1
	s_add_u32 s18, s18, s3
	s_addc_u32 s19, s19, 0
	v_mov_b64_e32 v[4:5], s[8:9]
	s_add_u32 s20, s20, s3
	v_cmp_ge_i64_e32 vcc, s[18:19], v[4:5]
	v_lshl_add_u64 v[52:53], v[52:53], 0, s[6:7]
	v_lshl_add_u64 v[54:55], v[54:55], 0, s[6:7]
	s_addc_u32 s21, s21, 0
	v_lshl_add_u64 v[22:23], v[22:23], 0, s[6:7]
	v_lshl_add_u64 v[24:25], v[24:25], 0, s[6:7]
	;; [unrolled: 1-line block ×28, first 2 shown]
	s_cbranch_vccnz .LBB161_83
; %bb.82:                               ;   in Loop: Header=BB161_53 Depth=1
	v_mov_b32_e32 v88, v3
	s_branch .LBB161_53
.LBB161_83:
	v_and_b32_e32 v2, 0x3ff, v0
	v_bfe_u32 v0, v0, 10, 10
	v_mad_u32_u24 v1, v0, 33, v2
	v_lshl_add_u32 v4, v1, 2, 0
	ds_write_b32 v4, v3
	v_mov_b32_e32 v3, 0
	ds_write_b32 v4, v3 offset:4224
	v_sub_u32_e32 v4, v1, v0
	s_movk_i32 s3, 0x800
	v_cmp_gt_u32_e32 vcc, s3, v4
	s_waitcnt lgkmcnt(0)
	s_barrier
	s_and_saveexec_b64 s[4:5], vcc
	s_cbranch_execz .LBB161_93
; %bb.84:
	s_load_dwordx2 s[4:5], s[0:1], 0x30
	v_and_b32_e32 v1, 63, v4
	v_lshrrev_b32_e32 v0, 6, v4
	v_cmp_gt_u32_e32 vcc, 32, v1
	v_mul_u32_u24_e32 v1, 33, v1
                                        ; implicit-def: $vgpr3
	s_and_saveexec_b64 s[0:1], vcc
; %bb.85:
	v_lshlrev_b32_e32 v3, 2, v0
	v_lshlrev_b32_e32 v5, 2, v1
	v_add3_u32 v3, 0, v3, v5
	ds_read_b32 v3, v3
; %bb.86:
	s_or_b64 exec, exec, s[0:1]
	v_mbcnt_lo_u32_b32 v5, -1, 0
	v_mbcnt_hi_u32_b32 v9, -1, v5
	v_and_b32_e32 v5, 64, v9
	v_add_u32_e32 v10, 64, v5
	v_xor_b32_e32 v5, 16, v9
	v_cmp_lt_i32_e64 s[0:1], v5, v10
	v_xor_b32_e32 v7, 8, v9
	v_xor_b32_e32 v8, 4, v9
	v_cndmask_b32_e64 v5, v9, v5, s[0:1]
	v_lshlrev_b32_e32 v5, 2, v5
	s_waitcnt lgkmcnt(0)
	ds_bpermute_b32 v6, v5, v3
	v_cmp_lt_i32_e64 s[0:1], v7, v10
	v_xor_b32_e32 v11, 2, v9
	v_xor_b32_e32 v12, 1, v9
	s_mov_b32 s3, 0
	s_waitcnt lgkmcnt(0)
	v_add_f32_e32 v3, v3, v6
	v_cndmask_b32_e64 v6, v9, v7, s[0:1]
	v_lshlrev_b32_e32 v6, 2, v6
	ds_bpermute_b32 v7, v6, v3
	v_cmp_lt_i32_e64 s[0:1], v8, v10
	s_lshl_b64 s[6:7], s[2:3], 5
	s_cmp_eq_u64 s[4:5], 0
	s_cselect_b64 s[8:9], -1, 0
	s_waitcnt lgkmcnt(0)
	v_add_f32_e32 v3, v3, v7
	v_cndmask_b32_e64 v7, v9, v8, s[0:1]
	v_lshlrev_b32_e32 v7, 2, v7
	ds_bpermute_b32 v8, v7, v3
	v_cmp_lt_i32_e64 s[0:1], v11, v10
	s_waitcnt lgkmcnt(0)
	v_add_f32_e32 v3, v3, v8
	v_cndmask_b32_e64 v8, v9, v11, s[0:1]
	v_lshlrev_b32_e32 v8, 2, v8
	ds_bpermute_b32 v11, v8, v3
	v_cmp_lt_i32_e64 s[0:1], v12, v10
	s_waitcnt lgkmcnt(0)
	v_add_f32_e32 v3, v3, v11
	v_cndmask_b32_e64 v9, v9, v12, s[0:1]
	v_lshlrev_b32_e32 v9, 2, v9
	ds_bpermute_b32 v10, v9, v3
	v_cmp_ne_u32_e64 s[0:1], 0, v2
	v_or_b32_e32 v2, s6, v0
	s_waitcnt lgkmcnt(0)
	v_add_f32_e32 v10, v3, v10
	v_mov_b32_e32 v3, s7
	v_cmp_le_i64_e64 s[2:3], s[10:11], v[2:3]
	s_or_b64 s[2:3], s[0:1], s[2:3]
	s_nor_b64 s[12:13], s[8:9], s[2:3]
	s_and_saveexec_b64 s[2:3], s[12:13]
	s_cbranch_execz .LBB161_88
; %bb.87:
	v_lshl_add_u64 v[2:3], v[2:3], 2, s[4:5]
	global_store_dword v[2:3], v10, off
.LBB161_88:
	s_or_b64 exec, exec, s[2:3]
	s_movk_i32 s2, 0x400
	v_cmp_gt_u32_e64 s[2:3], s2, v4
	s_and_b64 exec, exec, s[2:3]
	s_cbranch_execz .LBB161_93
; %bb.89:
	s_and_saveexec_b64 s[2:3], vcc
; %bb.90:
	v_lshlrev_b32_e32 v2, 2, v0
	v_lshlrev_b32_e32 v1, 2, v1
	v_add3_u32 v1, 0, v2, v1
	ds_read_b32 v10, v1 offset:64
; %bb.91:
	s_or_b64 exec, exec, s[2:3]
	s_waitcnt lgkmcnt(0)
	ds_bpermute_b32 v1, v5, v10
	v_add_u32_e32 v4, 16, v0
	v_or_b32_e32 v4, s6, v4
	v_mov_b32_e32 v5, s7
	v_cmp_le_i64_e32 vcc, s[10:11], v[4:5]
	s_waitcnt lgkmcnt(0)
	v_add_f32_e32 v1, v10, v1
	ds_bpermute_b32 v2, v6, v1
	s_or_b64 s[0:1], s[0:1], vcc
	s_nor_b64 s[0:1], s[8:9], s[0:1]
	s_waitcnt lgkmcnt(0)
	v_add_f32_e32 v1, v1, v2
	ds_bpermute_b32 v2, v7, v1
	s_waitcnt lgkmcnt(0)
	v_add_f32_e32 v1, v1, v2
	ds_bpermute_b32 v2, v8, v1
	;; [unrolled: 3-line block ×3, first 2 shown]
	s_and_saveexec_b64 s[2:3], s[0:1]
	s_xor_b64 s[2:3], exec, s[2:3]
	s_cbranch_execz .LBB161_93
; %bb.92:
	v_mov_b32_e32 v1, 0
	v_lshl_add_u64 v[0:1], s[6:7], 0, v[0:1]
	s_waitcnt lgkmcnt(0)
	v_add_f32_e32 v2, v2, v3
	v_lshl_add_u64 v[0:1], v[0:1], 2, s[4:5]
	global_store_dword v[0:1], v2, off offset:64
.LBB161_93:
	s_endpgm
	.section	.rodata,"a",@progbits
	.p2align	6, 0x0
	.amdhsa_kernel _ZN2at6native12_GLOBAL__N_135GammaBetaBackwardCUDAKernelTemplateIffLj32ELj32ELj256ELb0ELb0ELb1EEEvllPKT_S5_PKT0_S8_PS3_S9_
		.amdhsa_group_segment_fixed_size 0
		.amdhsa_private_segment_fixed_size 0
		.amdhsa_kernarg_size 320
		.amdhsa_user_sgpr_count 2
		.amdhsa_user_sgpr_dispatch_ptr 0
		.amdhsa_user_sgpr_queue_ptr 0
		.amdhsa_user_sgpr_kernarg_segment_ptr 1
		.amdhsa_user_sgpr_dispatch_id 0
		.amdhsa_user_sgpr_kernarg_preload_length 0
		.amdhsa_user_sgpr_kernarg_preload_offset 0
		.amdhsa_user_sgpr_private_segment_size 0
		.amdhsa_uses_dynamic_stack 0
		.amdhsa_enable_private_segment 0
		.amdhsa_system_sgpr_workgroup_id_x 1
		.amdhsa_system_sgpr_workgroup_id_y 1
		.amdhsa_system_sgpr_workgroup_id_z 0
		.amdhsa_system_sgpr_workgroup_info 0
		.amdhsa_system_vgpr_workitem_id 1
		.amdhsa_next_free_vgpr 96
		.amdhsa_next_free_sgpr 50
		.amdhsa_accum_offset 96
		.amdhsa_reserve_vcc 1
		.amdhsa_float_round_mode_32 0
		.amdhsa_float_round_mode_16_64 0
		.amdhsa_float_denorm_mode_32 3
		.amdhsa_float_denorm_mode_16_64 3
		.amdhsa_dx10_clamp 1
		.amdhsa_ieee_mode 1
		.amdhsa_fp16_overflow 0
		.amdhsa_tg_split 0
		.amdhsa_exception_fp_ieee_invalid_op 0
		.amdhsa_exception_fp_denorm_src 0
		.amdhsa_exception_fp_ieee_div_zero 0
		.amdhsa_exception_fp_ieee_overflow 0
		.amdhsa_exception_fp_ieee_underflow 0
		.amdhsa_exception_fp_ieee_inexact 0
		.amdhsa_exception_int_div_zero 0
	.end_amdhsa_kernel
	.section	.text._ZN2at6native12_GLOBAL__N_135GammaBetaBackwardCUDAKernelTemplateIffLj32ELj32ELj256ELb0ELb0ELb1EEEvllPKT_S5_PKT0_S8_PS3_S9_,"axG",@progbits,_ZN2at6native12_GLOBAL__N_135GammaBetaBackwardCUDAKernelTemplateIffLj32ELj32ELj256ELb0ELb0ELb1EEEvllPKT_S5_PKT0_S8_PS3_S9_,comdat
.Lfunc_end161:
	.size	_ZN2at6native12_GLOBAL__N_135GammaBetaBackwardCUDAKernelTemplateIffLj32ELj32ELj256ELb0ELb0ELb1EEEvllPKT_S5_PKT0_S8_PS3_S9_, .Lfunc_end161-_ZN2at6native12_GLOBAL__N_135GammaBetaBackwardCUDAKernelTemplateIffLj32ELj32ELj256ELb0ELb0ELb1EEEvllPKT_S5_PKT0_S8_PS3_S9_
                                        ; -- End function
	.set _ZN2at6native12_GLOBAL__N_135GammaBetaBackwardCUDAKernelTemplateIffLj32ELj32ELj256ELb0ELb0ELb1EEEvllPKT_S5_PKT0_S8_PS3_S9_.num_vgpr, 96
	.set _ZN2at6native12_GLOBAL__N_135GammaBetaBackwardCUDAKernelTemplateIffLj32ELj32ELj256ELb0ELb0ELb1EEEvllPKT_S5_PKT0_S8_PS3_S9_.num_agpr, 0
	.set _ZN2at6native12_GLOBAL__N_135GammaBetaBackwardCUDAKernelTemplateIffLj32ELj32ELj256ELb0ELb0ELb1EEEvllPKT_S5_PKT0_S8_PS3_S9_.numbered_sgpr, 50
	.set _ZN2at6native12_GLOBAL__N_135GammaBetaBackwardCUDAKernelTemplateIffLj32ELj32ELj256ELb0ELb0ELb1EEEvllPKT_S5_PKT0_S8_PS3_S9_.num_named_barrier, 0
	.set _ZN2at6native12_GLOBAL__N_135GammaBetaBackwardCUDAKernelTemplateIffLj32ELj32ELj256ELb0ELb0ELb1EEEvllPKT_S5_PKT0_S8_PS3_S9_.private_seg_size, 0
	.set _ZN2at6native12_GLOBAL__N_135GammaBetaBackwardCUDAKernelTemplateIffLj32ELj32ELj256ELb0ELb0ELb1EEEvllPKT_S5_PKT0_S8_PS3_S9_.uses_vcc, 1
	.set _ZN2at6native12_GLOBAL__N_135GammaBetaBackwardCUDAKernelTemplateIffLj32ELj32ELj256ELb0ELb0ELb1EEEvllPKT_S5_PKT0_S8_PS3_S9_.uses_flat_scratch, 0
	.set _ZN2at6native12_GLOBAL__N_135GammaBetaBackwardCUDAKernelTemplateIffLj32ELj32ELj256ELb0ELb0ELb1EEEvllPKT_S5_PKT0_S8_PS3_S9_.has_dyn_sized_stack, 0
	.set _ZN2at6native12_GLOBAL__N_135GammaBetaBackwardCUDAKernelTemplateIffLj32ELj32ELj256ELb0ELb0ELb1EEEvllPKT_S5_PKT0_S8_PS3_S9_.has_recursion, 0
	.set _ZN2at6native12_GLOBAL__N_135GammaBetaBackwardCUDAKernelTemplateIffLj32ELj32ELj256ELb0ELb0ELb1EEEvllPKT_S5_PKT0_S8_PS3_S9_.has_indirect_call, 0
	.section	.AMDGPU.csdata,"",@progbits
; Kernel info:
; codeLenInByte = 6300
; TotalNumSgprs: 56
; NumVgprs: 96
; NumAgprs: 0
; TotalNumVgprs: 96
; ScratchSize: 0
; MemoryBound: 0
; FloatMode: 240
; IeeeMode: 1
; LDSByteSize: 0 bytes/workgroup (compile time only)
; SGPRBlocks: 6
; VGPRBlocks: 11
; NumSGPRsForWavesPerEU: 56
; NumVGPRsForWavesPerEU: 96
; AccumOffset: 96
; Occupancy: 5
; WaveLimiterHint : 0
; COMPUTE_PGM_RSRC2:SCRATCH_EN: 0
; COMPUTE_PGM_RSRC2:USER_SGPR: 2
; COMPUTE_PGM_RSRC2:TRAP_HANDLER: 0
; COMPUTE_PGM_RSRC2:TGID_X_EN: 1
; COMPUTE_PGM_RSRC2:TGID_Y_EN: 1
; COMPUTE_PGM_RSRC2:TGID_Z_EN: 0
; COMPUTE_PGM_RSRC2:TIDIG_COMP_CNT: 1
; COMPUTE_PGM_RSRC3_GFX90A:ACCUM_OFFSET: 23
; COMPUTE_PGM_RSRC3_GFX90A:TG_SPLIT: 0
	.section	.text._ZN2at6native12_GLOBAL__N_118cuComputeGradInputIN3c104HalfEfLb1EEEvPKT_S7_llPKT0_SA_S7_PS5_,"axG",@progbits,_ZN2at6native12_GLOBAL__N_118cuComputeGradInputIN3c104HalfEfLb1EEEvPKT_S7_llPKT0_SA_S7_PS5_,comdat
	.globl	_ZN2at6native12_GLOBAL__N_118cuComputeGradInputIN3c104HalfEfLb1EEEvPKT_S7_llPKT0_SA_S7_PS5_ ; -- Begin function _ZN2at6native12_GLOBAL__N_118cuComputeGradInputIN3c104HalfEfLb1EEEvPKT_S7_llPKT0_SA_S7_PS5_
	.p2align	8
	.type	_ZN2at6native12_GLOBAL__N_118cuComputeGradInputIN3c104HalfEfLb1EEEvPKT_S7_llPKT0_SA_S7_PS5_,@function
_ZN2at6native12_GLOBAL__N_118cuComputeGradInputIN3c104HalfEfLb1EEEvPKT_S7_llPKT0_SA_S7_PS5_: ; @_ZN2at6native12_GLOBAL__N_118cuComputeGradInputIN3c104HalfEfLb1EEEvPKT_S7_llPKT0_SA_S7_PS5_
; %bb.0:
	s_load_dwordx4 s[16:19], s[0:1], 0x10
	s_mov_b32 s14, s3
	s_ashr_i32 s15, s3, 31
	v_mov_b64_e32 v[2:3], s[14:15]
	s_waitcnt lgkmcnt(0)
	v_cmp_le_i64_e32 vcc, s[16:17], v[2:3]
	s_cbranch_vccnz .LBB162_49
; %bb.1:
	s_load_dword s2, s[0:1], 0x4c
	s_load_dwordx4 s[20:23], s[0:1], 0x30
	s_load_dword s33, s[0:1], 0x44
	s_load_dwordx4 s[24:27], s[0:1], 0x0
	s_load_dwordx2 s[28:29], s[0:1], 0x28
	s_waitcnt lgkmcnt(0)
	s_lshr_b32 s44, s2, 16
	s_and_b32 s45, s2, 0xffff
	s_cmp_lg_u64 s[20:21], 0
	s_cselect_b64 s[6:7], -1, 0
	s_cmp_gt_u32 s45, 1
	s_cselect_b64 s[34:35], -1, 0
	s_cmp_gt_u32 s44, 1
	s_cselect_b64 s[36:37], -1, 0
	s_xor_b32 s1, s18, s19
	s_flbit_i32 s0, s19
	s_ashr_i32 s1, s1, 31
	s_add_i32 s0, s0, -1
	s_add_i32 s1, s1, 32
	s_min_u32 s2, s0, s1
	s_lshl_b64 s[0:1], s[18:19], s2
	s_min_u32 s0, s0, 1
	s_or_b32 s0, s1, s0
	v_cvt_f32_i32_e32 v1, s0
	s_sub_i32 s0, 32, s2
	v_and_b32_e32 v12, 0x3ff, v0
	v_bfe_u32 v13, v0, 10, 10
	v_ldexp_f32 v2, v1, s0
	v_div_scale_f32 v1, s[0:1], v2, v2, 1.0
	v_rcp_f32_e32 v4, v1
	s_mul_i32 s30, s44, s45
	v_mad_u32_u24 v0, v13, s45, v12
	v_lshlrev_b32_e32 v3, 3, v0
	v_fma_f32 v5, -v1, v4, 1.0
	v_fmac_f32_e32 v4, v5, v4
	v_div_scale_f32 v5, vcc, 1.0, v2, 1.0
	v_mul_f32_e32 v7, v5, v4
	v_fma_f32 v8, -v1, v7, v5
	v_fmac_f32_e32 v7, v8, v4
	v_fma_f32 v1, -v1, v7, v5
	v_div_fmas_f32 v1, v1, v4, v7
	v_add_u32_e32 v4, s30, v0
	s_ashr_i32 s31, s30, 31
	v_ashrrev_i32_e32 v5, 31, v4
	v_mov_b32_e32 v7, s31
	v_subrev_co_u32_e32 v4, vcc, s30, v4
	v_add_u32_e32 v15, 0, v3
	v_mbcnt_lo_u32_b32 v3, -1, 0
	v_subb_co_u32_e32 v5, vcc, v5, v7, vcc
	v_cndmask_b32_e64 v7, 0, 1, s[6:7]
	v_cmp_gt_i64_e64 s[6:7], s[18:19], 0
	v_mbcnt_hi_u32_b32 v16, -1, v3
	v_lshlrev_b32_e32 v6, 3, v12
	v_div_fixup_f32 v14, v1, v2, 1.0
	v_mov_b32_e32 v1, 0
	v_cndmask_b32_e64 v8, 0, 1, s[6:7]
	v_and_b32_e32 v3, 64, v16
	v_cmp_eq_u32_e64 s[0:1], 0, v13
	v_cmp_ne_u32_e64 s[2:3], 0, v13
	v_cmp_gt_i64_e64 s[4:5], s[18:19], v[0:1]
	v_cmp_ne_u32_e64 s[6:7], 1, v7
	v_cmp_ne_u32_e64 s[8:9], 1, v8
	v_add_u32_e32 v17, 64, v3
	v_add_u32_e32 v18, 0, v6
	s_branch .LBB162_4
.LBB162_2:                              ;   in Loop: Header=BB162_4 Depth=1
	s_or_b64 exec, exec, s[12:13]
.LBB162_3:                              ;   in Loop: Header=BB162_4 Depth=1
	s_add_i32 s14, s33, s14
	s_ashr_i32 s15, s14, 31
	v_mov_b64_e32 v[6:7], s[14:15]
	v_cmp_le_i64_e32 vcc, s[16:17], v[6:7]
	s_barrier
	s_cbranch_vccnz .LBB162_49
.LBB162_4:                              ; =>This Loop Header: Depth=1
                                        ;     Child Loop BB162_8 Depth 2
                                        ;     Child Loop BB162_20 Depth 2
	;; [unrolled: 1-line block ×6, first 2 shown]
	s_mul_i32 s10, s14, s19
	s_mul_hi_u32 s11, s14, s18
	s_add_i32 s10, s11, s10
	s_mul_i32 s11, s15, s18
	s_add_i32 s11, s10, s11
	s_lshl_b64 s[12:13], s[14:15], 2
	s_add_u32 s12, s28, s12
	s_mul_i32 s10, s14, s18
	s_addc_u32 s13, s29, s13
	s_load_dword s15, s[12:13], 0x0
	s_lshl_b64 s[42:43], s[10:11], 1
	s_add_u32 s38, s26, s42
	s_addc_u32 s39, s27, s43
	s_add_u32 s40, s24, s42
	s_addc_u32 s41, s25, s43
	s_and_b64 vcc, exec, s[6:7]
	s_cbranch_vccnz .LBB162_14
; %bb.5:                                ;   in Loop: Header=BB162_4 Depth=1
	s_and_b64 vcc, exec, s[8:9]
	s_cbranch_vccnz .LBB162_15
; %bb.6:                                ;   in Loop: Header=BB162_4 Depth=1
	s_mov_b32 s12, 0
	v_mov_b32_e32 v7, 0
	s_branch .LBB162_8
.LBB162_7:                              ;   in Loop: Header=BB162_8 Depth=2
	s_or_b64 exec, exec, s[10:11]
	s_add_i32 s12, s12, s30
	s_ashr_i32 s10, s12, 31
	v_mul_f32_e32 v3, v3, v10
	v_mov_b32_e32 v8, s12
	v_mov_b32_e32 v9, s10
	v_mul_f32_e32 v3, v6, v3
	v_cmp_le_i64_e32 vcc, s[18:19], v[8:9]
	s_waitcnt lgkmcnt(0)
	v_fmac_f32_e32 v7, s15, v3
	s_cbranch_vccnz .LBB162_16
.LBB162_8:                              ;   Parent Loop BB162_4 Depth=1
                                        ; =>  This Inner Loop Header: Depth=2
	v_add_u32_e32 v8, s12, v0
	v_ashrrev_i32_e32 v9, 31, v8
	v_cmp_gt_i64_e32 vcc, s[18:19], v[8:9]
	v_mov_b32_e32 v3, 0
	s_and_saveexec_b64 s[10:11], vcc
	s_cbranch_execz .LBB162_10
; %bb.9:                                ;   in Loop: Header=BB162_8 Depth=2
	v_lshl_add_u64 v[10:11], v[8:9], 1, s[20:21]
	global_load_ushort v3, v[10:11], off
	s_waitcnt vmcnt(0)
	v_cvt_f32_f16_e32 v3, v3
.LBB162_10:                             ;   in Loop: Header=BB162_8 Depth=2
	s_or_b64 exec, exec, s[10:11]
	v_mov_b32_e32 v10, 0
	v_mov_b32_e32 v6, 0
	s_and_saveexec_b64 s[10:11], vcc
	s_cbranch_execz .LBB162_12
; %bb.11:                               ;   in Loop: Header=BB162_8 Depth=2
	v_lshl_add_u64 v[20:21], v[8:9], 1, s[38:39]
	global_load_ushort v6, v[20:21], off
	s_waitcnt vmcnt(0)
	v_cvt_f32_f16_e32 v6, v6
.LBB162_12:                             ;   in Loop: Header=BB162_8 Depth=2
	s_or_b64 exec, exec, s[10:11]
	s_and_saveexec_b64 s[10:11], vcc
	s_cbranch_execz .LBB162_7
; %bb.13:                               ;   in Loop: Header=BB162_8 Depth=2
	v_lshl_add_u64 v[8:9], v[8:9], 1, s[40:41]
	global_load_ushort v8, v[8:9], off
	s_waitcnt vmcnt(0)
	v_cvt_f32_f16_e32 v10, v8
	s_branch .LBB162_7
.LBB162_14:                             ;   in Loop: Header=BB162_4 Depth=1
                                        ; implicit-def: $vgpr7
	s_branch .LBB162_17
.LBB162_15:                             ;   in Loop: Header=BB162_4 Depth=1
	v_mov_b32_e32 v7, 0
.LBB162_16:                             ;   in Loop: Header=BB162_4 Depth=1
	s_cbranch_execnz .LBB162_25
.LBB162_17:                             ;   in Loop: Header=BB162_4 Depth=1
	s_and_b64 vcc, exec, s[8:9]
	s_cbranch_vccnz .LBB162_24
; %bb.18:                               ;   in Loop: Header=BB162_4 Depth=1
	s_mov_b32 s12, 0
	v_mov_b32_e32 v7, 0
	s_branch .LBB162_20
.LBB162_19:                             ;   in Loop: Header=BB162_20 Depth=2
	s_or_b64 exec, exec, s[10:11]
	s_add_i32 s12, s12, s30
	s_ashr_i32 s10, s12, 31
	v_mov_b32_e32 v8, s12
	v_mov_b32_e32 v9, s10
	v_mul_f32_e32 v3, v3, v6
	v_cmp_le_i64_e32 vcc, s[18:19], v[8:9]
	s_waitcnt lgkmcnt(0)
	v_fmac_f32_e32 v7, s15, v3
	s_cbranch_vccnz .LBB162_25
.LBB162_20:                             ;   Parent Loop BB162_4 Depth=1
                                        ; =>  This Inner Loop Header: Depth=2
	v_add_u32_e32 v8, s12, v0
	v_ashrrev_i32_e32 v9, 31, v8
	v_cmp_gt_i64_e32 vcc, s[18:19], v[8:9]
	v_mov_b32_e32 v3, 0
	s_and_saveexec_b64 s[10:11], vcc
	s_cbranch_execz .LBB162_22
; %bb.21:                               ;   in Loop: Header=BB162_20 Depth=2
	v_lshl_add_u64 v[10:11], v[8:9], 1, s[38:39]
	global_load_ushort v3, v[10:11], off
	s_waitcnt vmcnt(0)
	v_cvt_f32_f16_e32 v3, v3
.LBB162_22:                             ;   in Loop: Header=BB162_20 Depth=2
	s_or_b64 exec, exec, s[10:11]
	v_mov_b32_e32 v6, 0
	s_and_saveexec_b64 s[10:11], vcc
	s_cbranch_execz .LBB162_19
; %bb.23:                               ;   in Loop: Header=BB162_20 Depth=2
	v_lshl_add_u64 v[8:9], v[8:9], 1, s[40:41]
	global_load_ushort v6, v[8:9], off
	s_waitcnt vmcnt(0)
	v_cvt_f32_f16_e32 v6, v6
	s_branch .LBB162_19
.LBB162_24:                             ;   in Loop: Header=BB162_4 Depth=1
	v_mov_b32_e32 v7, 0
.LBB162_25:                             ;   in Loop: Header=BB162_4 Depth=1
	s_andn2_b64 vcc, exec, s[34:35]
	s_cbranch_vccnz .LBB162_28
; %bb.26:                               ;   in Loop: Header=BB162_4 Depth=1
	s_mov_b32 s10, s45
.LBB162_27:                             ;   Parent Loop BB162_4 Depth=1
                                        ; =>  This Inner Loop Header: Depth=2
	s_lshr_b32 s11, s10, 1
	v_xor_b32_e32 v3, s11, v16
	v_cmp_lt_i32_e32 vcc, v3, v17
	s_cmp_lt_u32 s10, 4
	s_mov_b32 s10, s11
	v_cndmask_b32_e32 v3, v16, v3, vcc
	v_lshlrev_b32_e32 v3, 2, v3
	ds_bpermute_b32 v3, v3, v7
	s_waitcnt lgkmcnt(0)
	v_add_f32_e32 v7, v7, v3
	s_cbranch_scc0 .LBB162_27
.LBB162_28:                             ;   in Loop: Header=BB162_4 Depth=1
	s_andn2_b64 vcc, exec, s[36:37]
	s_mov_b32 s46, s44
	s_cbranch_vccnz .LBB162_40
.LBB162_29:                             ;   Parent Loop BB162_4 Depth=1
                                        ; =>  This Inner Loop Header: Depth=2
	s_lshr_b32 s47, s46, 1
	s_and_b32 s12, s46, 0xfffe
	v_cmp_le_u32_e64 s[10:11], s47, v13
	v_cmp_gt_u32_e64 s[12:13], s12, v13
	v_cmp_gt_u32_e32 vcc, s47, v13
	s_and_b64 s[12:13], s[10:11], s[12:13]
	s_and_saveexec_b64 s[10:11], s[12:13]
; %bb.30:                               ;   in Loop: Header=BB162_29 Depth=2
	v_subrev_u32_e32 v3, s47, v13
	v_mad_u32_u24 v3, v3, s45, v12
	v_lshl_add_u32 v3, v3, 3, 0
	ds_write_b32 v3, v7 offset:4
; %bb.31:                               ;   in Loop: Header=BB162_29 Depth=2
	s_or_b64 exec, exec, s[10:11]
	s_waitcnt lgkmcnt(0)
	s_barrier
	s_and_saveexec_b64 s[10:11], vcc
	s_cbranch_execz .LBB162_33
; %bb.32:                               ;   in Loop: Header=BB162_29 Depth=2
	ds_read_b32 v3, v15 offset:4
	s_waitcnt lgkmcnt(0)
	v_add_f32_e32 v7, v7, v3
.LBB162_33:                             ;   in Loop: Header=BB162_29 Depth=2
	s_or_b64 exec, exec, s[10:11]
	s_cmp_lt_u32 s46, 4
	s_barrier
	s_cbranch_scc1 .LBB162_35
; %bb.34:                               ;   in Loop: Header=BB162_29 Depth=2
	s_mov_b32 s46, s47
	s_branch .LBB162_29
.LBB162_35:                             ;   in Loop: Header=BB162_4 Depth=1
	s_and_saveexec_b64 s[10:11], s[0:1]
; %bb.36:                               ;   in Loop: Header=BB162_4 Depth=1
	ds_write_b32 v18, v7 offset:4
; %bb.37:                               ;   in Loop: Header=BB162_4 Depth=1
	s_or_b64 exec, exec, s[10:11]
	s_waitcnt lgkmcnt(0)
	s_barrier
	s_and_saveexec_b64 s[10:11], s[2:3]
; %bb.38:                               ;   in Loop: Header=BB162_4 Depth=1
	ds_read_b32 v7, v18 offset:4
; %bb.39:                               ;   in Loop: Header=BB162_4 Depth=1
	s_or_b64 exec, exec, s[10:11]
.LBB162_40:                             ;   in Loop: Header=BB162_4 Depth=1
	s_add_u32 s10, s22, s42
	s_addc_u32 s11, s23, s43
	s_and_b64 vcc, exec, s[6:7]
	s_waitcnt lgkmcnt(0)
	v_mul_f32_e32 v19, s15, v14
	s_cbranch_vccnz .LBB162_45
; %bb.41:                               ;   in Loop: Header=BB162_4 Depth=1
	s_and_saveexec_b64 s[12:13], s[4:5]
	s_cbranch_execz .LBB162_44
; %bb.42:                               ;   in Loop: Header=BB162_4 Depth=1
	v_mov_b32_e32 v3, s15
	s_mov_b64 s[42:43], 0
	v_mov_b64_e32 v[8:9], v[4:5]
	v_mov_b64_e32 v[10:11], v[0:1]
.LBB162_43:                             ;   Parent Loop BB162_4 Depth=1
                                        ; =>  This Inner Loop Header: Depth=2
	v_lshlrev_b64 v[10:11], 1, v[10:11]
	v_lshl_add_u64 v[20:21], s[38:39], 0, v[10:11]
	v_lshl_add_u64 v[22:23], s[40:41], 0, v[10:11]
	;; [unrolled: 1-line block ×3, first 2 shown]
	global_load_ushort v6, v[20:21], off
	global_load_ushort v26, v[22:23], off
	;; [unrolled: 1-line block ×3, first 2 shown]
	v_lshl_add_u64 v[8:9], v[8:9], 0, s[30:31]
	v_cmp_le_i64_e32 vcc, s[18:19], v[8:9]
	v_lshl_add_u64 v[20:21], s[10:11], 0, v[10:11]
	v_ashrrev_i32_e32 v11, 31, v8
	v_mov_b32_e32 v10, v8
	s_or_b64 s[42:43], vcc, s[42:43]
	s_waitcnt vmcnt(2)
	v_cvt_f32_f16_e32 v23, v6
	s_waitcnt vmcnt(1)
	v_cvt_f32_f16_e32 v22, v26
	;; [unrolled: 2-line block ×3, first 2 shown]
	v_pk_mul_f32 v[22:23], v[2:3], v[22:23]
	s_nop 0
	v_pk_mul_f32 v[22:23], v[22:23], v[6:7]
	s_nop 0
	v_sub_f32_e32 v6, v22, v23
	v_fma_mixlo_f16 v6, v19, v6, 0
	global_store_short v[20:21], v6, off
	s_andn2_b64 exec, exec, s[42:43]
	s_cbranch_execnz .LBB162_43
.LBB162_44:                             ;   in Loop: Header=BB162_4 Depth=1
	s_or_b64 exec, exec, s[12:13]
	s_cbranch_execnz .LBB162_3
	s_branch .LBB162_46
.LBB162_45:                             ;   in Loop: Header=BB162_4 Depth=1
.LBB162_46:                             ;   in Loop: Header=BB162_4 Depth=1
	s_and_saveexec_b64 s[12:13], s[4:5]
	s_cbranch_execz .LBB162_2
; %bb.47:                               ;   in Loop: Header=BB162_4 Depth=1
	s_mov_b64 s[42:43], 0
	v_mov_b64_e32 v[8:9], v[4:5]
	v_mov_b64_e32 v[10:11], v[0:1]
.LBB162_48:                             ;   Parent Loop BB162_4 Depth=1
                                        ; =>  This Inner Loop Header: Depth=2
	v_lshlrev_b64 v[10:11], 1, v[10:11]
	v_lshl_add_u64 v[20:21], s[38:39], 0, v[10:11]
	global_load_ushort v3, v[20:21], off
	v_lshl_add_u64 v[20:21], s[40:41], 0, v[10:11]
	global_load_ushort v6, v[20:21], off
	v_lshl_add_u64 v[8:9], v[8:9], 0, s[30:31]
	v_cmp_le_i64_e32 vcc, s[18:19], v[8:9]
	v_lshl_add_u64 v[20:21], s[10:11], 0, v[10:11]
	v_ashrrev_i32_e32 v11, 31, v8
	v_mov_b32_e32 v10, v8
	s_or_b64 s[42:43], vcc, s[42:43]
	s_waitcnt vmcnt(1)
	v_cvt_f32_f16_e32 v3, v3
	v_mul_f32_e32 v3, s15, v3
	v_mul_f32_e32 v3, v7, v3
	s_waitcnt vmcnt(0)
	v_fma_mix_f32 v3, v2, v6, -v3 op_sel_hi:[0,1,0]
	v_fma_mixlo_f16 v3, v19, v3, 0
	global_store_short v[20:21], v3, off
	s_andn2_b64 exec, exec, s[42:43]
	s_cbranch_execnz .LBB162_48
	s_branch .LBB162_2
.LBB162_49:
	s_endpgm
	.section	.rodata,"a",@progbits
	.p2align	6, 0x0
	.amdhsa_kernel _ZN2at6native12_GLOBAL__N_118cuComputeGradInputIN3c104HalfEfLb1EEEvPKT_S7_llPKT0_SA_S7_PS5_
		.amdhsa_group_segment_fixed_size 0
		.amdhsa_private_segment_fixed_size 0
		.amdhsa_kernarg_size 320
		.amdhsa_user_sgpr_count 2
		.amdhsa_user_sgpr_dispatch_ptr 0
		.amdhsa_user_sgpr_queue_ptr 0
		.amdhsa_user_sgpr_kernarg_segment_ptr 1
		.amdhsa_user_sgpr_dispatch_id 0
		.amdhsa_user_sgpr_kernarg_preload_length 0
		.amdhsa_user_sgpr_kernarg_preload_offset 0
		.amdhsa_user_sgpr_private_segment_size 0
		.amdhsa_uses_dynamic_stack 0
		.amdhsa_enable_private_segment 0
		.amdhsa_system_sgpr_workgroup_id_x 1
		.amdhsa_system_sgpr_workgroup_id_y 1
		.amdhsa_system_sgpr_workgroup_id_z 0
		.amdhsa_system_sgpr_workgroup_info 0
		.amdhsa_system_vgpr_workitem_id 1
		.amdhsa_next_free_vgpr 28
		.amdhsa_next_free_sgpr 48
		.amdhsa_accum_offset 28
		.amdhsa_reserve_vcc 1
		.amdhsa_float_round_mode_32 0
		.amdhsa_float_round_mode_16_64 0
		.amdhsa_float_denorm_mode_32 3
		.amdhsa_float_denorm_mode_16_64 3
		.amdhsa_dx10_clamp 1
		.amdhsa_ieee_mode 1
		.amdhsa_fp16_overflow 0
		.amdhsa_tg_split 0
		.amdhsa_exception_fp_ieee_invalid_op 0
		.amdhsa_exception_fp_denorm_src 0
		.amdhsa_exception_fp_ieee_div_zero 0
		.amdhsa_exception_fp_ieee_overflow 0
		.amdhsa_exception_fp_ieee_underflow 0
		.amdhsa_exception_fp_ieee_inexact 0
		.amdhsa_exception_int_div_zero 0
	.end_amdhsa_kernel
	.section	.text._ZN2at6native12_GLOBAL__N_118cuComputeGradInputIN3c104HalfEfLb1EEEvPKT_S7_llPKT0_SA_S7_PS5_,"axG",@progbits,_ZN2at6native12_GLOBAL__N_118cuComputeGradInputIN3c104HalfEfLb1EEEvPKT_S7_llPKT0_SA_S7_PS5_,comdat
.Lfunc_end162:
	.size	_ZN2at6native12_GLOBAL__N_118cuComputeGradInputIN3c104HalfEfLb1EEEvPKT_S7_llPKT0_SA_S7_PS5_, .Lfunc_end162-_ZN2at6native12_GLOBAL__N_118cuComputeGradInputIN3c104HalfEfLb1EEEvPKT_S7_llPKT0_SA_S7_PS5_
                                        ; -- End function
	.set _ZN2at6native12_GLOBAL__N_118cuComputeGradInputIN3c104HalfEfLb1EEEvPKT_S7_llPKT0_SA_S7_PS5_.num_vgpr, 28
	.set _ZN2at6native12_GLOBAL__N_118cuComputeGradInputIN3c104HalfEfLb1EEEvPKT_S7_llPKT0_SA_S7_PS5_.num_agpr, 0
	.set _ZN2at6native12_GLOBAL__N_118cuComputeGradInputIN3c104HalfEfLb1EEEvPKT_S7_llPKT0_SA_S7_PS5_.numbered_sgpr, 48
	.set _ZN2at6native12_GLOBAL__N_118cuComputeGradInputIN3c104HalfEfLb1EEEvPKT_S7_llPKT0_SA_S7_PS5_.num_named_barrier, 0
	.set _ZN2at6native12_GLOBAL__N_118cuComputeGradInputIN3c104HalfEfLb1EEEvPKT_S7_llPKT0_SA_S7_PS5_.private_seg_size, 0
	.set _ZN2at6native12_GLOBAL__N_118cuComputeGradInputIN3c104HalfEfLb1EEEvPKT_S7_llPKT0_SA_S7_PS5_.uses_vcc, 1
	.set _ZN2at6native12_GLOBAL__N_118cuComputeGradInputIN3c104HalfEfLb1EEEvPKT_S7_llPKT0_SA_S7_PS5_.uses_flat_scratch, 0
	.set _ZN2at6native12_GLOBAL__N_118cuComputeGradInputIN3c104HalfEfLb1EEEvPKT_S7_llPKT0_SA_S7_PS5_.has_dyn_sized_stack, 0
	.set _ZN2at6native12_GLOBAL__N_118cuComputeGradInputIN3c104HalfEfLb1EEEvPKT_S7_llPKT0_SA_S7_PS5_.has_recursion, 0
	.set _ZN2at6native12_GLOBAL__N_118cuComputeGradInputIN3c104HalfEfLb1EEEvPKT_S7_llPKT0_SA_S7_PS5_.has_indirect_call, 0
	.section	.AMDGPU.csdata,"",@progbits
; Kernel info:
; codeLenInByte = 1480
; TotalNumSgprs: 54
; NumVgprs: 28
; NumAgprs: 0
; TotalNumVgprs: 28
; ScratchSize: 0
; MemoryBound: 0
; FloatMode: 240
; IeeeMode: 1
; LDSByteSize: 0 bytes/workgroup (compile time only)
; SGPRBlocks: 6
; VGPRBlocks: 3
; NumSGPRsForWavesPerEU: 54
; NumVGPRsForWavesPerEU: 28
; AccumOffset: 28
; Occupancy: 8
; WaveLimiterHint : 0
; COMPUTE_PGM_RSRC2:SCRATCH_EN: 0
; COMPUTE_PGM_RSRC2:USER_SGPR: 2
; COMPUTE_PGM_RSRC2:TRAP_HANDLER: 0
; COMPUTE_PGM_RSRC2:TGID_X_EN: 1
; COMPUTE_PGM_RSRC2:TGID_Y_EN: 1
; COMPUTE_PGM_RSRC2:TGID_Z_EN: 0
; COMPUTE_PGM_RSRC2:TIDIG_COMP_CNT: 1
; COMPUTE_PGM_RSRC3_GFX90A:ACCUM_OFFSET: 6
; COMPUTE_PGM_RSRC3_GFX90A:TG_SPLIT: 0
	.section	.text._ZN2at6native12_GLOBAL__N_128layer_norm_grad_input_kernelIN3c104HalfEfLb1EEEvPKT_S7_PKT0_SA_S7_PS5_i,"axG",@progbits,_ZN2at6native12_GLOBAL__N_128layer_norm_grad_input_kernelIN3c104HalfEfLb1EEEvPKT_S7_PKT0_SA_S7_PS5_i,comdat
	.globl	_ZN2at6native12_GLOBAL__N_128layer_norm_grad_input_kernelIN3c104HalfEfLb1EEEvPKT_S7_PKT0_SA_S7_PS5_i ; -- Begin function _ZN2at6native12_GLOBAL__N_128layer_norm_grad_input_kernelIN3c104HalfEfLb1EEEvPKT_S7_PKT0_SA_S7_PS5_i
	.p2align	8
	.type	_ZN2at6native12_GLOBAL__N_128layer_norm_grad_input_kernelIN3c104HalfEfLb1EEEvPKT_S7_PKT0_SA_S7_PS5_i,@function
_ZN2at6native12_GLOBAL__N_128layer_norm_grad_input_kernelIN3c104HalfEfLb1EEEvPKT_S7_PKT0_SA_S7_PS5_i: ; @_ZN2at6native12_GLOBAL__N_128layer_norm_grad_input_kernelIN3c104HalfEfLb1EEEvPKT_S7_PKT0_SA_S7_PS5_i
; %bb.0:
	s_load_dword s24, s[0:1], 0x30
	s_load_dwordx4 s[8:11], s[0:1], 0x0
	s_load_dwordx4 s[4:7], s[0:1], 0x18
	s_mov_b32 s3, 0
	v_lshlrev_b32_e32 v2, 2, v0
	s_waitcnt lgkmcnt(0)
	s_ashr_i32 s12, s24, 31
	s_mul_hi_u32 s13, s24, s2
	s_mul_i32 s12, s12, s2
	s_add_i32 s17, s13, s12
	s_mul_i32 s16, s24, s2
	s_lshl_b64 s[2:3], s[2:3], 2
	s_add_u32 s2, s4, s2
	s_addc_u32 s3, s5, s3
	s_load_dword s25, s[2:3], 0x0
	s_lshl_b64 s[14:15], s[16:17], 1
	s_add_u32 s4, s10, s14
	s_addc_u32 s5, s11, s15
	s_add_u32 s12, s8, s14
	v_or_b32_e32 v1, 3, v2
	s_addc_u32 s13, s9, s15
	v_cmp_gt_u32_e32 vcc, s24, v1
	v_mov_b32_e32 v1, 0
	s_and_saveexec_b64 s[18:19], vcc
	s_cbranch_execz .LBB163_12
; %bb.1:
	s_load_dword s2, s[0:1], 0x44
	s_cmp_lg_u64 s[6:7], 0
	s_cselect_b64 s[22:23], -1, 0
	v_cndmask_b32_e64 v1, 0, 1, s[22:23]
	s_mov_b64 s[20:21], 0
	s_waitcnt lgkmcnt(0)
	s_and_b32 s2, s2, 0xffff
	v_mov_b32_e32 v3, 0
	s_lshl_b32 s26, s2, 2
	v_cmp_ne_u32_e64 s[2:3], 1, v1
	v_mov_b32_e32 v1, 0
	s_branch .LBB163_3
.LBB163_2:                              ;   in Loop: Header=BB163_3 Depth=1
	global_load_ushort v8, v[6:7], off offset:6
	global_load_ushort v9, v[4:5], off offset:6
	s_waitcnt vmcnt(6)
	v_cvt_f32_f16_e32 v5, v14
	v_cvt_f32_f16_e32 v4, v13
	s_waitcnt vmcnt(4)
	v_cvt_f32_f16_e32 v7, v17
	v_cvt_f32_f16_e32 v6, v16
	v_mul_f32_e32 v5, v11, v5
	s_waitcnt vmcnt(2)
	v_cvt_f32_f16_e32 v14, v19
	v_mul_f32_e32 v4, v5, v4
	v_cvt_f32_f16_e32 v13, v18
	v_mul_f32_e32 v7, v10, v7
	v_fmac_f32_e32 v1, s25, v4
	v_mul_f32_e32 v5, v7, v6
	v_add_u32_e32 v2, s26, v2
	v_mul_f32_e32 v10, v15, v14
	v_add_u32_e32 v16, 3, v2
	v_mul_f32_e32 v6, v10, v13
	v_fmac_f32_e32 v1, s25, v5
	v_cmp_le_u32_e32 vcc, s24, v16
	v_fmac_f32_e32 v1, s25, v6
	s_or_b64 s[20:21], vcc, s[20:21]
	s_waitcnt vmcnt(1)
	v_cvt_f32_f16_e32 v4, v8
	s_waitcnt vmcnt(0)
	v_cvt_f32_f16_e32 v7, v9
	v_mul_f32_e32 v4, v12, v4
	v_mul_f32_e32 v4, v4, v7
	v_fmac_f32_e32 v1, s25, v4
	s_andn2_b64 exec, exec, s[20:21]
	s_cbranch_execz .LBB163_11
.LBB163_3:                              ; =>This Inner Loop Header: Depth=1
	v_mov_b32_e32 v10, 1.0
	s_and_b64 vcc, exec, s[22:23]
	v_lshl_add_u64 v[8:9], v[2:3], 1, s[6:7]
	v_mov_b32_e32 v11, 1.0
	s_cbranch_vccz .LBB163_5
; %bb.4:                                ;   in Loop: Header=BB163_3 Depth=1
	global_load_ushort v4, v[8:9], off
	s_waitcnt vmcnt(0)
	v_cvt_f32_f16_e32 v11, v4
.LBB163_5:                              ;   in Loop: Header=BB163_3 Depth=1
	v_lshlrev_b64 v[6:7], 1, v[2:3]
	v_lshl_add_u64 v[4:5], s[4:5], 0, v[6:7]
	v_lshl_add_u64 v[6:7], s[12:13], 0, v[6:7]
	global_load_ushort v13, v[4:5], off
	global_load_ushort v14, v[6:7], off
	s_and_b64 vcc, exec, s[2:3]
	s_cbranch_vccnz .LBB163_7
; %bb.6:                                ;   in Loop: Header=BB163_3 Depth=1
	global_load_ushort v10, v[8:9], off offset:2
	s_waitcnt vmcnt(0)
	v_cvt_f32_f16_e32 v10, v10
.LBB163_7:                              ;   in Loop: Header=BB163_3 Depth=1
	global_load_ushort v16, v[4:5], off offset:2
	global_load_ushort v17, v[6:7], off offset:2
	v_mov_b32_e32 v12, 1.0
	s_and_b64 vcc, exec, s[2:3]
	v_mov_b32_e32 v15, 1.0
	s_cbranch_vccnz .LBB163_9
; %bb.8:                                ;   in Loop: Header=BB163_3 Depth=1
	global_load_ushort v15, v[8:9], off offset:4
	s_waitcnt vmcnt(0)
	v_cvt_f32_f16_e32 v15, v15
.LBB163_9:                              ;   in Loop: Header=BB163_3 Depth=1
	global_load_ushort v18, v[4:5], off offset:4
	global_load_ushort v19, v[6:7], off offset:4
	s_and_b64 vcc, exec, s[2:3]
	s_cbranch_vccnz .LBB163_2
; %bb.10:                               ;   in Loop: Header=BB163_3 Depth=1
	global_load_ushort v8, v[8:9], off offset:6
	s_waitcnt vmcnt(0)
	v_cvt_f32_f16_e32 v12, v8
	s_branch .LBB163_2
.LBB163_11:
	s_or_b64 exec, exec, s[20:21]
.LBB163_12:
	s_or_b64 exec, exec, s[18:19]
	v_cmp_gt_u32_e32 vcc, s24, v2
	s_and_saveexec_b64 s[18:19], vcc
	s_cbranch_execz .LBB163_19
; %bb.13:
	s_cmp_lg_u64 s[6:7], 0
	v_mov_b32_e32 v3, 0
	v_lshlrev_b64 v[6:7], 1, v[2:3]
	s_cselect_b64 s[2:3], -1, 0
	v_lshl_add_u64 v[8:9], s[16:17], 1, v[6:7]
	v_cndmask_b32_e64 v3, 0, 1, s[2:3]
	s_mov_b64 s[20:21], 0
	v_lshl_add_u64 v[4:5], s[6:7], 0, v[6:7]
	v_lshl_add_u64 v[6:7], s[10:11], 0, v[8:9]
	;; [unrolled: 1-line block ×3, first 2 shown]
	v_cmp_ne_u32_e64 s[2:3], 1, v3
	s_branch .LBB163_16
.LBB163_14:                             ;   in Loop: Header=BB163_16 Depth=1
	global_load_ushort v3, v[4:5], off
	s_waitcnt vmcnt(0)
	v_cvt_f32_f16_e32 v3, v3
.LBB163_15:                             ;   in Loop: Header=BB163_16 Depth=1
	global_load_ushort v10, v[8:9], off
	global_load_ushort v11, v[6:7], off
	v_add_u32_e32 v2, 1, v2
	v_cmp_le_u32_e32 vcc, s24, v2
	v_lshl_add_u64 v[4:5], v[4:5], 0, 2
	v_lshl_add_u64 v[6:7], v[6:7], 0, 2
	s_or_b64 s[20:21], vcc, s[20:21]
	v_lshl_add_u64 v[8:9], v[8:9], 0, 2
	s_waitcnt vmcnt(1)
	v_cvt_f32_f16_e32 v10, v10
	s_waitcnt vmcnt(0)
	v_cvt_f32_f16_e32 v11, v11
	v_mul_f32_e32 v3, v3, v10
	v_mul_f32_e32 v3, v3, v11
	s_waitcnt lgkmcnt(0)
	v_fmac_f32_e32 v1, s25, v3
	s_andn2_b64 exec, exec, s[20:21]
	s_cbranch_execz .LBB163_18
.LBB163_16:                             ; =>This Inner Loop Header: Depth=1
	s_and_b64 vcc, exec, s[2:3]
	s_cbranch_vccz .LBB163_14
; %bb.17:                               ;   in Loop: Header=BB163_16 Depth=1
	v_mov_b32_e32 v3, 1.0
	s_branch .LBB163_15
.LBB163_18:
	s_or_b64 exec, exec, s[20:21]
.LBB163_19:
	s_or_b64 exec, exec, s[18:19]
	v_mbcnt_lo_u32_b32 v2, -1, 0
	v_mbcnt_hi_u32_b32 v6, -1, v2
	v_mov_b32_e32 v2, 0x80
	v_lshl_or_b32 v2, v6, 2, v2
	ds_bpermute_b32 v3, v2, v1
	v_and_b32_e32 v8, 63, v6
	v_cmp_gt_u32_e32 vcc, 48, v8
	s_waitcnt lgkmcnt(0)
	s_barrier
	v_cndmask_b32_e64 v4, 0, 16, vcc
	v_add_f32_e32 v5, v1, v3
	v_add_lshl_u32 v1, v4, v6, 2
	ds_bpermute_b32 v4, v1, v5
	v_cmp_gt_u32_e32 vcc, 56, v8
	s_waitcnt lgkmcnt(0)
	v_add_f32_e32 v5, v5, v4
	v_cndmask_b32_e64 v3, 0, 8, vcc
	v_add_lshl_u32 v3, v3, v6, 2
	ds_bpermute_b32 v7, v3, v5
	v_cmp_gt_u32_e32 vcc, 60, v8
	s_waitcnt lgkmcnt(0)
	v_add_f32_e32 v7, v5, v7
	v_cndmask_b32_e64 v4, 0, 4, vcc
	;; [unrolled: 6-line block ×3, first 2 shown]
	v_add_lshl_u32 v5, v5, v6, 2
	ds_bpermute_b32 v10, v5, v9
	v_cmp_ne_u32_e32 vcc, 63, v8
	v_and_b32_e32 v7, 63, v0
	s_waitcnt lgkmcnt(0)
	v_add_f32_e32 v8, v9, v10
	v_addc_co_u32_e32 v6, vcc, 0, v6, vcc
	v_lshlrev_b32_e32 v6, 2, v6
	ds_bpermute_b32 v9, v6, v8
	v_cmp_eq_u32_e32 vcc, 0, v7
	s_and_saveexec_b64 s[2:3], vcc
	s_cbranch_execz .LBB163_21
; %bb.20:
	v_lshrrev_b32_e32 v10, 4, v0
	v_add_u32_e32 v10, 0, v10
	s_waitcnt lgkmcnt(0)
	v_add_f32_e32 v8, v8, v9
	ds_write_b32 v10, v8
.LBB163_21:
	s_or_b64 exec, exec, s[2:3]
	s_waitcnt lgkmcnt(0)
	s_barrier
	s_load_dword s8, s[0:1], 0x44
	v_mov_b32_e32 v8, 0
	s_waitcnt lgkmcnt(0)
	s_bfe_u32 s2, s8, 0xa0006
	v_cmp_gt_u32_e32 vcc, s2, v0
	s_and_saveexec_b64 s[2:3], vcc
	s_cbranch_execnz .LBB163_32
; %bb.22:
	s_or_b64 exec, exec, s[2:3]
	v_cmp_gt_u32_e32 vcc, 64, v0
	s_and_saveexec_b64 s[2:3], vcc
	s_cbranch_execnz .LBB163_33
.LBB163_23:
	s_or_b64 exec, exec, s[2:3]
	v_cmp_eq_u32_e32 vcc, 0, v0
	s_and_saveexec_b64 s[2:3], vcc
	s_cbranch_execz .LBB163_25
.LBB163_24:
	v_mov_b32_e32 v1, 0
	s_waitcnt lgkmcnt(0)
	ds_write_b32 v1, v8 offset:4
.LBB163_25:
	s_or_b64 exec, exec, s[2:3]
	v_cmp_gt_i32_e32 vcc, s24, v0
	s_waitcnt lgkmcnt(0)
	s_barrier
	s_and_saveexec_b64 s[2:3], vcc
	s_cbranch_execz .LBB163_31
; %bb.26:
	v_cvt_f32_i32_e32 v2, s24
	s_load_dwordx2 s[0:1], s[0:1], 0x28
	s_and_b32 s10, 0xffff, s8
	s_mov_b64 s[8:9], 0
	v_div_scale_f32 v1, s[2:3], v2, v2, 1.0
	v_rcp_f32_e32 v3, v1
	v_div_scale_f32 v4, vcc, 1.0, v2, 1.0
	s_waitcnt lgkmcnt(0)
	s_add_u32 s2, s0, s14
	v_fma_f32 v5, -v1, v3, 1.0
	v_fmac_f32_e32 v3, v5, v3
	v_mul_f32_e32 v5, v4, v3
	v_fma_f32 v6, -v1, v5, v4
	v_fmac_f32_e32 v5, v6, v3
	v_fma_f32 v1, -v1, v5, v4
	v_div_fmas_f32 v1, v1, v3, v5
	v_div_fixup_f32 v1, v1, v2, 1.0
	v_mul_f32_e32 v8, s25, v1
	v_mov_b32_e32 v1, 0
	s_addc_u32 s3, s1, s15
	ds_read_b32 v5, v1 offset:4
	s_cmp_lg_u64 s[6:7], 0
	s_cselect_b64 s[0:1], -1, 0
	v_cndmask_b32_e64 v1, 0, 1, s[0:1]
	v_cmp_ne_u32_e64 s[0:1], 1, v1
	s_branch .LBB163_29
.LBB163_27:                             ;   in Loop: Header=BB163_29 Depth=1
	v_lshl_add_u64 v[6:7], v[0:1], 1, s[6:7]
	global_load_ushort v6, v[6:7], off
	s_waitcnt vmcnt(0)
	v_cvt_f32_f16_e32 v6, v6
.LBB163_28:                             ;   in Loop: Header=BB163_29 Depth=1
	s_waitcnt vmcnt(1)
	v_cvt_f32_f16_e32 v3, v3
	s_waitcnt vmcnt(0)
	v_cvt_f32_f16_e32 v4, v4
	v_mov_b32_e32 v7, s25
	v_lshl_add_u64 v[10:11], v[0:1], 1, s[2:3]
	v_pk_mul_f32 v[6:7], v[6:7], v[2:3]
	v_add_u32_e32 v0, s10, v0
	s_waitcnt lgkmcnt(0)
	v_pk_mul_f32 v[6:7], v[6:7], v[4:5]
	v_cmp_le_i32_e32 vcc, s24, v0
	v_sub_f32_e32 v1, v6, v7
	v_fma_mixlo_f16 v1, v8, v1, 0
	s_or_b64 s[8:9], vcc, s[8:9]
	global_store_short v[10:11], v1, off
	s_andn2_b64 exec, exec, s[8:9]
	s_cbranch_execz .LBB163_31
.LBB163_29:                             ; =>This Inner Loop Header: Depth=1
	v_ashrrev_i32_e32 v1, 31, v0
	v_lshlrev_b64 v[6:7], 1, v[0:1]
	v_lshl_add_u64 v[10:11], s[4:5], 0, v[6:7]
	v_lshl_add_u64 v[6:7], s[12:13], 0, v[6:7]
	global_load_ushort v3, v[10:11], off
	global_load_ushort v4, v[6:7], off
	s_and_b64 vcc, exec, s[0:1]
	s_cbranch_vccz .LBB163_27
; %bb.30:                               ;   in Loop: Header=BB163_29 Depth=1
	v_mov_b32_e32 v6, 1.0
	s_branch .LBB163_28
.LBB163_31:
	s_endpgm
.LBB163_32:
	v_lshl_add_u32 v7, v7, 2, 0
	ds_read_b32 v8, v7
	s_or_b64 exec, exec, s[2:3]
	v_cmp_gt_u32_e32 vcc, 64, v0
	s_and_saveexec_b64 s[2:3], vcc
	s_cbranch_execz .LBB163_23
.LBB163_33:
	s_waitcnt lgkmcnt(0)
	ds_bpermute_b32 v2, v2, v8
	s_waitcnt lgkmcnt(0)
	v_add_f32_e32 v2, v8, v2
	ds_bpermute_b32 v1, v1, v2
	s_waitcnt lgkmcnt(0)
	v_add_f32_e32 v1, v2, v1
	;; [unrolled: 3-line block ×6, first 2 shown]
	s_or_b64 exec, exec, s[2:3]
	v_cmp_eq_u32_e32 vcc, 0, v0
	s_and_saveexec_b64 s[2:3], vcc
	s_cbranch_execnz .LBB163_24
	s_branch .LBB163_25
	.section	.rodata,"a",@progbits
	.p2align	6, 0x0
	.amdhsa_kernel _ZN2at6native12_GLOBAL__N_128layer_norm_grad_input_kernelIN3c104HalfEfLb1EEEvPKT_S7_PKT0_SA_S7_PS5_i
		.amdhsa_group_segment_fixed_size 0
		.amdhsa_private_segment_fixed_size 0
		.amdhsa_kernarg_size 312
		.amdhsa_user_sgpr_count 2
		.amdhsa_user_sgpr_dispatch_ptr 0
		.amdhsa_user_sgpr_queue_ptr 0
		.amdhsa_user_sgpr_kernarg_segment_ptr 1
		.amdhsa_user_sgpr_dispatch_id 0
		.amdhsa_user_sgpr_kernarg_preload_length 0
		.amdhsa_user_sgpr_kernarg_preload_offset 0
		.amdhsa_user_sgpr_private_segment_size 0
		.amdhsa_uses_dynamic_stack 0
		.amdhsa_enable_private_segment 0
		.amdhsa_system_sgpr_workgroup_id_x 1
		.amdhsa_system_sgpr_workgroup_id_y 0
		.amdhsa_system_sgpr_workgroup_id_z 0
		.amdhsa_system_sgpr_workgroup_info 0
		.amdhsa_system_vgpr_workitem_id 0
		.amdhsa_next_free_vgpr 20
		.amdhsa_next_free_sgpr 27
		.amdhsa_accum_offset 20
		.amdhsa_reserve_vcc 1
		.amdhsa_float_round_mode_32 0
		.amdhsa_float_round_mode_16_64 0
		.amdhsa_float_denorm_mode_32 3
		.amdhsa_float_denorm_mode_16_64 3
		.amdhsa_dx10_clamp 1
		.amdhsa_ieee_mode 1
		.amdhsa_fp16_overflow 0
		.amdhsa_tg_split 0
		.amdhsa_exception_fp_ieee_invalid_op 0
		.amdhsa_exception_fp_denorm_src 0
		.amdhsa_exception_fp_ieee_div_zero 0
		.amdhsa_exception_fp_ieee_overflow 0
		.amdhsa_exception_fp_ieee_underflow 0
		.amdhsa_exception_fp_ieee_inexact 0
		.amdhsa_exception_int_div_zero 0
	.end_amdhsa_kernel
	.section	.text._ZN2at6native12_GLOBAL__N_128layer_norm_grad_input_kernelIN3c104HalfEfLb1EEEvPKT_S7_PKT0_SA_S7_PS5_i,"axG",@progbits,_ZN2at6native12_GLOBAL__N_128layer_norm_grad_input_kernelIN3c104HalfEfLb1EEEvPKT_S7_PKT0_SA_S7_PS5_i,comdat
.Lfunc_end163:
	.size	_ZN2at6native12_GLOBAL__N_128layer_norm_grad_input_kernelIN3c104HalfEfLb1EEEvPKT_S7_PKT0_SA_S7_PS5_i, .Lfunc_end163-_ZN2at6native12_GLOBAL__N_128layer_norm_grad_input_kernelIN3c104HalfEfLb1EEEvPKT_S7_PKT0_SA_S7_PS5_i
                                        ; -- End function
	.set _ZN2at6native12_GLOBAL__N_128layer_norm_grad_input_kernelIN3c104HalfEfLb1EEEvPKT_S7_PKT0_SA_S7_PS5_i.num_vgpr, 20
	.set _ZN2at6native12_GLOBAL__N_128layer_norm_grad_input_kernelIN3c104HalfEfLb1EEEvPKT_S7_PKT0_SA_S7_PS5_i.num_agpr, 0
	.set _ZN2at6native12_GLOBAL__N_128layer_norm_grad_input_kernelIN3c104HalfEfLb1EEEvPKT_S7_PKT0_SA_S7_PS5_i.numbered_sgpr, 27
	.set _ZN2at6native12_GLOBAL__N_128layer_norm_grad_input_kernelIN3c104HalfEfLb1EEEvPKT_S7_PKT0_SA_S7_PS5_i.num_named_barrier, 0
	.set _ZN2at6native12_GLOBAL__N_128layer_norm_grad_input_kernelIN3c104HalfEfLb1EEEvPKT_S7_PKT0_SA_S7_PS5_i.private_seg_size, 0
	.set _ZN2at6native12_GLOBAL__N_128layer_norm_grad_input_kernelIN3c104HalfEfLb1EEEvPKT_S7_PKT0_SA_S7_PS5_i.uses_vcc, 1
	.set _ZN2at6native12_GLOBAL__N_128layer_norm_grad_input_kernelIN3c104HalfEfLb1EEEvPKT_S7_PKT0_SA_S7_PS5_i.uses_flat_scratch, 0
	.set _ZN2at6native12_GLOBAL__N_128layer_norm_grad_input_kernelIN3c104HalfEfLb1EEEvPKT_S7_PKT0_SA_S7_PS5_i.has_dyn_sized_stack, 0
	.set _ZN2at6native12_GLOBAL__N_128layer_norm_grad_input_kernelIN3c104HalfEfLb1EEEvPKT_S7_PKT0_SA_S7_PS5_i.has_recursion, 0
	.set _ZN2at6native12_GLOBAL__N_128layer_norm_grad_input_kernelIN3c104HalfEfLb1EEEvPKT_S7_PKT0_SA_S7_PS5_i.has_indirect_call, 0
	.section	.AMDGPU.csdata,"",@progbits
; Kernel info:
; codeLenInByte = 1604
; TotalNumSgprs: 33
; NumVgprs: 20
; NumAgprs: 0
; TotalNumVgprs: 20
; ScratchSize: 0
; MemoryBound: 0
; FloatMode: 240
; IeeeMode: 1
; LDSByteSize: 0 bytes/workgroup (compile time only)
; SGPRBlocks: 4
; VGPRBlocks: 2
; NumSGPRsForWavesPerEU: 33
; NumVGPRsForWavesPerEU: 20
; AccumOffset: 20
; Occupancy: 8
; WaveLimiterHint : 0
; COMPUTE_PGM_RSRC2:SCRATCH_EN: 0
; COMPUTE_PGM_RSRC2:USER_SGPR: 2
; COMPUTE_PGM_RSRC2:TRAP_HANDLER: 0
; COMPUTE_PGM_RSRC2:TGID_X_EN: 1
; COMPUTE_PGM_RSRC2:TGID_Y_EN: 0
; COMPUTE_PGM_RSRC2:TGID_Z_EN: 0
; COMPUTE_PGM_RSRC2:TIDIG_COMP_CNT: 0
; COMPUTE_PGM_RSRC3_GFX90A:ACCUM_OFFSET: 4
; COMPUTE_PGM_RSRC3_GFX90A:TG_SPLIT: 0
	.section	.text._ZN2at6native12_GLOBAL__N_133GammaBetaBackwardSimpleCUDAKernelIN3c104HalfEfLb1EEEvllPKT_S7_PKT0_SA_PS5_SB_,"axG",@progbits,_ZN2at6native12_GLOBAL__N_133GammaBetaBackwardSimpleCUDAKernelIN3c104HalfEfLb1EEEvllPKT_S7_PKT0_SA_PS5_SB_,comdat
	.globl	_ZN2at6native12_GLOBAL__N_133GammaBetaBackwardSimpleCUDAKernelIN3c104HalfEfLb1EEEvllPKT_S7_PKT0_SA_PS5_SB_ ; -- Begin function _ZN2at6native12_GLOBAL__N_133GammaBetaBackwardSimpleCUDAKernelIN3c104HalfEfLb1EEEvllPKT_S7_PKT0_SA_PS5_SB_
	.p2align	8
	.type	_ZN2at6native12_GLOBAL__N_133GammaBetaBackwardSimpleCUDAKernelIN3c104HalfEfLb1EEEvllPKT_S7_PKT0_SA_PS5_SB_,@function
_ZN2at6native12_GLOBAL__N_133GammaBetaBackwardSimpleCUDAKernelIN3c104HalfEfLb1EEEvllPKT_S7_PKT0_SA_PS5_SB_: ; @_ZN2at6native12_GLOBAL__N_133GammaBetaBackwardSimpleCUDAKernelIN3c104HalfEfLb1EEEvllPKT_S7_PKT0_SA_PS5_SB_
; %bb.0:
	s_load_dword s3, s[0:1], 0x4c
	s_load_dwordx8 s[4:11], s[0:1], 0x0
	v_mov_b32_e32 v1, 0
	v_mov_b32_e32 v2, s2
	s_waitcnt lgkmcnt(0)
	s_and_b32 s3, s3, 0xffff
	v_mad_u64_u32 v[2:3], s[2:3], s3, v2, v[0:1]
	v_cmp_gt_i64_e32 vcc, s[6:7], v[2:3]
	s_and_saveexec_b64 s[2:3], vcc
	s_cbranch_execz .LBB164_9
; %bb.1:
	s_load_dwordx4 s[12:15], s[0:1], 0x28
	v_cmp_lt_i64_e64 s[0:1], s[4:5], 1
	s_and_b64 vcc, exec, s[0:1]
	s_cbranch_vccnz .LBB164_7
; %bb.2:
	s_waitcnt lgkmcnt(0)
	s_cmp_lg_u64 s[14:15], 0
	s_cselect_b64 s[0:1], -1, 0
	v_cndmask_b32_e64 v5, 0, 1, s[0:1]
	v_lshlrev_b64 v[0:1], 1, v[2:3]
	s_lshl_b64 s[2:3], s[6:7], 1
	v_mov_b32_e32 v4, 0
	v_cmp_ne_u32_e64 s[0:1], 1, v5
	s_branch .LBB164_4
.LBB164_3:                              ;   in Loop: Header=BB164_4 Depth=1
	s_add_u32 s4, s4, -1
	s_addc_u32 s5, s5, -1
	s_add_u32 s12, s12, 4
	s_addc_u32 s13, s13, 0
	v_add_f32_e32 v4, v4, v5
	s_cmp_eq_u64 s[4:5], 0
	v_lshl_add_u64 v[0:1], v[0:1], 0, s[2:3]
	s_cbranch_scc1 .LBB164_6
.LBB164_4:                              ; =>This Inner Loop Header: Depth=1
	s_and_b64 vcc, exec, s[0:1]
	v_mov_b32_e32 v5, 0
	s_cbranch_vccnz .LBB164_3
; %bb.5:                                ;   in Loop: Header=BB164_4 Depth=1
	v_lshl_add_u64 v[6:7], s[8:9], 0, v[0:1]
	global_load_ushort v5, v[6:7], off
	v_lshl_add_u64 v[6:7], s[10:11], 0, v[0:1]
	global_load_ushort v6, v[6:7], off
	s_load_dword s6, s[12:13], 0x0
	s_waitcnt vmcnt(1)
	v_cvt_f32_f16_e32 v5, v5
	s_waitcnt vmcnt(0)
	v_cvt_f32_f16_e32 v6, v6
	v_mul_f32_e32 v5, v5, v6
	s_waitcnt lgkmcnt(0)
	v_mul_f32_e32 v5, s6, v5
	s_branch .LBB164_3
.LBB164_6:
	v_cvt_f16_f32_e32 v1, v4
.LBB164_7:
	s_waitcnt lgkmcnt(0)
	s_cmp_lg_u64 s[14:15], 0
	s_cbranch_scc0 .LBB164_9
; %bb.8:
	v_lshl_add_u64 v[2:3], v[2:3], 1, s[14:15]
	global_store_short v[2:3], v1, off
.LBB164_9:
	s_endpgm
	.section	.rodata,"a",@progbits
	.p2align	6, 0x0
	.amdhsa_kernel _ZN2at6native12_GLOBAL__N_133GammaBetaBackwardSimpleCUDAKernelIN3c104HalfEfLb1EEEvllPKT_S7_PKT0_SA_PS5_SB_
		.amdhsa_group_segment_fixed_size 0
		.amdhsa_private_segment_fixed_size 0
		.amdhsa_kernarg_size 320
		.amdhsa_user_sgpr_count 2
		.amdhsa_user_sgpr_dispatch_ptr 0
		.amdhsa_user_sgpr_queue_ptr 0
		.amdhsa_user_sgpr_kernarg_segment_ptr 1
		.amdhsa_user_sgpr_dispatch_id 0
		.amdhsa_user_sgpr_kernarg_preload_length 0
		.amdhsa_user_sgpr_kernarg_preload_offset 0
		.amdhsa_user_sgpr_private_segment_size 0
		.amdhsa_uses_dynamic_stack 0
		.amdhsa_enable_private_segment 0
		.amdhsa_system_sgpr_workgroup_id_x 1
		.amdhsa_system_sgpr_workgroup_id_y 0
		.amdhsa_system_sgpr_workgroup_id_z 0
		.amdhsa_system_sgpr_workgroup_info 0
		.amdhsa_system_vgpr_workitem_id 0
		.amdhsa_next_free_vgpr 8
		.amdhsa_next_free_sgpr 16
		.amdhsa_accum_offset 8
		.amdhsa_reserve_vcc 1
		.amdhsa_float_round_mode_32 0
		.amdhsa_float_round_mode_16_64 0
		.amdhsa_float_denorm_mode_32 3
		.amdhsa_float_denorm_mode_16_64 3
		.amdhsa_dx10_clamp 1
		.amdhsa_ieee_mode 1
		.amdhsa_fp16_overflow 0
		.amdhsa_tg_split 0
		.amdhsa_exception_fp_ieee_invalid_op 0
		.amdhsa_exception_fp_denorm_src 0
		.amdhsa_exception_fp_ieee_div_zero 0
		.amdhsa_exception_fp_ieee_overflow 0
		.amdhsa_exception_fp_ieee_underflow 0
		.amdhsa_exception_fp_ieee_inexact 0
		.amdhsa_exception_int_div_zero 0
	.end_amdhsa_kernel
	.section	.text._ZN2at6native12_GLOBAL__N_133GammaBetaBackwardSimpleCUDAKernelIN3c104HalfEfLb1EEEvllPKT_S7_PKT0_SA_PS5_SB_,"axG",@progbits,_ZN2at6native12_GLOBAL__N_133GammaBetaBackwardSimpleCUDAKernelIN3c104HalfEfLb1EEEvllPKT_S7_PKT0_SA_PS5_SB_,comdat
.Lfunc_end164:
	.size	_ZN2at6native12_GLOBAL__N_133GammaBetaBackwardSimpleCUDAKernelIN3c104HalfEfLb1EEEvllPKT_S7_PKT0_SA_PS5_SB_, .Lfunc_end164-_ZN2at6native12_GLOBAL__N_133GammaBetaBackwardSimpleCUDAKernelIN3c104HalfEfLb1EEEvllPKT_S7_PKT0_SA_PS5_SB_
                                        ; -- End function
	.set _ZN2at6native12_GLOBAL__N_133GammaBetaBackwardSimpleCUDAKernelIN3c104HalfEfLb1EEEvllPKT_S7_PKT0_SA_PS5_SB_.num_vgpr, 8
	.set _ZN2at6native12_GLOBAL__N_133GammaBetaBackwardSimpleCUDAKernelIN3c104HalfEfLb1EEEvllPKT_S7_PKT0_SA_PS5_SB_.num_agpr, 0
	.set _ZN2at6native12_GLOBAL__N_133GammaBetaBackwardSimpleCUDAKernelIN3c104HalfEfLb1EEEvllPKT_S7_PKT0_SA_PS5_SB_.numbered_sgpr, 16
	.set _ZN2at6native12_GLOBAL__N_133GammaBetaBackwardSimpleCUDAKernelIN3c104HalfEfLb1EEEvllPKT_S7_PKT0_SA_PS5_SB_.num_named_barrier, 0
	.set _ZN2at6native12_GLOBAL__N_133GammaBetaBackwardSimpleCUDAKernelIN3c104HalfEfLb1EEEvllPKT_S7_PKT0_SA_PS5_SB_.private_seg_size, 0
	.set _ZN2at6native12_GLOBAL__N_133GammaBetaBackwardSimpleCUDAKernelIN3c104HalfEfLb1EEEvllPKT_S7_PKT0_SA_PS5_SB_.uses_vcc, 1
	.set _ZN2at6native12_GLOBAL__N_133GammaBetaBackwardSimpleCUDAKernelIN3c104HalfEfLb1EEEvllPKT_S7_PKT0_SA_PS5_SB_.uses_flat_scratch, 0
	.set _ZN2at6native12_GLOBAL__N_133GammaBetaBackwardSimpleCUDAKernelIN3c104HalfEfLb1EEEvllPKT_S7_PKT0_SA_PS5_SB_.has_dyn_sized_stack, 0
	.set _ZN2at6native12_GLOBAL__N_133GammaBetaBackwardSimpleCUDAKernelIN3c104HalfEfLb1EEEvllPKT_S7_PKT0_SA_PS5_SB_.has_recursion, 0
	.set _ZN2at6native12_GLOBAL__N_133GammaBetaBackwardSimpleCUDAKernelIN3c104HalfEfLb1EEEvllPKT_S7_PKT0_SA_PS5_SB_.has_indirect_call, 0
	.section	.AMDGPU.csdata,"",@progbits
; Kernel info:
; codeLenInByte = 284
; TotalNumSgprs: 22
; NumVgprs: 8
; NumAgprs: 0
; TotalNumVgprs: 8
; ScratchSize: 0
; MemoryBound: 0
; FloatMode: 240
; IeeeMode: 1
; LDSByteSize: 0 bytes/workgroup (compile time only)
; SGPRBlocks: 2
; VGPRBlocks: 0
; NumSGPRsForWavesPerEU: 22
; NumVGPRsForWavesPerEU: 8
; AccumOffset: 8
; Occupancy: 8
; WaveLimiterHint : 0
; COMPUTE_PGM_RSRC2:SCRATCH_EN: 0
; COMPUTE_PGM_RSRC2:USER_SGPR: 2
; COMPUTE_PGM_RSRC2:TRAP_HANDLER: 0
; COMPUTE_PGM_RSRC2:TGID_X_EN: 1
; COMPUTE_PGM_RSRC2:TGID_Y_EN: 0
; COMPUTE_PGM_RSRC2:TGID_Z_EN: 0
; COMPUTE_PGM_RSRC2:TIDIG_COMP_CNT: 0
; COMPUTE_PGM_RSRC3_GFX90A:ACCUM_OFFSET: 1
; COMPUTE_PGM_RSRC3_GFX90A:TG_SPLIT: 0
	.section	.text._ZN2at6native12_GLOBAL__N_135GammaBetaBackwardCUDAKernelTemplateIN3c104HalfEfLj64ELj1ELj32ELb1ELb1ELb1EEEvllPKT_S7_PKT0_SA_PS5_SB_,"axG",@progbits,_ZN2at6native12_GLOBAL__N_135GammaBetaBackwardCUDAKernelTemplateIN3c104HalfEfLj64ELj1ELj32ELb1ELb1ELb1EEEvllPKT_S7_PKT0_SA_PS5_SB_,comdat
	.globl	_ZN2at6native12_GLOBAL__N_135GammaBetaBackwardCUDAKernelTemplateIN3c104HalfEfLj64ELj1ELj32ELb1ELb1ELb1EEEvllPKT_S7_PKT0_SA_PS5_SB_ ; -- Begin function _ZN2at6native12_GLOBAL__N_135GammaBetaBackwardCUDAKernelTemplateIN3c104HalfEfLj64ELj1ELj32ELb1ELb1ELb1EEEvllPKT_S7_PKT0_SA_PS5_SB_
	.p2align	8
	.type	_ZN2at6native12_GLOBAL__N_135GammaBetaBackwardCUDAKernelTemplateIN3c104HalfEfLj64ELj1ELj32ELb1ELb1ELb1EEEvllPKT_S7_PKT0_SA_PS5_SB_,@function
_ZN2at6native12_GLOBAL__N_135GammaBetaBackwardCUDAKernelTemplateIN3c104HalfEfLj64ELj1ELj32ELb1ELb1ELb1EEEvllPKT_S7_PKT0_SA_PS5_SB_: ; @_ZN2at6native12_GLOBAL__N_135GammaBetaBackwardCUDAKernelTemplateIN3c104HalfEfLj64ELj1ELj32ELb1ELb1ELb1EEEvllPKT_S7_PKT0_SA_PS5_SB_
; %bb.0:
	s_load_dwordx4 s[8:11], s[0:1], 0x0
	s_load_dwordx2 s[16:17], s[0:1], 0x30
	s_lshl_b32 s18, s3, 5
	s_mov_b32 s19, 0
	v_mov_b64_e32 v[2:3], s[18:19]
	s_waitcnt lgkmcnt(0)
	v_cmp_le_i64_e32 vcc, s[8:9], v[2:3]
	s_mov_b32 s6, s3
	v_mov_b32_e32 v1, 0
	v_bfe_u32 v2, v0, 10, 10
	s_cbranch_vccnz .LBB165_8
; %bb.1:
	s_load_dword s3, s[0:1], 0x4c
	s_load_dword s7, s[0:1], 0x44
	s_load_dwordx4 s[12:15], s[0:1], 0x10
	s_load_dwordx2 s[22:23], s[0:1], 0x28
	v_and_b32_e32 v1, 0x3ff, v0
	s_waitcnt lgkmcnt(0)
	s_and_b32 s3, s3, 0xffff
	v_mad_u32_u24 v3, v2, s3, v1
	v_lshlrev_b32_e32 v12, 5, v2
	v_mov_b32_e32 v13, 0
	v_lshl_or_b32 v8, s2, 6, v1
	v_mbcnt_lo_u32_b32 v1, -1, 0
	v_and_b32_e32 v4, 63, v3
	v_mov_b32_e32 v5, v13
	v_mbcnt_hi_u32_b32 v1, -1, v1
	s_lshl_b32 s20, s7, 5
	v_lshl_add_u64 v[10:11], v[12:13], 0, s[18:19]
	v_cmp_gt_u32_e64 s[4:5], 32, v4
	v_mov_b32_e32 v9, v13
	v_lshlrev_b32_e32 v1, 2, v1
	v_lshl_add_u64 v[4:5], v[10:11], 0, v[4:5]
	v_mul_lo_u32 v12, s11, v10
	v_mul_lo_u32 v44, s10, v11
	v_mad_u64_u32 v[10:11], s[24:25], s10, v10, 0
	s_mul_i32 s3, s11, s20
	s_mul_hi_u32 s7, s10, s20
	v_and_b32_e32 v1, 0x100, v1
	s_mov_b32 s21, s19
	v_add3_u32 v11, v11, v44, v12
	v_lshlrev_b64 v[8:9], 1, v[8:9]
	s_add_i32 s25, s7, s3
	s_mul_i32 s24, s10, s20
	v_or_b32_e32 v3, 4, v1
	v_or_b32_e32 v14, 8, v1
	;; [unrolled: 1-line block ×31, first 2 shown]
	v_lshl_add_u64 v[6:7], v[4:5], 2, s[22:23]
	s_lshl_b64 s[22:23], s[20:21], 2
	v_lshl_add_u64 v[8:9], v[10:11], 1, v[8:9]
	s_lshl_b64 s[24:25], s[24:25], 1
	s_lshl_b64 s[26:27], s[10:11], 1
	v_mov_b64_e32 v[10:11], s[8:9]
	s_branch .LBB165_4
.LBB165_2:                              ;   in Loop: Header=BB165_4 Depth=1
	s_or_b64 exec, exec, s[30:31]
.LBB165_3:                              ;   in Loop: Header=BB165_4 Depth=1
	s_or_b64 exec, exec, s[28:29]
	v_lshl_add_u64 v[44:45], s[12:13], 0, v[8:9]
	v_lshl_add_u64 v[46:47], s[14:15], 0, v[8:9]
	global_load_ushort v48, v[44:45], off
	global_load_ushort v49, v[46:47], off
	v_lshl_add_u64 v[44:45], v[44:45], 0, s[26:27]
	v_lshl_add_u64 v[46:47], v[46:47], 0, s[26:27]
	global_load_ushort v50, v[44:45], off
	global_load_ushort v51, v[46:47], off
	;; [unrolled: 4-line block ×6, first 2 shown]
	s_waitcnt vmcnt(12)
	ds_bpermute_b32 v60, v1, v12
	v_lshl_add_u64 v[44:45], v[44:45], 0, s[26:27]
	v_lshl_add_u64 v[46:47], v[46:47], 0, s[26:27]
	s_add_u32 s18, s18, s20
	s_addc_u32 s19, s19, 0
	v_cmp_lt_i64_e32 vcc, s[18:19], v[10:11]
	v_lshl_add_u64 v[6:7], v[6:7], 0, s[22:23]
	v_lshl_add_u64 v[4:5], v[4:5], 0, s[20:21]
	v_lshl_add_u64 v[8:9], v[8:9], 0, s[24:25]
	s_and_b64 vcc, exec, vcc
	s_waitcnt vmcnt(11)
	v_cvt_f32_f16_e32 v48, v48
	s_waitcnt vmcnt(10)
	v_cvt_f32_f16_e32 v49, v49
	;; [unrolled: 2-line block ×4, first 2 shown]
	v_mul_f32_e32 v48, v48, v49
	ds_bpermute_b32 v49, v3, v12
	s_waitcnt lgkmcnt(1)
	v_fmac_f32_e32 v13, v48, v60
	v_mul_f32_e32 v50, v50, v51
	global_load_ushort v51, v[44:45], off
	v_lshl_add_u64 v[44:45], v[44:45], 0, s[26:27]
	s_waitcnt lgkmcnt(0)
	v_fmac_f32_e32 v13, v50, v49
	global_load_ushort v49, v[46:47], off
	s_waitcnt vmcnt(9)
	v_cvt_f32_f16_e32 v50, v52
	s_waitcnt vmcnt(8)
	v_cvt_f32_f16_e32 v52, v53
	v_lshl_add_u64 v[46:47], v[46:47], 0, s[26:27]
	ds_bpermute_b32 v48, v14, v12
	global_load_ushort v53, v[44:45], off
	v_mul_f32_e32 v50, v50, v52
	global_load_ushort v52, v[46:47], off
	v_lshl_add_u64 v[44:45], v[44:45], 0, s[26:27]
	v_lshl_add_u64 v[46:47], v[46:47], 0, s[26:27]
	ds_bpermute_b32 v60, v15, v12
	s_waitcnt lgkmcnt(1)
	v_fmac_f32_e32 v13, v50, v48
	global_load_ushort v48, v[44:45], off
	s_waitcnt vmcnt(10)
	v_cvt_f32_f16_e32 v50, v54
	s_waitcnt vmcnt(9)
	v_cvt_f32_f16_e32 v54, v55
	global_load_ushort v55, v[46:47], off
	v_lshl_add_u64 v[44:45], v[44:45], 0, s[26:27]
	v_lshl_add_u64 v[46:47], v[46:47], 0, s[26:27]
	v_mul_f32_e32 v50, v50, v54
	global_load_ushort v54, v[44:45], off
	s_waitcnt lgkmcnt(0)
	v_fmac_f32_e32 v13, v50, v60
	global_load_ushort v50, v[46:47], off
	s_waitcnt vmcnt(11)
	v_cvt_f32_f16_e32 v56, v56
	s_waitcnt vmcnt(10)
	v_cvt_f32_f16_e32 v57, v57
	ds_bpermute_b32 v60, v16, v12
	v_lshl_add_u64 v[44:45], v[44:45], 0, s[26:27]
	v_lshl_add_u64 v[46:47], v[46:47], 0, s[26:27]
	v_mul_f32_e32 v56, v56, v57
	ds_bpermute_b32 v57, v17, v12
	s_waitcnt lgkmcnt(1)
	v_fmac_f32_e32 v13, v56, v60
	global_load_ushort v56, v[44:45], off
	s_waitcnt vmcnt(10)
	v_cvt_f32_f16_e32 v58, v58
	s_waitcnt vmcnt(9)
	v_cvt_f32_f16_e32 v59, v59
	global_load_ushort v60, v[46:47], off
	v_lshl_add_u64 v[44:45], v[44:45], 0, s[26:27]
	v_lshl_add_u64 v[46:47], v[46:47], 0, s[26:27]
	v_mul_f32_e32 v58, v58, v59
	global_load_ushort v59, v[44:45], off
	s_waitcnt lgkmcnt(0)
	v_fmac_f32_e32 v13, v58, v57
	global_load_ushort v57, v[46:47], off
	ds_bpermute_b32 v58, v18, v12
	v_lshl_add_u64 v[44:45], v[44:45], 0, s[26:27]
	v_lshl_add_u64 v[46:47], v[46:47], 0, s[26:27]
	s_waitcnt vmcnt(11)
	v_cvt_f32_f16_e32 v51, v51
	s_waitcnt vmcnt(10)
	v_cvt_f32_f16_e32 v49, v49
	v_mul_f32_e32 v49, v51, v49
	s_waitcnt lgkmcnt(0)
	v_fmac_f32_e32 v13, v49, v58
	s_waitcnt vmcnt(9)
	v_cvt_f32_f16_e32 v53, v53
	s_waitcnt vmcnt(8)
	v_cvt_f32_f16_e32 v52, v52
	ds_bpermute_b32 v58, v19, v12
	global_load_ushort v51, v[44:45], off
	global_load_ushort v49, v[46:47], off
	v_mul_f32_e32 v52, v53, v52
	s_waitcnt vmcnt(9)
	v_cvt_f32_f16_e32 v48, v48
	s_waitcnt lgkmcnt(0)
	v_fmac_f32_e32 v13, v52, v58
	ds_bpermute_b32 v58, v20, v12
	s_waitcnt vmcnt(8)
	v_cvt_f32_f16_e32 v55, v55
	v_lshl_add_u64 v[44:45], v[44:45], 0, s[26:27]
	v_lshl_add_u64 v[46:47], v[46:47], 0, s[26:27]
	global_load_ushort v53, v[44:45], off
	v_mul_f32_e32 v48, v48, v55
	s_waitcnt vmcnt(8)
	v_cvt_f32_f16_e32 v54, v54
	s_waitcnt vmcnt(7)
	v_cvt_f32_f16_e32 v50, v50
	global_load_ushort v52, v[46:47], off
	s_waitcnt lgkmcnt(0)
	v_fmac_f32_e32 v13, v48, v58
	ds_bpermute_b32 v58, v21, v12
	v_lshl_add_u64 v[44:45], v[44:45], 0, s[26:27]
	v_lshl_add_u64 v[46:47], v[46:47], 0, s[26:27]
	v_mul_f32_e32 v50, v54, v50
	global_load_ushort v55, v[44:45], off
	global_load_ushort v48, v[46:47], off
	s_waitcnt lgkmcnt(0)
	v_fmac_f32_e32 v13, v50, v58
	s_waitcnt vmcnt(9)
	v_cvt_f32_f16_e32 v56, v56
	v_lshl_add_u64 v[44:45], v[44:45], 0, s[26:27]
	s_waitcnt vmcnt(8)
	v_cvt_f32_f16_e32 v58, v60
	ds_bpermute_b32 v60, v22, v12
	v_lshl_add_u64 v[46:47], v[46:47], 0, s[26:27]
	global_load_ushort v54, v[44:45], off
	v_mul_f32_e32 v56, v56, v58
	global_load_ushort v50, v[46:47], off
	s_waitcnt vmcnt(9)
	v_cvt_f32_f16_e32 v59, v59
	s_waitcnt vmcnt(8)
	v_cvt_f32_f16_e32 v57, v57
	s_waitcnt lgkmcnt(0)
	v_fmac_f32_e32 v13, v56, v60
	ds_bpermute_b32 v60, v23, v12
	v_lshl_add_u64 v[44:45], v[44:45], 0, s[26:27]
	v_lshl_add_u64 v[46:47], v[46:47], 0, s[26:27]
	global_load_ushort v58, v[44:45], off
	global_load_ushort v56, v[46:47], off
	v_lshl_add_u64 v[44:45], v[44:45], 0, s[26:27]
	v_mul_f32_e32 v57, v59, v57
	v_lshl_add_u64 v[46:47], v[46:47], 0, s[26:27]
	global_load_ushort v59, v[44:45], off
	s_waitcnt lgkmcnt(0)
	v_fmac_f32_e32 v13, v57, v60
	global_load_ushort v57, v[46:47], off
	ds_bpermute_b32 v60, v24, v12
	v_lshl_add_u64 v[46:47], v[46:47], 0, s[26:27]
	v_lshl_add_u64 v[44:45], v[44:45], 0, s[26:27]
	s_waitcnt vmcnt(11)
	v_cvt_f32_f16_e32 v51, v51
	s_waitcnt vmcnt(10)
	v_cvt_f32_f16_e32 v49, v49
	v_mul_f32_e32 v49, v51, v49
	s_waitcnt lgkmcnt(0)
	v_fmac_f32_e32 v13, v49, v60
	ds_bpermute_b32 v60, v25, v12
	global_load_ushort v49, v[46:47], off
	s_waitcnt vmcnt(10)
	v_cvt_f32_f16_e32 v53, v53
	v_lshl_add_u64 v[46:47], v[46:47], 0, s[26:27]
	global_load_ushort v51, v[44:45], off
	v_lshl_add_u64 v[44:45], v[44:45], 0, s[26:27]
	s_waitcnt vmcnt(10)
	v_cvt_f32_f16_e32 v52, v52
	v_mul_f32_e32 v52, v53, v52
	s_waitcnt lgkmcnt(0)
	v_fmac_f32_e32 v13, v52, v60
	s_waitcnt vmcnt(9)
	v_cvt_f32_f16_e32 v55, v55
	s_waitcnt vmcnt(8)
	v_cvt_f32_f16_e32 v48, v48
	ds_bpermute_b32 v60, v26, v12
	global_load_ushort v52, v[46:47], off
	global_load_ushort v53, v[44:45], off
	v_mul_f32_e32 v48, v55, v48
	v_lshl_add_u64 v[44:45], v[44:45], 0, s[26:27]
	s_waitcnt lgkmcnt(0)
	v_fmac_f32_e32 v13, v48, v60
	s_waitcnt vmcnt(9)
	v_cvt_f32_f16_e32 v54, v54
	ds_bpermute_b32 v48, v27, v12
	s_waitcnt vmcnt(8)
	v_cvt_f32_f16_e32 v50, v50
	v_lshl_add_u64 v[46:47], v[46:47], 0, s[26:27]
	global_load_ushort v55, v[44:45], off
	global_load_ushort v60, v[46:47], off
	v_lshl_add_u64 v[44:45], v[44:45], 0, s[26:27]
	v_mul_f32_e32 v50, v54, v50
	v_lshl_add_u64 v[46:47], v[46:47], 0, s[26:27]
	global_load_ushort v54, v[44:45], off
	s_waitcnt lgkmcnt(0)
	v_fmac_f32_e32 v13, v50, v48
	global_load_ushort v61, v[46:47], off
	s_waitcnt vmcnt(11)
	v_cvt_f32_f16_e32 v48, v58
	s_waitcnt vmcnt(10)
	v_cvt_f32_f16_e32 v50, v56
	;; [unrolled: 2-line block ×3, first 2 shown]
	ds_bpermute_b32 v58, v28, v12
	s_waitcnt vmcnt(8)
	v_cvt_f32_f16_e32 v57, v57
	v_lshl_add_u64 v[44:45], v[44:45], 0, s[26:27]
	global_load_ushort v59, v[44:45], off
	v_lshl_add_u64 v[44:45], v[44:45], 0, s[26:27]
	v_mul_f32_e32 v48, v48, v50
	v_lshl_add_u64 v[46:47], v[46:47], 0, s[26:27]
	v_mul_f32_e32 v50, v56, v57
	global_load_ushort v56, v[44:45], off
	s_waitcnt lgkmcnt(0)
	v_fmac_f32_e32 v13, v48, v58
	global_load_ushort v58, v[46:47], off
	v_lshl_add_u64 v[46:47], v[46:47], 0, s[26:27]
	global_load_ushort v57, v[46:47], off
	ds_bpermute_b32 v48, v29, v12
	v_lshl_add_u64 v[44:45], v[44:45], 0, s[26:27]
	v_lshl_add_u64 v[46:47], v[46:47], 0, s[26:27]
	global_load_ushort v62, v[44:45], off
	global_load_ushort v63, v[46:47], off
	s_waitcnt lgkmcnt(0)
	v_fmac_f32_e32 v13, v50, v48
	v_lshl_add_u64 v[44:45], v[44:45], 0, s[26:27]
	v_lshl_add_u64 v[46:47], v[46:47], 0, s[26:27]
	s_waitcnt vmcnt(13)
	v_cvt_f32_f16_e32 v49, v49
	s_waitcnt vmcnt(12)
	v_cvt_f32_f16_e32 v48, v51
	v_mul_f32_e32 v48, v48, v49
	s_waitcnt vmcnt(11)
	v_cvt_f32_f16_e32 v51, v52
	ds_bpermute_b32 v52, v30, v12
	s_waitcnt vmcnt(10)
	v_cvt_f32_f16_e32 v50, v53
	s_waitcnt lgkmcnt(0)
	v_fmac_f32_e32 v13, v48, v52
	ds_bpermute_b32 v52, v31, v12
	v_mul_f32_e32 v53, v50, v51
	s_waitcnt vmcnt(9)
	v_cvt_f32_f16_e32 v48, v55
	s_waitcnt vmcnt(8)
	v_cvt_f32_f16_e32 v50, v60
	global_load_ushort v55, v[46:47], off
	s_waitcnt lgkmcnt(0)
	v_fmac_f32_e32 v13, v53, v52
	ds_bpermute_b32 v52, v32, v12
	s_waitcnt vmcnt(8)
	v_cvt_f32_f16_e32 v49, v54
	global_load_ushort v54, v[44:45], off
	s_waitcnt vmcnt(8)
	v_cvt_f32_f16_e32 v51, v61
	ds_bpermute_b32 v53, v33, v12
	v_lshl_add_u64 v[44:45], v[44:45], 0, s[26:27]
	v_lshl_add_u64 v[46:47], v[46:47], 0, s[26:27]
	global_load_ushort v60, v[44:45], off
	global_load_ushort v61, v[46:47], off
	v_lshl_add_u64 v[44:45], v[44:45], 0, s[26:27]
	v_lshl_add_u64 v[46:47], v[46:47], 0, s[26:27]
	v_pk_mul_f32 v[48:49], v[48:49], v[50:51]
	global_load_ushort v64, v[44:45], off
	v_lshl_add_u64 v[44:45], v[44:45], 0, s[26:27]
	s_waitcnt lgkmcnt(0)
	v_pk_mul_f32 v[48:49], v[48:49], v[52:53]
	s_waitcnt vmcnt(9)
	v_cvt_f32_f16_e32 v51, v56
	global_load_ushort v56, v[46:47], off
	v_cvt_f32_f16_e32 v50, v59
	v_lshl_add_u64 v[46:47], v[46:47], 0, s[26:27]
	s_waitcnt vmcnt(8)
	v_cvt_f32_f16_e32 v53, v57
	global_load_ushort v57, v[44:45], off
	v_lshl_add_u64 v[44:45], v[44:45], 0, s[26:27]
	global_load_ushort v59, v[44:45], off
	v_lshl_add_u64 v[44:45], v[44:45], 0, s[26:27]
	;; [unrolled: 2-line block ×3, first 2 shown]
	v_cvt_f32_f16_e32 v52, v58
	global_load_ushort v58, v[46:47], off
	v_lshl_add_u64 v[46:47], v[46:47], 0, s[26:27]
	global_load_ushort v66, v[44:45], off
	global_load_ushort v67, v[46:47], off
	v_lshl_add_u64 v[44:45], v[46:47], 0, s[26:27]
	global_load_ushort v68, v[44:45], off
	v_lshl_add_u64 v[44:45], v[44:45], 0, s[26:27]
	global_load_ushort v69, v[44:45], off
	v_add_f32_e32 v13, v13, v48
	v_add_f32_e32 v13, v13, v49
	ds_bpermute_b32 v48, v34, v12
	ds_bpermute_b32 v49, v35, v12
	v_pk_mul_f32 v[50:51], v[50:51], v[52:53]
	s_waitcnt vmcnt(15)
	v_cvt_f32_f16_e32 v44, v62
	s_waitcnt vmcnt(14)
	v_cvt_f32_f16_e32 v46, v63
	ds_bpermute_b32 v52, v38, v12
	s_waitcnt lgkmcnt(1)
	v_pk_mul_f32 v[48:49], v[50:51], v[48:49]
	ds_bpermute_b32 v53, v39, v12
	v_add_f32_e32 v13, v13, v48
	v_add_f32_e32 v13, v13, v49
	ds_bpermute_b32 v48, v36, v12
	ds_bpermute_b32 v49, v37, v12
	s_waitcnt vmcnt(13)
	v_cvt_f32_f16_e32 v47, v55
	s_waitcnt vmcnt(12)
	v_cvt_f32_f16_e32 v45, v54
	v_pk_mul_f32 v[44:45], v[44:45], v[46:47]
	s_waitcnt vmcnt(11)
	v_cvt_f32_f16_e32 v46, v60
	s_waitcnt vmcnt(10)
	v_cvt_f32_f16_e32 v50, v61
	s_waitcnt lgkmcnt(0)
	v_pk_mul_f32 v[44:45], v[44:45], v[48:49]
	s_waitcnt vmcnt(9)
	v_cvt_f32_f16_e32 v47, v64
	v_add_f32_e32 v13, v13, v44
	v_add_f32_e32 v13, v13, v45
	s_waitcnt vmcnt(8)
	v_cvt_f32_f16_e32 v51, v56
	v_pk_mul_f32 v[44:45], v[46:47], v[50:51]
	s_nop 0
	v_pk_mul_f32 v[44:45], v[44:45], v[52:53]
	s_waitcnt vmcnt(7)
	v_cvt_f32_f16_e32 v46, v57
	s_waitcnt vmcnt(6)
	v_cvt_f32_f16_e32 v47, v59
	v_add_f32_e32 v13, v13, v44
	v_add_f32_e32 v52, v13, v45
	ds_bpermute_b32 v44, v40, v12
	s_waitcnt vmcnt(4)
	v_cvt_f32_f16_e32 v48, v58
	ds_bpermute_b32 v45, v41, v12
	s_waitcnt vmcnt(2)
	v_cvt_f32_f16_e32 v49, v67
	v_cvt_f32_f16_e32 v13, v66
	s_waitcnt vmcnt(1)
	v_cvt_f32_f16_e32 v50, v68
	v_pk_mul_f32 v[46:47], v[46:47], v[48:49]
	ds_bpermute_b32 v48, v42, v12
	ds_bpermute_b32 v49, v43, v12
	v_cvt_f32_f16_e32 v12, v65
	s_waitcnt vmcnt(0)
	v_cvt_f32_f16_e32 v51, v69
	s_waitcnt lgkmcnt(2)
	v_pk_mul_f32 v[44:45], v[46:47], v[44:45]
	v_pk_mul_f32 v[12:13], v[12:13], v[50:51]
	v_add_f32_e32 v44, v52, v44
	v_add_f32_e32 v44, v44, v45
	s_waitcnt lgkmcnt(0)
	v_pk_mul_f32 v[12:13], v[12:13], v[48:49]
	s_nop 0
	v_add_f32_e32 v12, v44, v12
	v_add_f32_e32 v13, v12, v13
	s_cbranch_vccz .LBB165_7
.LBB165_4:                              ; =>This Inner Loop Header: Depth=1
	v_mov_b32_e32 v12, 0
	s_and_saveexec_b64 s[28:29], s[4:5]
	s_cbranch_execz .LBB165_3
; %bb.5:                                ;   in Loop: Header=BB165_4 Depth=1
	v_cmp_gt_i64_e32 vcc, s[8:9], v[4:5]
	v_mov_b32_e32 v12, 0
	s_and_saveexec_b64 s[30:31], vcc
	s_cbranch_execz .LBB165_2
; %bb.6:                                ;   in Loop: Header=BB165_4 Depth=1
	global_load_dword v12, v[6:7], off
	s_branch .LBB165_2
.LBB165_7:
	v_cvt_f16_f32_e32 v1, v13
.LBB165_8:
	s_cmp_eq_u64 s[16:17], 0
	s_cbranch_scc1 .LBB165_10
; %bb.9:
	s_load_dword s0, s[0:1], 0x4c
	v_mov_b32_e32 v3, 0
	v_mov_b32_e32 v4, s6
	s_mov_b32 s3, 0
	v_and_b32_e32 v0, 0x3ff, v0
	s_waitcnt lgkmcnt(0)
	s_lshr_b32 s0, s0, 16
	v_mad_u64_u32 v[4:5], s[0:1], s0, v4, v[2:3]
	v_mul_lo_u32 v2, v5, s10
	v_mul_lo_u32 v6, v4, s11
	v_mad_u64_u32 v[4:5], s[0:1], v4, s10, 0
	v_add3_u32 v5, v5, v6, v2
	v_lshl_add_u64 v[4:5], v[4:5], 1, s[16:17]
	s_lshl_b64 s[0:1], s[2:3], 7
	v_lshl_add_u64 v[4:5], v[4:5], 0, s[0:1]
	v_lshlrev_b32_e32 v2, 1, v0
	v_lshl_add_u64 v[2:3], v[4:5], 0, v[2:3]
	global_store_short v[2:3], v1, off
.LBB165_10:
	s_endpgm
	.section	.rodata,"a",@progbits
	.p2align	6, 0x0
	.amdhsa_kernel _ZN2at6native12_GLOBAL__N_135GammaBetaBackwardCUDAKernelTemplateIN3c104HalfEfLj64ELj1ELj32ELb1ELb1ELb1EEEvllPKT_S7_PKT0_SA_PS5_SB_
		.amdhsa_group_segment_fixed_size 0
		.amdhsa_private_segment_fixed_size 0
		.amdhsa_kernarg_size 320
		.amdhsa_user_sgpr_count 2
		.amdhsa_user_sgpr_dispatch_ptr 0
		.amdhsa_user_sgpr_queue_ptr 0
		.amdhsa_user_sgpr_kernarg_segment_ptr 1
		.amdhsa_user_sgpr_dispatch_id 0
		.amdhsa_user_sgpr_kernarg_preload_length 0
		.amdhsa_user_sgpr_kernarg_preload_offset 0
		.amdhsa_user_sgpr_private_segment_size 0
		.amdhsa_uses_dynamic_stack 0
		.amdhsa_enable_private_segment 0
		.amdhsa_system_sgpr_workgroup_id_x 1
		.amdhsa_system_sgpr_workgroup_id_y 1
		.amdhsa_system_sgpr_workgroup_id_z 0
		.amdhsa_system_sgpr_workgroup_info 0
		.amdhsa_system_vgpr_workitem_id 1
		.amdhsa_next_free_vgpr 70
		.amdhsa_next_free_sgpr 32
		.amdhsa_accum_offset 72
		.amdhsa_reserve_vcc 1
		.amdhsa_float_round_mode_32 0
		.amdhsa_float_round_mode_16_64 0
		.amdhsa_float_denorm_mode_32 3
		.amdhsa_float_denorm_mode_16_64 3
		.amdhsa_dx10_clamp 1
		.amdhsa_ieee_mode 1
		.amdhsa_fp16_overflow 0
		.amdhsa_tg_split 0
		.amdhsa_exception_fp_ieee_invalid_op 0
		.amdhsa_exception_fp_denorm_src 0
		.amdhsa_exception_fp_ieee_div_zero 0
		.amdhsa_exception_fp_ieee_overflow 0
		.amdhsa_exception_fp_ieee_underflow 0
		.amdhsa_exception_fp_ieee_inexact 0
		.amdhsa_exception_int_div_zero 0
	.end_amdhsa_kernel
	.section	.text._ZN2at6native12_GLOBAL__N_135GammaBetaBackwardCUDAKernelTemplateIN3c104HalfEfLj64ELj1ELj32ELb1ELb1ELb1EEEvllPKT_S7_PKT0_SA_PS5_SB_,"axG",@progbits,_ZN2at6native12_GLOBAL__N_135GammaBetaBackwardCUDAKernelTemplateIN3c104HalfEfLj64ELj1ELj32ELb1ELb1ELb1EEEvllPKT_S7_PKT0_SA_PS5_SB_,comdat
.Lfunc_end165:
	.size	_ZN2at6native12_GLOBAL__N_135GammaBetaBackwardCUDAKernelTemplateIN3c104HalfEfLj64ELj1ELj32ELb1ELb1ELb1EEEvllPKT_S7_PKT0_SA_PS5_SB_, .Lfunc_end165-_ZN2at6native12_GLOBAL__N_135GammaBetaBackwardCUDAKernelTemplateIN3c104HalfEfLj64ELj1ELj32ELb1ELb1ELb1EEEvllPKT_S7_PKT0_SA_PS5_SB_
                                        ; -- End function
	.set _ZN2at6native12_GLOBAL__N_135GammaBetaBackwardCUDAKernelTemplateIN3c104HalfEfLj64ELj1ELj32ELb1ELb1ELb1EEEvllPKT_S7_PKT0_SA_PS5_SB_.num_vgpr, 70
	.set _ZN2at6native12_GLOBAL__N_135GammaBetaBackwardCUDAKernelTemplateIN3c104HalfEfLj64ELj1ELj32ELb1ELb1ELb1EEEvllPKT_S7_PKT0_SA_PS5_SB_.num_agpr, 0
	.set _ZN2at6native12_GLOBAL__N_135GammaBetaBackwardCUDAKernelTemplateIN3c104HalfEfLj64ELj1ELj32ELb1ELb1ELb1EEEvllPKT_S7_PKT0_SA_PS5_SB_.numbered_sgpr, 32
	.set _ZN2at6native12_GLOBAL__N_135GammaBetaBackwardCUDAKernelTemplateIN3c104HalfEfLj64ELj1ELj32ELb1ELb1ELb1EEEvllPKT_S7_PKT0_SA_PS5_SB_.num_named_barrier, 0
	.set _ZN2at6native12_GLOBAL__N_135GammaBetaBackwardCUDAKernelTemplateIN3c104HalfEfLj64ELj1ELj32ELb1ELb1ELb1EEEvllPKT_S7_PKT0_SA_PS5_SB_.private_seg_size, 0
	.set _ZN2at6native12_GLOBAL__N_135GammaBetaBackwardCUDAKernelTemplateIN3c104HalfEfLj64ELj1ELj32ELb1ELb1ELb1EEEvllPKT_S7_PKT0_SA_PS5_SB_.uses_vcc, 1
	.set _ZN2at6native12_GLOBAL__N_135GammaBetaBackwardCUDAKernelTemplateIN3c104HalfEfLj64ELj1ELj32ELb1ELb1ELb1EEEvllPKT_S7_PKT0_SA_PS5_SB_.uses_flat_scratch, 0
	.set _ZN2at6native12_GLOBAL__N_135GammaBetaBackwardCUDAKernelTemplateIN3c104HalfEfLj64ELj1ELj32ELb1ELb1ELb1EEEvllPKT_S7_PKT0_SA_PS5_SB_.has_dyn_sized_stack, 0
	.set _ZN2at6native12_GLOBAL__N_135GammaBetaBackwardCUDAKernelTemplateIN3c104HalfEfLj64ELj1ELj32ELb1ELb1ELb1EEEvllPKT_S7_PKT0_SA_PS5_SB_.has_recursion, 0
	.set _ZN2at6native12_GLOBAL__N_135GammaBetaBackwardCUDAKernelTemplateIN3c104HalfEfLj64ELj1ELj32ELb1ELb1ELb1EEEvllPKT_S7_PKT0_SA_PS5_SB_.has_indirect_call, 0
	.section	.AMDGPU.csdata,"",@progbits
; Kernel info:
; codeLenInByte = 2896
; TotalNumSgprs: 38
; NumVgprs: 70
; NumAgprs: 0
; TotalNumVgprs: 70
; ScratchSize: 0
; MemoryBound: 0
; FloatMode: 240
; IeeeMode: 1
; LDSByteSize: 0 bytes/workgroup (compile time only)
; SGPRBlocks: 4
; VGPRBlocks: 8
; NumSGPRsForWavesPerEU: 38
; NumVGPRsForWavesPerEU: 70
; AccumOffset: 72
; Occupancy: 7
; WaveLimiterHint : 0
; COMPUTE_PGM_RSRC2:SCRATCH_EN: 0
; COMPUTE_PGM_RSRC2:USER_SGPR: 2
; COMPUTE_PGM_RSRC2:TRAP_HANDLER: 0
; COMPUTE_PGM_RSRC2:TGID_X_EN: 1
; COMPUTE_PGM_RSRC2:TGID_Y_EN: 1
; COMPUTE_PGM_RSRC2:TGID_Z_EN: 0
; COMPUTE_PGM_RSRC2:TIDIG_COMP_CNT: 1
; COMPUTE_PGM_RSRC3_GFX90A:ACCUM_OFFSET: 17
; COMPUTE_PGM_RSRC3_GFX90A:TG_SPLIT: 0
	.section	.text._ZN2at6native12_GLOBAL__N_135GammaBetaBackwardCUDAKernelTemplateIN3c104HalfEfLj64ELj1ELj32ELb1ELb0ELb1EEEvllPKT_S7_PKT0_SA_PS5_SB_,"axG",@progbits,_ZN2at6native12_GLOBAL__N_135GammaBetaBackwardCUDAKernelTemplateIN3c104HalfEfLj64ELj1ELj32ELb1ELb0ELb1EEEvllPKT_S7_PKT0_SA_PS5_SB_,comdat
	.globl	_ZN2at6native12_GLOBAL__N_135GammaBetaBackwardCUDAKernelTemplateIN3c104HalfEfLj64ELj1ELj32ELb1ELb0ELb1EEEvllPKT_S7_PKT0_SA_PS5_SB_ ; -- Begin function _ZN2at6native12_GLOBAL__N_135GammaBetaBackwardCUDAKernelTemplateIN3c104HalfEfLj64ELj1ELj32ELb1ELb0ELb1EEEvllPKT_S7_PKT0_SA_PS5_SB_
	.p2align	8
	.type	_ZN2at6native12_GLOBAL__N_135GammaBetaBackwardCUDAKernelTemplateIN3c104HalfEfLj64ELj1ELj32ELb1ELb0ELb1EEEvllPKT_S7_PKT0_SA_PS5_SB_,@function
_ZN2at6native12_GLOBAL__N_135GammaBetaBackwardCUDAKernelTemplateIN3c104HalfEfLj64ELj1ELj32ELb1ELb0ELb1EEEvllPKT_S7_PKT0_SA_PS5_SB_: ; @_ZN2at6native12_GLOBAL__N_135GammaBetaBackwardCUDAKernelTemplateIN3c104HalfEfLj64ELj1ELj32ELb1ELb0ELb1EEEvllPKT_S7_PKT0_SA_PS5_SB_
; %bb.0:
	s_load_dwordx8 s[12:19], s[0:1], 0x0
	s_load_dwordx2 s[10:11], s[0:1], 0x28
	s_mov_b32 s8, s3
	s_lshl_b32 s3, s2, 6
	s_mov_b32 s21, 0
	s_lshl_b32 s20, s8, 5
	v_mov_b32_e32 v206, v0
	s_or_b32 s4, s3, 63
	v_mov_b64_e32 v[0:1], s[20:21]
	v_mov_b32_e32 v2, s4
	v_mov_b32_e32 v3, 0
	s_waitcnt lgkmcnt(0)
	v_cmp_gt_i64_e64 s[4:5], s[12:13], v[0:1]
	v_cmp_le_i64_e32 vcc, s[14:15], v[2:3]
	s_nop 0
	v_cndmask_b32_e64 v0, 0, 1, s[4:5]
	v_cmp_ne_u32_e64 s[4:5], 1, v0
	s_cbranch_vccz .LBB166_145
; %bb.1:
	s_and_b64 vcc, exec, s[4:5]
	s_cbranch_vccnz .LBB166_146
; %bb.2:
	v_and_b32_e32 v180, 0x3ff, v206
	v_mov_b32_e32 v2, 0
	v_bfe_u32 v181, v206, 10, 10
	v_add_u32_e32 v4, s3, v180
	v_mov_b32_e32 v5, v2
	v_lshlrev_b32_e32 v0, 5, v181
	v_mov_b32_e32 v1, v2
	v_cmp_gt_i64_e64 s[6:7], s[14:15], v[4:5]
	v_lshlrev_b64 v[36:37], 1, v[4:5]
	v_lshl_add_u64 v[4:5], v[0:1], 0, s[20:21]
	v_mul_lo_u32 v3, s15, v4
	v_mul_lo_u32 v8, s14, v5
	v_mad_u64_u32 v[6:7], s[26:27], s14, v4, 0
	v_add3_u32 v7, v7, v8, v3
	v_lshlrev_b64 v[6:7], 1, v[6:7]
	v_lshl_add_u64 v[38:39], s[16:17], 0, v[6:7]
	v_lshl_add_u64 v[40:41], s[18:19], 0, v[6:7]
	v_lshl_add_u64 v[6:7], v[4:5], 0, 31
	v_mul_lo_u32 v9, s15, v6
	v_mul_lo_u32 v10, s14, v7
	v_mad_u64_u32 v[6:7], s[30:31], s14, v6, 0
	v_add3_u32 v7, v7, v10, v9
	v_lshlrev_b64 v[6:7], 1, v[6:7]
	v_lshl_add_u64 v[42:43], s[16:17], 0, v[6:7]
	v_lshl_add_u64 v[44:45], s[18:19], 0, v[6:7]
	v_lshl_add_u64 v[6:7], v[4:5], 0, 30
	v_mul_lo_u32 v9, s15, v6
	v_mul_lo_u32 v10, s14, v7
	v_mad_u64_u32 v[6:7], s[30:31], s14, v6, 0
	v_add3_u32 v7, v7, v10, v9
	v_lshlrev_b64 v[6:7], 1, v[6:7]
	v_lshl_add_u64 v[46:47], s[16:17], 0, v[6:7]
	v_lshl_add_u64 v[48:49], s[18:19], 0, v[6:7]
	v_lshl_add_u64 v[6:7], v[4:5], 0, 29
	v_mul_lo_u32 v9, s15, v6
	v_mul_lo_u32 v10, s14, v7
	v_mad_u64_u32 v[6:7], s[30:31], s14, v6, 0
	v_add3_u32 v7, v7, v10, v9
	v_lshlrev_b64 v[6:7], 1, v[6:7]
	v_lshl_add_u64 v[50:51], s[16:17], 0, v[6:7]
	v_lshl_add_u64 v[52:53], s[18:19], 0, v[6:7]
	v_lshl_add_u64 v[6:7], v[4:5], 0, 28
	v_mul_lo_u32 v9, s15, v6
	v_mul_lo_u32 v10, s14, v7
	v_mad_u64_u32 v[6:7], s[30:31], s14, v6, 0
	v_add3_u32 v7, v7, v10, v9
	v_lshlrev_b64 v[6:7], 1, v[6:7]
	v_lshl_add_u64 v[54:55], s[16:17], 0, v[6:7]
	v_lshl_add_u64 v[56:57], s[18:19], 0, v[6:7]
	v_lshl_add_u64 v[6:7], v[4:5], 0, 27
	v_mul_lo_u32 v9, s15, v6
	v_mul_lo_u32 v10, s14, v7
	v_mad_u64_u32 v[6:7], s[30:31], s14, v6, 0
	v_add3_u32 v7, v7, v10, v9
	v_lshlrev_b64 v[6:7], 1, v[6:7]
	v_lshl_add_u64 v[58:59], s[16:17], 0, v[6:7]
	v_lshl_add_u64 v[60:61], s[18:19], 0, v[6:7]
	v_lshl_add_u64 v[6:7], v[4:5], 0, 26
	v_mul_lo_u32 v9, s15, v6
	v_mul_lo_u32 v10, s14, v7
	v_mad_u64_u32 v[6:7], s[30:31], s14, v6, 0
	v_add3_u32 v7, v7, v10, v9
	v_lshlrev_b64 v[6:7], 1, v[6:7]
	v_lshl_add_u64 v[62:63], s[16:17], 0, v[6:7]
	v_lshl_add_u64 v[64:65], s[18:19], 0, v[6:7]
	v_lshl_add_u64 v[6:7], v[4:5], 0, 25
	v_mul_lo_u32 v9, s15, v6
	v_mul_lo_u32 v10, s14, v7
	v_mad_u64_u32 v[6:7], s[30:31], s14, v6, 0
	v_add3_u32 v7, v7, v10, v9
	v_lshlrev_b64 v[6:7], 1, v[6:7]
	v_lshl_add_u64 v[66:67], s[16:17], 0, v[6:7]
	v_lshl_add_u64 v[68:69], s[18:19], 0, v[6:7]
	v_lshl_add_u64 v[6:7], v[4:5], 0, 24
	v_mul_lo_u32 v9, s15, v6
	v_mul_lo_u32 v10, s14, v7
	v_mad_u64_u32 v[6:7], s[30:31], s14, v6, 0
	v_add3_u32 v7, v7, v10, v9
	v_lshlrev_b64 v[6:7], 1, v[6:7]
	v_lshl_add_u64 v[70:71], s[16:17], 0, v[6:7]
	v_lshl_add_u64 v[72:73], s[18:19], 0, v[6:7]
	v_lshl_add_u64 v[6:7], v[4:5], 0, 23
	v_mul_lo_u32 v9, s15, v6
	v_mul_lo_u32 v10, s14, v7
	v_mad_u64_u32 v[6:7], s[30:31], s14, v6, 0
	v_add3_u32 v7, v7, v10, v9
	v_lshlrev_b64 v[6:7], 1, v[6:7]
	v_lshl_add_u64 v[74:75], s[16:17], 0, v[6:7]
	v_lshl_add_u64 v[76:77], s[18:19], 0, v[6:7]
	v_lshl_add_u64 v[6:7], v[4:5], 0, 22
	v_mul_lo_u32 v9, s15, v6
	v_mul_lo_u32 v10, s14, v7
	v_mad_u64_u32 v[6:7], s[30:31], s14, v6, 0
	v_add3_u32 v7, v7, v10, v9
	v_lshlrev_b64 v[6:7], 1, v[6:7]
	v_lshl_add_u64 v[78:79], s[16:17], 0, v[6:7]
	v_lshl_add_u64 v[80:81], s[18:19], 0, v[6:7]
	v_lshl_add_u64 v[6:7], v[4:5], 0, 21
	v_mul_lo_u32 v9, s15, v6
	v_mul_lo_u32 v10, s14, v7
	v_mad_u64_u32 v[6:7], s[30:31], s14, v6, 0
	v_add3_u32 v7, v7, v10, v9
	v_lshlrev_b64 v[6:7], 1, v[6:7]
	v_lshl_add_u64 v[82:83], s[16:17], 0, v[6:7]
	v_lshl_add_u64 v[84:85], s[18:19], 0, v[6:7]
	v_lshl_add_u64 v[6:7], v[4:5], 0, 20
	v_mul_lo_u32 v9, s15, v6
	v_mul_lo_u32 v10, s14, v7
	v_mad_u64_u32 v[6:7], s[30:31], s14, v6, 0
	v_add3_u32 v7, v7, v10, v9
	v_lshlrev_b64 v[6:7], 1, v[6:7]
	v_lshl_add_u64 v[86:87], s[16:17], 0, v[6:7]
	v_lshl_add_u64 v[88:89], s[18:19], 0, v[6:7]
	v_lshl_add_u64 v[6:7], v[4:5], 0, 19
	v_mul_lo_u32 v9, s15, v6
	v_mul_lo_u32 v10, s14, v7
	v_mad_u64_u32 v[6:7], s[30:31], s14, v6, 0
	v_add3_u32 v7, v7, v10, v9
	v_lshlrev_b64 v[6:7], 1, v[6:7]
	v_lshl_add_u64 v[90:91], s[16:17], 0, v[6:7]
	v_lshl_add_u64 v[92:93], s[18:19], 0, v[6:7]
	v_lshl_add_u64 v[6:7], v[4:5], 0, 18
	v_mul_lo_u32 v9, s15, v6
	v_mul_lo_u32 v10, s14, v7
	v_mad_u64_u32 v[6:7], s[30:31], s14, v6, 0
	v_add3_u32 v7, v7, v10, v9
	v_lshlrev_b64 v[6:7], 1, v[6:7]
	v_lshl_add_u64 v[94:95], s[16:17], 0, v[6:7]
	v_lshl_add_u64 v[96:97], s[18:19], 0, v[6:7]
	v_lshl_add_u64 v[6:7], v[4:5], 0, 17
	v_mul_lo_u32 v9, s15, v6
	v_mul_lo_u32 v10, s14, v7
	v_mad_u64_u32 v[6:7], s[30:31], s14, v6, 0
	v_add3_u32 v7, v7, v10, v9
	v_lshlrev_b64 v[6:7], 1, v[6:7]
	v_lshl_add_u64 v[98:99], s[16:17], 0, v[6:7]
	v_lshl_add_u64 v[100:101], s[18:19], 0, v[6:7]
	v_lshl_add_u64 v[6:7], v[4:5], 0, 16
	v_mul_lo_u32 v9, s15, v6
	v_mul_lo_u32 v10, s14, v7
	v_mad_u64_u32 v[6:7], s[30:31], s14, v6, 0
	v_add3_u32 v7, v7, v10, v9
	v_lshlrev_b64 v[6:7], 1, v[6:7]
	v_lshl_add_u64 v[102:103], s[16:17], 0, v[6:7]
	v_lshl_add_u64 v[104:105], s[18:19], 0, v[6:7]
	v_lshl_add_u64 v[6:7], v[4:5], 0, 15
	v_mul_lo_u32 v9, s15, v6
	v_mul_lo_u32 v10, s14, v7
	v_mad_u64_u32 v[6:7], s[30:31], s14, v6, 0
	v_add3_u32 v7, v7, v10, v9
	v_lshlrev_b64 v[6:7], 1, v[6:7]
	v_lshl_add_u64 v[106:107], s[16:17], 0, v[6:7]
	v_lshl_add_u64 v[108:109], s[18:19], 0, v[6:7]
	v_lshl_add_u64 v[6:7], v[4:5], 0, 14
	v_mul_lo_u32 v9, s15, v6
	v_mul_lo_u32 v10, s14, v7
	v_mad_u64_u32 v[6:7], s[30:31], s14, v6, 0
	v_add3_u32 v7, v7, v10, v9
	v_lshlrev_b64 v[6:7], 1, v[6:7]
	v_lshl_add_u64 v[110:111], s[16:17], 0, v[6:7]
	v_lshl_add_u64 v[112:113], s[18:19], 0, v[6:7]
	v_lshl_add_u64 v[6:7], v[4:5], 0, 13
	v_mul_lo_u32 v9, s15, v6
	v_mul_lo_u32 v10, s14, v7
	v_mad_u64_u32 v[6:7], s[30:31], s14, v6, 0
	v_add3_u32 v7, v7, v10, v9
	v_lshlrev_b64 v[6:7], 1, v[6:7]
	v_lshl_add_u64 v[114:115], s[16:17], 0, v[6:7]
	v_lshl_add_u64 v[116:117], s[18:19], 0, v[6:7]
	v_lshl_add_u64 v[6:7], v[4:5], 0, 12
	v_mul_lo_u32 v9, s15, v6
	v_mul_lo_u32 v10, s14, v7
	v_mad_u64_u32 v[6:7], s[30:31], s14, v6, 0
	v_add3_u32 v7, v7, v10, v9
	v_lshlrev_b64 v[6:7], 1, v[6:7]
	v_lshl_add_u64 v[118:119], s[16:17], 0, v[6:7]
	v_lshl_add_u64 v[120:121], s[18:19], 0, v[6:7]
	v_lshl_add_u64 v[6:7], v[4:5], 0, 11
	v_mul_lo_u32 v9, s15, v6
	v_mul_lo_u32 v10, s14, v7
	v_mad_u64_u32 v[6:7], s[30:31], s14, v6, 0
	v_add3_u32 v7, v7, v10, v9
	v_lshlrev_b64 v[6:7], 1, v[6:7]
	v_lshl_add_u64 v[122:123], s[16:17], 0, v[6:7]
	v_lshl_add_u64 v[124:125], s[18:19], 0, v[6:7]
	v_lshl_add_u64 v[6:7], v[4:5], 0, 10
	v_mul_lo_u32 v9, s15, v6
	v_mul_lo_u32 v10, s14, v7
	v_mad_u64_u32 v[6:7], s[30:31], s14, v6, 0
	v_add3_u32 v7, v7, v10, v9
	v_lshlrev_b64 v[6:7], 1, v[6:7]
	v_lshl_add_u64 v[126:127], s[16:17], 0, v[6:7]
	v_lshl_add_u64 v[128:129], s[18:19], 0, v[6:7]
	v_lshl_add_u64 v[6:7], v[4:5], 0, 9
	v_mul_lo_u32 v9, s15, v6
	v_mul_lo_u32 v10, s14, v7
	v_mad_u64_u32 v[6:7], s[30:31], s14, v6, 0
	v_add3_u32 v7, v7, v10, v9
	v_lshlrev_b64 v[6:7], 1, v[6:7]
	v_lshl_add_u64 v[130:131], s[16:17], 0, v[6:7]
	v_lshl_add_u64 v[132:133], s[18:19], 0, v[6:7]
	v_lshl_add_u64 v[6:7], v[4:5], 0, 8
	v_mul_lo_u32 v9, s15, v6
	v_mul_lo_u32 v10, s14, v7
	v_mad_u64_u32 v[6:7], s[30:31], s14, v6, 0
	v_add3_u32 v7, v7, v10, v9
	v_lshlrev_b64 v[6:7], 1, v[6:7]
	v_lshl_add_u64 v[134:135], s[16:17], 0, v[6:7]
	v_lshl_add_u64 v[136:137], s[18:19], 0, v[6:7]
	v_lshl_add_u64 v[6:7], v[4:5], 0, 7
	v_mul_lo_u32 v9, s15, v6
	v_mul_lo_u32 v10, s14, v7
	v_mad_u64_u32 v[6:7], s[30:31], s14, v6, 0
	v_add3_u32 v7, v7, v10, v9
	v_lshlrev_b64 v[6:7], 1, v[6:7]
	v_lshl_add_u64 v[138:139], s[16:17], 0, v[6:7]
	v_lshl_add_u64 v[140:141], s[18:19], 0, v[6:7]
	v_lshl_add_u64 v[6:7], v[4:5], 0, 6
	v_mul_lo_u32 v9, s15, v6
	v_mul_lo_u32 v10, s14, v7
	v_mad_u64_u32 v[6:7], s[30:31], s14, v6, 0
	v_add3_u32 v7, v7, v10, v9
	v_lshlrev_b64 v[6:7], 1, v[6:7]
	v_lshl_add_u64 v[142:143], s[16:17], 0, v[6:7]
	v_lshl_add_u64 v[144:145], s[18:19], 0, v[6:7]
	v_lshl_add_u64 v[6:7], v[4:5], 0, 5
	v_mul_lo_u32 v9, s15, v6
	v_mul_lo_u32 v10, s14, v7
	v_mad_u64_u32 v[6:7], s[30:31], s14, v6, 0
	v_add3_u32 v7, v7, v10, v9
	v_lshlrev_b64 v[6:7], 1, v[6:7]
	v_lshl_add_u64 v[146:147], s[16:17], 0, v[6:7]
	v_lshl_add_u64 v[148:149], s[18:19], 0, v[6:7]
	v_lshl_add_u64 v[6:7], v[4:5], 0, 4
	v_mul_lo_u32 v9, s15, v6
	v_mul_lo_u32 v10, s14, v7
	v_mad_u64_u32 v[6:7], s[30:31], s14, v6, 0
	v_add3_u32 v7, v7, v10, v9
	v_lshlrev_b64 v[6:7], 1, v[6:7]
	v_lshl_add_u64 v[150:151], s[16:17], 0, v[6:7]
	v_lshl_add_u64 v[152:153], s[18:19], 0, v[6:7]
	v_lshl_add_u64 v[6:7], v[4:5], 0, 3
	v_mul_lo_u32 v9, s15, v6
	v_mul_lo_u32 v10, s14, v7
	v_mad_u64_u32 v[6:7], s[30:31], s14, v6, 0
	v_add3_u32 v7, v7, v10, v9
	v_lshlrev_b64 v[6:7], 1, v[6:7]
	v_lshl_add_u64 v[154:155], s[16:17], 0, v[6:7]
	v_lshl_add_u64 v[156:157], s[18:19], 0, v[6:7]
	v_lshl_add_u64 v[6:7], v[4:5], 0, 2
	s_load_dword s9, s[0:1], 0x44
	v_mul_lo_u32 v5, s15, v6
	v_mul_lo_u32 v9, s14, v7
	v_mad_u64_u32 v[6:7], s[30:31], s14, v6, 0
	v_add3_u32 v7, v7, v9, v5
	v_lshlrev_b64 v[6:7], 1, v[6:7]
	v_lshl_add_u64 v[158:159], s[16:17], 0, v[6:7]
	v_lshl_add_u64 v[160:161], s[18:19], 0, v[6:7]
	v_mov_b64_e32 v[6:7], s[14:15]
	s_add_u32 s24, s0, 64
	v_mad_u64_u32 v[4:5], s[30:31], s14, v4, v[6:7]
	s_addc_u32 s25, s1, 0
	s_waitcnt lgkmcnt(0)
	s_lshl_b32 s22, s9, 5
	v_add3_u32 v5, v3, v5, v8
	v_mbcnt_lo_u32_b32 v3, -1, 0
	s_mul_i32 s9, s15, s22
	s_mul_hi_u32 s26, s14, s22
	v_mbcnt_hi_u32_b32 v3, -1, v3
	s_add_i32 s27, s26, s9
	s_mul_i32 s26, s14, s22
	v_lshlrev_b64 v[4:5], 1, v[4:5]
	v_lshlrev_b32_e32 v3, 2, v3
	s_mov_b32 s23, 0
	s_lshl_b64 s[26:27], s[26:27], 1
	s_mov_b64 s[28:29], 31
	v_lshl_add_u64 v[162:163], s[16:17], 0, v[4:5]
	v_lshl_add_u64 v[164:165], s[18:19], 0, v[4:5]
	v_and_b32_e32 v182, 0x100, v3
	s_mov_b64 s[30:31], s[20:21]
	v_mov_b32_e32 v183, 0
.LBB166_3:                              ; =>This Inner Loop Header: Depth=1
	s_add_u32 s34, s20, s28
	s_addc_u32 s35, 0, s29
	v_mov_b64_e32 v[4:5], s[12:13]
	v_cmp_ge_i64_e32 vcc, s[34:35], v[4:5]
	v_lshl_add_u64 v[166:167], s[20:21], 0, v[0:1]
	s_mov_b64 s[34:35], -1
	s_and_b64 vcc, exec, vcc
                                        ; implicit-def: $vgpr4_vgpr5_vgpr6_vgpr7_vgpr8_vgpr9_vgpr10_vgpr11_vgpr12_vgpr13_vgpr14_vgpr15_vgpr16_vgpr17_vgpr18_vgpr19_vgpr20_vgpr21_vgpr22_vgpr23_vgpr24_vgpr25_vgpr26_vgpr27_vgpr28_vgpr29_vgpr30_vgpr31_vgpr32_vgpr33_vgpr34_vgpr35
                                        ; implicit-def: $vgpr3
                                        ; implicit-def: $vgpr203
                                        ; implicit-def: $vgpr4
	s_cbranch_vccz .LBB166_73
; %bb.4:                                ;   in Loop: Header=BB166_3 Depth=1
	s_load_dword s9, s[24:25], 0xc
	v_mov_b32_e32 v185, 0
	v_mov_b32_e32 v184, 0
	s_waitcnt lgkmcnt(0)
	s_and_b32 s9, s9, 0xffff
	v_mad_u32_u24 v3, v181, s9, v180
	v_and_b32_e32 v4, 63, v3
	v_cmp_gt_u32_e32 vcc, 32, v4
	s_and_saveexec_b64 s[34:35], vcc
	s_cbranch_execz .LBB166_8
; %bb.5:                                ;   in Loop: Header=BB166_3 Depth=1
	v_mov_b32_e32 v5, v2
	v_lshl_add_u64 v[4:5], v[166:167], 0, v[4:5]
	v_cmp_gt_i64_e32 vcc, s[12:13], v[4:5]
	v_mov_b32_e32 v184, 0
	s_and_saveexec_b64 s[36:37], vcc
	s_cbranch_execz .LBB166_7
; %bb.6:                                ;   in Loop: Header=BB166_3 Depth=1
	v_lshl_add_u64 v[4:5], v[4:5], 2, s[10:11]
	global_load_dword v184, v[4:5], off
.LBB166_7:                              ;   in Loop: Header=BB166_3 Depth=1
	s_or_b64 exec, exec, s[36:37]
.LBB166_8:                              ;   in Loop: Header=BB166_3 Depth=1
	s_or_b64 exec, exec, s[34:35]
	v_mov_b32_e32 v4, v2
	v_mov_b32_e32 v5, v2
	;; [unrolled: 1-line block ×30, first 2 shown]
	v_cmp_gt_i64_e32 vcc, s[12:13], v[166:167]
	v_mov_b32_e32 v3, v2
	v_mov_b64_e32 v[34:35], v[32:33]
	s_and_b64 s[36:37], s[6:7], vcc
	v_mov_b64_e32 v[32:33], v[30:31]
	v_mov_b64_e32 v[30:31], v[28:29]
	v_mov_b64_e32 v[28:29], v[26:27]
	v_mov_b64_e32 v[26:27], v[24:25]
	v_mov_b64_e32 v[24:25], v[22:23]
	v_mov_b64_e32 v[22:23], v[20:21]
	v_mov_b64_e32 v[20:21], v[18:19]
	v_mov_b64_e32 v[18:19], v[16:17]
	v_mov_b64_e32 v[16:17], v[14:15]
	v_mov_b64_e32 v[14:15], v[12:13]
	v_mov_b64_e32 v[12:13], v[10:11]
	v_mov_b64_e32 v[10:11], v[8:9]
	v_mov_b64_e32 v[8:9], v[6:7]
	v_mov_b64_e32 v[6:7], v[4:5]
	v_mov_b64_e32 v[4:5], v[2:3]
	s_and_saveexec_b64 s[34:35], s[36:37]
	s_cbranch_execz .LBB166_10
; %bb.9:                                ;   in Loop: Header=BB166_3 Depth=1
	v_lshl_add_u64 v[4:5], v[38:39], 0, v[36:37]
	global_load_ushort v3, v[4:5], off
	v_lshl_add_u64 v[4:5], v[40:41], 0, v[36:37]
	global_load_ushort v33, v[4:5], off
	v_mov_b32_e32 v5, v2
	v_mov_b32_e32 v6, v2
	;; [unrolled: 1-line block ×30, first 2 shown]
	s_waitcnt vmcnt(1)
	v_cvt_f32_f16_e32 v4, v3
	s_waitcnt vmcnt(0)
	v_cvt_f32_f16_e32 v185, v33
	v_mov_b32_e32 v33, v2
.LBB166_10:                             ;   in Loop: Header=BB166_3 Depth=1
	s_or_b64 exec, exec, s[34:35]
	v_lshl_add_u64 v[168:169], v[166:167], 0, 1
	v_cmp_gt_i64_e32 vcc, s[12:13], v[168:169]
	s_and_b64 s[36:37], s[6:7], vcc
	v_mov_b32_e32 v3, 0
	v_mov_b32_e32 v186, 0
	s_and_saveexec_b64 s[34:35], s[36:37]
	s_cbranch_execz .LBB166_12
; %bb.11:                               ;   in Loop: Header=BB166_3 Depth=1
	v_lshl_add_u64 v[168:169], v[162:163], 0, v[36:37]
	global_load_ushort v5, v[168:169], off
	v_lshl_add_u64 v[168:169], v[164:165], 0, v[36:37]
	global_load_ushort v168, v[168:169], off
	s_waitcnt vmcnt(1)
	v_cvt_f32_f16_e32 v5, v5
	s_waitcnt vmcnt(0)
	v_cvt_f32_f16_e32 v186, v168
.LBB166_12:                             ;   in Loop: Header=BB166_3 Depth=1
	s_or_b64 exec, exec, s[34:35]
	v_lshl_add_u64 v[168:169], v[166:167], 0, 2
	v_cmp_gt_i64_e32 vcc, s[12:13], v[168:169]
	s_and_b64 s[36:37], s[6:7], vcc
	s_and_saveexec_b64 s[34:35], s[36:37]
	s_cbranch_execz .LBB166_14
; %bb.13:                               ;   in Loop: Header=BB166_3 Depth=1
	v_lshl_add_u64 v[168:169], v[158:159], 0, v[36:37]
	global_load_ushort v3, v[168:169], off
	v_lshl_add_u64 v[168:169], v[160:161], 0, v[36:37]
	global_load_ushort v168, v[168:169], off
	s_waitcnt vmcnt(1)
	v_cvt_f32_f16_e32 v6, v3
	s_waitcnt vmcnt(0)
	v_cvt_f32_f16_e32 v3, v168
.LBB166_14:                             ;   in Loop: Header=BB166_3 Depth=1
	s_or_b64 exec, exec, s[34:35]
	v_lshl_add_u64 v[168:169], v[166:167], 0, 3
	v_cmp_gt_i64_e32 vcc, s[12:13], v[168:169]
	s_and_b64 s[36:37], s[6:7], vcc
	v_mov_b32_e32 v187, 0
	v_mov_b32_e32 v188, 0
	s_and_saveexec_b64 s[34:35], s[36:37]
	s_cbranch_execz .LBB166_16
; %bb.15:                               ;   in Loop: Header=BB166_3 Depth=1
	v_lshl_add_u64 v[168:169], v[154:155], 0, v[36:37]
	global_load_ushort v7, v[168:169], off
	v_lshl_add_u64 v[168:169], v[156:157], 0, v[36:37]
	global_load_ushort v168, v[168:169], off
	s_waitcnt vmcnt(1)
	v_cvt_f32_f16_e32 v7, v7
	s_waitcnt vmcnt(0)
	v_cvt_f32_f16_e32 v188, v168
.LBB166_16:                             ;   in Loop: Header=BB166_3 Depth=1
	s_or_b64 exec, exec, s[34:35]
	v_lshl_add_u64 v[168:169], v[166:167], 0, 4
	v_cmp_gt_i64_e32 vcc, s[12:13], v[168:169]
	s_and_b64 s[36:37], s[6:7], vcc
	s_and_saveexec_b64 s[34:35], s[36:37]
	s_cbranch_execz .LBB166_18
; %bb.17:                               ;   in Loop: Header=BB166_3 Depth=1
	v_lshl_add_u64 v[168:169], v[150:151], 0, v[36:37]
	global_load_ushort v8, v[168:169], off
	v_lshl_add_u64 v[168:169], v[152:153], 0, v[36:37]
	global_load_ushort v168, v[168:169], off
	s_waitcnt vmcnt(1)
	v_cvt_f32_f16_e32 v8, v8
	s_waitcnt vmcnt(0)
	v_cvt_f32_f16_e32 v187, v168
.LBB166_18:                             ;   in Loop: Header=BB166_3 Depth=1
	;; [unrolled: 34-line block ×15, first 2 shown]
	s_or_b64 exec, exec, s[34:35]
	v_lshl_add_u64 v[204:205], v[166:167], 0, 31
	v_cmp_gt_i64_e32 vcc, s[12:13], v[204:205]
	s_and_b64 s[36:37], s[6:7], vcc
	v_mov_b32_e32 v203, 0
	s_and_saveexec_b64 s[34:35], s[36:37]
	s_cbranch_execz .LBB166_72
; %bb.71:                               ;   in Loop: Header=BB166_3 Depth=1
	v_lshl_add_u64 v[204:205], v[42:43], 0, v[36:37]
	global_load_ushort v35, v[204:205], off
	v_lshl_add_u64 v[204:205], v[44:45], 0, v[36:37]
	global_load_ushort v203, v[204:205], off
	s_waitcnt vmcnt(1)
	v_cvt_f32_f16_e32 v35, v35
	s_waitcnt vmcnt(0)
	v_cvt_f32_f16_e32 v203, v203
.LBB166_72:                             ;   in Loop: Header=BB166_3 Depth=1
	s_or_b64 exec, exec, s[34:35]
	s_waitcnt vmcnt(0)
	ds_bpermute_b32 v204, v182, v184
	ds_bpermute_b32 v205, v182, v184 offset:4
	v_mul_f32_e32 v4, v185, v4
	ds_bpermute_b32 v185, v182, v184 offset:8
	v_mul_f32_e32 v5, v186, v5
	s_waitcnt lgkmcnt(2)
	v_fma_f32 v186, v4, v204, v183
	ds_bpermute_b32 v4, v182, v184 offset:12
	s_waitcnt lgkmcnt(2)
	v_fmac_f32_e32 v186, v5, v205
	v_mul_f32_e32 v3, v3, v6
	s_waitcnt lgkmcnt(1)
	v_fmac_f32_e32 v186, v3, v185
	ds_bpermute_b32 v3, v182, v184 offset:16
	v_mul_f32_e32 v5, v188, v7
	s_waitcnt lgkmcnt(1)
	v_fmac_f32_e32 v186, v5, v4
	ds_bpermute_b32 v4, v182, v184 offset:20
	;; [unrolled: 4-line block ×14, first 2 shown]
	v_mul_f32_e32 v5, v199, v20
	ds_bpermute_b32 v6, v182, v184 offset:72
	s_waitcnt lgkmcnt(2)
	v_fmac_f32_e32 v186, v5, v3
	v_mul_f32_e32 v3, v202, v21
	s_waitcnt lgkmcnt(1)
	v_fmac_f32_e32 v186, v3, v4
	ds_bpermute_b32 v4, v182, v184 offset:76
	ds_bpermute_b32 v5, v182, v184 offset:80
	v_mul_f32_e32 v3, v201, v22
	s_waitcnt lgkmcnt(2)
	v_fmac_f32_e32 v186, v3, v6
	v_mov_b32_e32 v6, v23
	v_mov_b32_e32 v7, v24
	v_pk_mul_f32 v[6:7], v[168:169], v[6:7]
	s_mov_b64 s[34:35], 0
	s_waitcnt lgkmcnt(0)
	v_pk_mul_f32 v[4:5], v[6:7], v[4:5]
	ds_bpermute_b32 v6, v182, v184 offset:84
	ds_bpermute_b32 v7, v182, v184 offset:88
	v_add_f32_e32 v3, v186, v4
	v_add_f32_e32 v3, v3, v5
	v_mov_b32_e32 v4, v25
	v_mov_b32_e32 v5, v26
	v_pk_mul_f32 v[4:5], v[170:171], v[4:5]
	s_waitcnt lgkmcnt(0)
	v_pk_mul_f32 v[4:5], v[4:5], v[6:7]
	ds_bpermute_b32 v6, v182, v184 offset:92
	ds_bpermute_b32 v7, v182, v184 offset:96
	v_add_f32_e32 v3, v3, v4
	v_add_f32_e32 v3, v3, v5
	v_mov_b32_e32 v4, v27
	v_mov_b32_e32 v5, v28
	v_pk_mul_f32 v[4:5], v[172:173], v[4:5]
	;; [unrolled: 9-line block ×5, first 2 shown]
	ds_bpermute_b32 v4, v182, v184 offset:124
	s_waitcnt lgkmcnt(1)
	v_pk_mul_f32 v[6:7], v[8:9], v[6:7]
	s_nop 0
	v_add_f32_e32 v3, v3, v6
	v_add_f32_e32 v3, v3, v7
.LBB166_73:                             ;   in Loop: Header=BB166_3 Depth=1
	s_and_b64 vcc, exec, s[34:35]
	s_cbranch_vccz .LBB166_141
; %bb.74:                               ;   in Loop: Header=BB166_3 Depth=1
	s_load_dword s9, s[24:25], 0x0
	v_mov_b32_e32 v179, 0
	v_mov_b32_e32 v178, 0
	s_waitcnt lgkmcnt(0)
	s_cmp_lt_u32 s2, s9
	s_cselect_b32 s9, 12, 18
	s_add_u32 s34, s24, s9
	s_addc_u32 s35, s25, 0
	global_load_ushort v3, v2, s[34:35]
	s_waitcnt vmcnt(0)
	v_mad_u32_u24 v3, v181, v3, v180
	v_and_b32_e32 v4, 63, v3
	v_cmp_gt_u32_e32 vcc, 32, v4
	s_and_saveexec_b64 s[34:35], vcc
	s_cbranch_execz .LBB166_78
; %bb.75:                               ;   in Loop: Header=BB166_3 Depth=1
	v_mov_b32_e32 v5, v2
	v_lshl_add_u64 v[4:5], v[166:167], 0, v[4:5]
	v_cmp_gt_i64_e32 vcc, s[12:13], v[4:5]
	v_mov_b32_e32 v178, 0
	s_and_saveexec_b64 s[36:37], vcc
	s_cbranch_execz .LBB166_77
; %bb.76:                               ;   in Loop: Header=BB166_3 Depth=1
	v_lshl_add_u64 v[4:5], v[4:5], 2, s[10:11]
	global_load_dword v178, v[4:5], off
.LBB166_77:                             ;   in Loop: Header=BB166_3 Depth=1
	s_or_b64 exec, exec, s[36:37]
.LBB166_78:                             ;   in Loop: Header=BB166_3 Depth=1
	s_or_b64 exec, exec, s[34:35]
	v_mov_b32_e32 v4, v2
	v_mov_b32_e32 v5, v2
	;; [unrolled: 1-line block ×31, first 2 shown]
	v_mov_b64_e32 v[34:35], v[32:33]
	v_mov_b64_e32 v[32:33], v[30:31]
	;; [unrolled: 1-line block ×16, first 2 shown]
	s_and_saveexec_b64 s[34:35], s[6:7]
	s_cbranch_execz .LBB166_80
; %bb.79:                               ;   in Loop: Header=BB166_3 Depth=1
	v_lshl_add_u64 v[4:5], v[38:39], 0, v[36:37]
	global_load_ushort v3, v[4:5], off
	v_lshl_add_u64 v[4:5], v[40:41], 0, v[36:37]
	global_load_ushort v33, v[4:5], off
	v_mov_b32_e32 v5, v2
	v_mov_b32_e32 v6, v2
	;; [unrolled: 1-line block ×30, first 2 shown]
	s_waitcnt vmcnt(1)
	v_cvt_f32_f16_e32 v4, v3
	s_waitcnt vmcnt(0)
	v_cvt_f32_f16_e32 v179, v33
	v_mov_b32_e32 v33, v2
.LBB166_80:                             ;   in Loop: Header=BB166_3 Depth=1
	s_or_b64 exec, exec, s[34:35]
	v_mov_b32_e32 v3, 0
	v_mov_b32_e32 v184, 0
	s_and_saveexec_b64 s[34:35], s[6:7]
	s_cbranch_execz .LBB166_82
; %bb.81:                               ;   in Loop: Header=BB166_3 Depth=1
	v_lshl_add_u64 v[166:167], v[162:163], 0, v[36:37]
	global_load_ushort v5, v[166:167], off
	v_lshl_add_u64 v[166:167], v[164:165], 0, v[36:37]
	global_load_ushort v166, v[166:167], off
	s_waitcnt vmcnt(1)
	v_cvt_f32_f16_e32 v5, v5
	s_waitcnt vmcnt(0)
	v_cvt_f32_f16_e32 v184, v166
.LBB166_82:                             ;   in Loop: Header=BB166_3 Depth=1
	s_or_b64 exec, exec, s[34:35]
	s_and_saveexec_b64 s[34:35], s[6:7]
	s_cbranch_execz .LBB166_84
; %bb.83:                               ;   in Loop: Header=BB166_3 Depth=1
	v_lshl_add_u64 v[166:167], v[158:159], 0, v[36:37]
	global_load_ushort v3, v[166:167], off
	v_lshl_add_u64 v[166:167], v[160:161], 0, v[36:37]
	global_load_ushort v166, v[166:167], off
	s_waitcnt vmcnt(1)
	v_cvt_f32_f16_e32 v6, v3
	s_waitcnt vmcnt(0)
	v_cvt_f32_f16_e32 v3, v166
.LBB166_84:                             ;   in Loop: Header=BB166_3 Depth=1
	s_or_b64 exec, exec, s[34:35]
	v_mov_b32_e32 v185, 0
	v_mov_b32_e32 v186, 0
	s_and_saveexec_b64 s[34:35], s[6:7]
	s_cbranch_execz .LBB166_86
; %bb.85:                               ;   in Loop: Header=BB166_3 Depth=1
	v_lshl_add_u64 v[166:167], v[154:155], 0, v[36:37]
	global_load_ushort v7, v[166:167], off
	v_lshl_add_u64 v[166:167], v[156:157], 0, v[36:37]
	global_load_ushort v166, v[166:167], off
	s_waitcnt vmcnt(1)
	v_cvt_f32_f16_e32 v7, v7
	s_waitcnt vmcnt(0)
	v_cvt_f32_f16_e32 v186, v166
.LBB166_86:                             ;   in Loop: Header=BB166_3 Depth=1
	s_or_b64 exec, exec, s[34:35]
	s_and_saveexec_b64 s[34:35], s[6:7]
	s_cbranch_execz .LBB166_88
; %bb.87:                               ;   in Loop: Header=BB166_3 Depth=1
	v_lshl_add_u64 v[166:167], v[150:151], 0, v[36:37]
	global_load_ushort v8, v[166:167], off
	v_lshl_add_u64 v[166:167], v[152:153], 0, v[36:37]
	global_load_ushort v166, v[166:167], off
	s_waitcnt vmcnt(1)
	v_cvt_f32_f16_e32 v8, v8
	s_waitcnt vmcnt(0)
	v_cvt_f32_f16_e32 v185, v166
.LBB166_88:                             ;   in Loop: Header=BB166_3 Depth=1
	;; [unrolled: 28-line block ×4, first 2 shown]
	s_or_b64 exec, exec, s[34:35]
	v_mov_b32_e32 v191, 0
	v_mov_b32_e32 v192, 0
	s_and_saveexec_b64 s[34:35], s[6:7]
	s_cbranch_execz .LBB166_98
; %bb.97:                               ;   in Loop: Header=BB166_3 Depth=1
	v_lshl_add_u64 v[166:167], v[130:131], 0, v[36:37]
	global_load_ushort v13, v[166:167], off
	v_lshl_add_u64 v[166:167], v[132:133], 0, v[36:37]
	global_load_ushort v166, v[166:167], off
	s_waitcnt vmcnt(1)
	v_cvt_f32_f16_e32 v13, v13
	s_waitcnt vmcnt(0)
	v_cvt_f32_f16_e32 v192, v166
.LBB166_98:                             ;   in Loop: Header=BB166_3 Depth=1
	s_or_b64 exec, exec, s[34:35]
	s_and_saveexec_b64 s[34:35], s[6:7]
	s_cbranch_execz .LBB166_100
; %bb.99:                               ;   in Loop: Header=BB166_3 Depth=1
	v_lshl_add_u64 v[166:167], v[126:127], 0, v[36:37]
	global_load_ushort v14, v[166:167], off
	v_lshl_add_u64 v[166:167], v[128:129], 0, v[36:37]
	global_load_ushort v166, v[166:167], off
	s_waitcnt vmcnt(1)
	v_cvt_f32_f16_e32 v14, v14
	s_waitcnt vmcnt(0)
	v_cvt_f32_f16_e32 v191, v166
.LBB166_100:                            ;   in Loop: Header=BB166_3 Depth=1
	s_or_b64 exec, exec, s[34:35]
	v_mov_b32_e32 v193, 0
	v_mov_b32_e32 v194, 0
	s_and_saveexec_b64 s[34:35], s[6:7]
	s_cbranch_execz .LBB166_102
; %bb.101:                              ;   in Loop: Header=BB166_3 Depth=1
	v_lshl_add_u64 v[166:167], v[122:123], 0, v[36:37]
	global_load_ushort v15, v[166:167], off
	v_lshl_add_u64 v[166:167], v[124:125], 0, v[36:37]
	global_load_ushort v166, v[166:167], off
	s_waitcnt vmcnt(1)
	v_cvt_f32_f16_e32 v15, v15
	s_waitcnt vmcnt(0)
	v_cvt_f32_f16_e32 v194, v166
.LBB166_102:                            ;   in Loop: Header=BB166_3 Depth=1
	s_or_b64 exec, exec, s[34:35]
	s_and_saveexec_b64 s[34:35], s[6:7]
	s_cbranch_execz .LBB166_104
; %bb.103:                              ;   in Loop: Header=BB166_3 Depth=1
	v_lshl_add_u64 v[166:167], v[118:119], 0, v[36:37]
	global_load_ushort v16, v[166:167], off
	v_lshl_add_u64 v[166:167], v[120:121], 0, v[36:37]
	global_load_ushort v166, v[166:167], off
	s_waitcnt vmcnt(1)
	v_cvt_f32_f16_e32 v16, v16
	s_waitcnt vmcnt(0)
	v_cvt_f32_f16_e32 v193, v166
.LBB166_104:                            ;   in Loop: Header=BB166_3 Depth=1
	s_or_b64 exec, exec, s[34:35]
	v_mov_b32_e32 v195, 0
	v_mov_b32_e32 v196, 0
	s_and_saveexec_b64 s[34:35], s[6:7]
	s_cbranch_execz .LBB166_106
; %bb.105:                              ;   in Loop: Header=BB166_3 Depth=1
	v_lshl_add_u64 v[166:167], v[114:115], 0, v[36:37]
	global_load_ushort v17, v[166:167], off
	v_lshl_add_u64 v[166:167], v[116:117], 0, v[36:37]
	global_load_ushort v166, v[166:167], off
	s_waitcnt vmcnt(1)
	v_cvt_f32_f16_e32 v17, v17
	s_waitcnt vmcnt(0)
	v_cvt_f32_f16_e32 v196, v166
.LBB166_106:                            ;   in Loop: Header=BB166_3 Depth=1
	s_or_b64 exec, exec, s[34:35]
	s_and_saveexec_b64 s[34:35], s[6:7]
	s_cbranch_execz .LBB166_108
; %bb.107:                              ;   in Loop: Header=BB166_3 Depth=1
	v_lshl_add_u64 v[166:167], v[110:111], 0, v[36:37]
	global_load_ushort v18, v[166:167], off
	v_lshl_add_u64 v[166:167], v[112:113], 0, v[36:37]
	global_load_ushort v166, v[166:167], off
	s_waitcnt vmcnt(1)
	v_cvt_f32_f16_e32 v18, v18
	s_waitcnt vmcnt(0)
	v_cvt_f32_f16_e32 v195, v166
.LBB166_108:                            ;   in Loop: Header=BB166_3 Depth=1
	;; [unrolled: 28-line block ×9, first 2 shown]
	s_or_b64 exec, exec, s[34:35]
	v_mov_b32_e32 v177, 0
	v_mov_b32_e32 v176, 0
	s_and_saveexec_b64 s[34:35], s[6:7]
	s_cbranch_execnz .LBB166_143
; %bb.137:                              ;   in Loop: Header=BB166_3 Depth=1
	s_or_b64 exec, exec, s[34:35]
	s_and_saveexec_b64 s[34:35], s[6:7]
	s_cbranch_execnz .LBB166_144
.LBB166_138:                            ;   in Loop: Header=BB166_3 Depth=1
	s_or_b64 exec, exec, s[34:35]
	v_mov_b32_e32 v203, 0
	s_and_saveexec_b64 s[34:35], s[6:7]
	s_cbranch_execz .LBB166_140
.LBB166_139:                            ;   in Loop: Header=BB166_3 Depth=1
	v_lshl_add_u64 v[202:203], v[42:43], 0, v[36:37]
	global_load_ushort v35, v[202:203], off
	v_lshl_add_u64 v[202:203], v[44:45], 0, v[36:37]
	global_load_ushort v201, v[202:203], off
	s_waitcnt vmcnt(1)
	v_cvt_f32_f16_e32 v35, v35
	s_waitcnt vmcnt(0)
	v_cvt_f32_f16_e32 v203, v201
.LBB166_140:                            ;   in Loop: Header=BB166_3 Depth=1
	s_or_b64 exec, exec, s[34:35]
	s_waitcnt vmcnt(0)
	ds_bpermute_b32 v201, v182, v178
	ds_bpermute_b32 v202, v182, v178 offset:4
	v_mul_f32_e32 v4, v179, v4
	ds_bpermute_b32 v179, v182, v178 offset:8
	v_mul_f32_e32 v5, v184, v5
	s_waitcnt lgkmcnt(2)
	v_fmac_f32_e32 v183, v4, v201
	ds_bpermute_b32 v4, v182, v178 offset:12
	s_waitcnt lgkmcnt(2)
	v_fmac_f32_e32 v183, v5, v202
	v_mul_f32_e32 v3, v3, v6
	s_waitcnt lgkmcnt(1)
	v_fmac_f32_e32 v183, v3, v179
	ds_bpermute_b32 v3, v182, v178 offset:16
	v_mul_f32_e32 v5, v186, v7
	s_waitcnt lgkmcnt(1)
	v_fmac_f32_e32 v183, v5, v4
	ds_bpermute_b32 v4, v182, v178 offset:20
	v_mul_f32_e32 v5, v185, v8
	s_waitcnt lgkmcnt(1)
	v_fmac_f32_e32 v183, v5, v3
	ds_bpermute_b32 v3, v182, v178 offset:24
	v_mul_f32_e32 v5, v188, v9
	s_waitcnt lgkmcnt(1)
	v_fmac_f32_e32 v183, v5, v4
	ds_bpermute_b32 v4, v182, v178 offset:28
	v_mul_f32_e32 v5, v187, v10
	s_waitcnt lgkmcnt(1)
	v_fmac_f32_e32 v183, v5, v3
	ds_bpermute_b32 v3, v182, v178 offset:32
	v_mul_f32_e32 v5, v190, v11
	s_waitcnt lgkmcnt(1)
	v_fmac_f32_e32 v183, v5, v4
	ds_bpermute_b32 v4, v182, v178 offset:36
	v_mul_f32_e32 v5, v189, v12
	s_waitcnt lgkmcnt(1)
	v_fmac_f32_e32 v183, v5, v3
	ds_bpermute_b32 v3, v182, v178 offset:40
	v_mul_f32_e32 v5, v192, v13
	s_waitcnt lgkmcnt(1)
	v_fmac_f32_e32 v183, v5, v4
	ds_bpermute_b32 v4, v182, v178 offset:44
	v_mul_f32_e32 v5, v191, v14
	s_waitcnt lgkmcnt(1)
	v_fmac_f32_e32 v183, v5, v3
	ds_bpermute_b32 v3, v182, v178 offset:48
	v_mul_f32_e32 v5, v194, v15
	s_waitcnt lgkmcnt(1)
	v_fmac_f32_e32 v183, v5, v4
	ds_bpermute_b32 v4, v182, v178 offset:52
	v_mul_f32_e32 v5, v193, v16
	s_waitcnt lgkmcnt(1)
	v_fmac_f32_e32 v183, v5, v3
	ds_bpermute_b32 v3, v182, v178 offset:56
	v_mul_f32_e32 v5, v196, v17
	s_waitcnt lgkmcnt(1)
	v_fmac_f32_e32 v183, v5, v4
	ds_bpermute_b32 v4, v182, v178 offset:60
	v_mul_f32_e32 v5, v195, v18
	s_waitcnt lgkmcnt(1)
	v_fmac_f32_e32 v183, v5, v3
	ds_bpermute_b32 v3, v182, v178 offset:64
	v_mul_f32_e32 v5, v198, v19
	s_waitcnt lgkmcnt(1)
	v_fmac_f32_e32 v183, v5, v4
	ds_bpermute_b32 v4, v182, v178 offset:68
	v_mul_f32_e32 v5, v197, v20
	ds_bpermute_b32 v6, v182, v178 offset:72
	s_waitcnt lgkmcnt(2)
	v_fmac_f32_e32 v183, v5, v3
	v_mul_f32_e32 v3, v200, v21
	s_waitcnt lgkmcnt(1)
	v_fmac_f32_e32 v183, v3, v4
	ds_bpermute_b32 v4, v182, v178 offset:76
	ds_bpermute_b32 v5, v182, v178 offset:80
	v_mul_f32_e32 v3, v199, v22
	s_waitcnt lgkmcnt(2)
	v_fmac_f32_e32 v183, v3, v6
	v_mov_b32_e32 v6, v23
	v_mov_b32_e32 v7, v24
	v_pk_mul_f32 v[6:7], v[166:167], v[6:7]
	v_mov_b32_e32 v8, v33
	s_waitcnt lgkmcnt(0)
	v_pk_mul_f32 v[4:5], v[6:7], v[4:5]
	ds_bpermute_b32 v6, v182, v178 offset:84
	ds_bpermute_b32 v7, v182, v178 offset:88
	v_add_f32_e32 v3, v183, v4
	v_add_f32_e32 v3, v3, v5
	v_mov_b32_e32 v4, v25
	v_mov_b32_e32 v5, v26
	v_pk_mul_f32 v[4:5], v[168:169], v[4:5]
	v_mov_b32_e32 v9, v34
	s_waitcnt lgkmcnt(0)
	v_pk_mul_f32 v[4:5], v[4:5], v[6:7]
	ds_bpermute_b32 v6, v182, v178 offset:92
	ds_bpermute_b32 v7, v182, v178 offset:96
	v_add_f32_e32 v3, v3, v4
	v_add_f32_e32 v3, v3, v5
	v_mov_b32_e32 v4, v27
	v_mov_b32_e32 v5, v28
	v_pk_mul_f32 v[4:5], v[170:171], v[4:5]
	v_pk_mul_f32 v[8:9], v[176:177], v[8:9]
	s_waitcnt lgkmcnt(0)
	v_pk_mul_f32 v[4:5], v[4:5], v[6:7]
	ds_bpermute_b32 v6, v182, v178 offset:100
	ds_bpermute_b32 v7, v182, v178 offset:104
	v_add_f32_e32 v3, v3, v4
	v_add_f32_e32 v3, v3, v5
	v_mov_b32_e32 v4, v29
	v_mov_b32_e32 v5, v30
	v_pk_mul_f32 v[4:5], v[172:173], v[4:5]
	s_waitcnt lgkmcnt(0)
	v_pk_mul_f32 v[4:5], v[4:5], v[6:7]
	ds_bpermute_b32 v6, v182, v178 offset:108
	ds_bpermute_b32 v7, v182, v178 offset:112
	v_add_f32_e32 v3, v3, v4
	v_add_f32_e32 v3, v3, v5
	v_mov_b32_e32 v4, v31
	v_mov_b32_e32 v5, v32
	v_pk_mul_f32 v[4:5], v[174:175], v[4:5]
	s_waitcnt lgkmcnt(0)
	v_pk_mul_f32 v[4:5], v[4:5], v[6:7]
	ds_bpermute_b32 v6, v182, v178 offset:116
	ds_bpermute_b32 v7, v182, v178 offset:120
	v_add_f32_e32 v3, v3, v4
	ds_bpermute_b32 v4, v182, v178 offset:124
	v_add_f32_e32 v3, v3, v5
	s_waitcnt lgkmcnt(1)
	v_pk_mul_f32 v[6:7], v[8:9], v[6:7]
	s_nop 0
	v_add_f32_e32 v3, v3, v6
	v_add_f32_e32 v3, v3, v7
.LBB166_141:                            ;   in Loop: Header=BB166_3 Depth=1
	v_mul_f32_e32 v5, v203, v35
	s_add_u32 s30, s30, s22
	s_waitcnt lgkmcnt(0)
	v_fmac_f32_e32 v3, v5, v4
	s_addc_u32 s31, s31, 0
	v_mov_b64_e32 v[4:5], s[12:13]
	s_add_u32 s28, s28, s22
	v_cmp_lt_i64_e32 vcc, s[30:31], v[4:5]
	v_lshl_add_u64 v[38:39], v[38:39], 0, s[26:27]
	v_lshl_add_u64 v[40:41], v[40:41], 0, s[26:27]
	;; [unrolled: 1-line block ×65, first 2 shown]
	s_addc_u32 s29, 0, s29
	s_cbranch_vccz .LBB166_146
; %bb.142:                              ;   in Loop: Header=BB166_3 Depth=1
	v_mov_b32_e32 v183, v3
	s_branch .LBB166_3
.LBB166_143:                            ;   in Loop: Header=BB166_3 Depth=1
	v_lshl_add_u64 v[202:203], v[50:51], 0, v[36:37]
	global_load_ushort v33, v[202:203], off
	v_lshl_add_u64 v[202:203], v[52:53], 0, v[36:37]
	global_load_ushort v176, v[202:203], off
	s_waitcnt vmcnt(1)
	v_cvt_f32_f16_e32 v33, v33
	s_waitcnt vmcnt(0)
	v_cvt_f32_f16_e32 v176, v176
	s_or_b64 exec, exec, s[34:35]
	s_and_saveexec_b64 s[34:35], s[6:7]
	s_cbranch_execz .LBB166_138
.LBB166_144:                            ;   in Loop: Header=BB166_3 Depth=1
	v_lshl_add_u64 v[202:203], v[46:47], 0, v[36:37]
	global_load_ushort v34, v[202:203], off
	v_lshl_add_u64 v[202:203], v[48:49], 0, v[36:37]
	global_load_ushort v177, v[202:203], off
	s_waitcnt vmcnt(1)
	v_cvt_f32_f16_e32 v34, v34
	s_waitcnt vmcnt(0)
	v_cvt_f32_f16_e32 v177, v177
	s_or_b64 exec, exec, s[34:35]
	v_mov_b32_e32 v203, 0
	s_and_saveexec_b64 s[34:35], s[6:7]
	s_cbranch_execnz .LBB166_139
	s_branch .LBB166_140
.LBB166_145:
                                        ; implicit-def: $vgpr3
	s_load_dwordx2 s[6:7], s[0:1], 0x30
	s_branch .LBB166_147
.LBB166_146:
	s_load_dwordx2 s[6:7], s[0:1], 0x30
	s_cbranch_execnz .LBB166_228
.LBB166_147:
	s_and_b64 vcc, exec, s[4:5]
	v_mov_b32_e32 v3, 0
	s_cbranch_vccnz .LBB166_228
; %bb.148:
	v_mov_b32_e32 v2, 0
	v_bfe_u32 v18, v206, 10, 10
	v_lshlrev_b32_e32 v0, 6, v18
	v_mov_b32_e32 v1, v2
	v_lshl_add_u64 v[0:1], s[20:21], 1, v[0:1]
	v_lshl_add_u64 v[8:9], v[0:1], 0, 2
	v_mov_b64_e32 v[4:5], s[16:17]
	v_mov_b64_e32 v[6:7], s[18:19]
	v_mad_u64_u32 v[94:95], s[4:5], s14, v8, v[4:5]
	v_mul_lo_u32 v3, s14, v9
	v_mul_lo_u32 v9, s15, v8
	v_lshl_add_u64 v[12:13], v[0:1], 0, 6
	v_mad_u64_u32 v[100:101], s[4:5], s14, v8, v[6:7]
	v_add3_u32 v95, v9, v95, v3
	v_mul_lo_u32 v13, s14, v13
	v_mul_lo_u32 v17, s15, v12
	v_add3_u32 v101, v9, v101, v3
	v_mad_u64_u32 v[8:9], s[4:5], s14, v12, v[6:7]
	v_add3_u32 v9, v17, v9, v13
	v_lshl_add_u64 v[10:11], v[0:1], 0, 4
	v_mad_u64_u32 v[98:99], s[4:5], s14, v12, v[4:5]
	v_lshl_add_u64 v[14:15], v[0:1], 0, 8
	v_accvgpr_write_b32 a15, v9
	v_mad_u64_u32 v[96:97], s[4:5], s14, v10, v[4:5]
	v_mul_lo_u32 v11, s14, v11
	v_mul_lo_u32 v16, s15, v10
	v_add3_u32 v99, v17, v99, v13
	v_mad_u64_u32 v[102:103], s[4:5], s14, v14, v[4:5]
	v_mad_u64_u32 v[104:105], s[4:5], s14, v10, v[6:7]
	v_mul_lo_u32 v3, s14, v15
	v_mul_lo_u32 v10, s15, v14
	v_accvgpr_write_b32 a14, v8
	v_lshl_add_u64 v[8:9], v[0:1], 0, 10
	v_mad_u64_u32 v[12:13], s[4:5], s14, v14, v[6:7]
	v_add3_u32 v97, v16, v97, v11
	v_add3_u32 v105, v16, v105, v11
	;; [unrolled: 1-line block ×4, first 2 shown]
	v_mul_lo_u32 v3, s14, v9
	v_mul_lo_u32 v9, s15, v8
	v_mad_u64_u32 v[10:11], s[4:5], s14, v8, v[4:5]
	v_add3_u32 v11, v9, v11, v3
	v_accvgpr_write_b32 a19, v11
	v_accvgpr_write_b32 a18, v10
	v_mad_u64_u32 v[10:11], s[4:5], s14, v8, v[6:7]
	v_add3_u32 v11, v9, v11, v3
	v_accvgpr_write_b32 a21, v11
	v_lshl_add_u64 v[8:9], v[0:1], 0, 12
	v_accvgpr_write_b32 a20, v10
	v_mul_lo_u32 v3, s14, v9
	v_mul_lo_u32 v9, s15, v8
	v_mad_u64_u32 v[10:11], s[4:5], s14, v8, v[4:5]
	v_add3_u32 v11, v9, v11, v3
	v_accvgpr_write_b32 a23, v11
	v_accvgpr_write_b32 a22, v10
	v_mad_u64_u32 v[10:11], s[4:5], s14, v8, v[6:7]
	v_add3_u32 v11, v9, v11, v3
	v_accvgpr_write_b32 a25, v11
	v_lshl_add_u64 v[8:9], v[0:1], 0, 14
	v_accvgpr_write_b32 a24, v10
	v_mul_lo_u32 v3, s14, v9
	v_mul_lo_u32 v9, s15, v8
	v_mad_u64_u32 v[10:11], s[4:5], s14, v8, v[4:5]
	v_add3_u32 v11, v9, v11, v3
	v_accvgpr_write_b32 a27, v11
	v_accvgpr_write_b32 a26, v10
	v_mad_u64_u32 v[10:11], s[4:5], s14, v8, v[6:7]
	v_add3_u32 v11, v9, v11, v3
	v_accvgpr_write_b32 a29, v11
	v_lshl_add_u64 v[8:9], v[0:1], 0, 16
	v_accvgpr_write_b32 a28, v10
	v_mul_lo_u32 v3, s14, v9
	v_mul_lo_u32 v9, s15, v8
	v_mad_u64_u32 v[10:11], s[4:5], s14, v8, v[4:5]
	v_add3_u32 v11, v9, v11, v3
	v_accvgpr_write_b32 a31, v11
	v_accvgpr_write_b32 a30, v10
	v_mad_u64_u32 v[10:11], s[4:5], s14, v8, v[6:7]
	v_add3_u32 v11, v9, v11, v3
	v_accvgpr_write_b32 a33, v11
	v_lshl_add_u64 v[8:9], v[0:1], 0, 18
	v_accvgpr_write_b32 a32, v10
	v_mul_lo_u32 v3, s14, v9
	v_mul_lo_u32 v9, s15, v8
	v_mad_u64_u32 v[10:11], s[4:5], s14, v8, v[4:5]
	v_add3_u32 v11, v9, v11, v3
	v_accvgpr_write_b32 a35, v11
	v_accvgpr_write_b32 a34, v10
	v_mad_u64_u32 v[10:11], s[4:5], s14, v8, v[6:7]
	v_add3_u32 v11, v9, v11, v3
	v_accvgpr_write_b32 a37, v11
	v_lshl_add_u64 v[8:9], v[0:1], 0, 20
	v_accvgpr_write_b32 a36, v10
	v_mul_lo_u32 v3, s14, v9
	v_mul_lo_u32 v9, s15, v8
	v_mad_u64_u32 v[10:11], s[4:5], s14, v8, v[4:5]
	v_add3_u32 v11, v9, v11, v3
	v_accvgpr_write_b32 a39, v11
	v_accvgpr_write_b32 a38, v10
	v_mad_u64_u32 v[10:11], s[4:5], s14, v8, v[6:7]
	v_add3_u32 v11, v9, v11, v3
	v_accvgpr_write_b32 a41, v11
	v_lshl_add_u64 v[8:9], v[0:1], 0, 22
	v_accvgpr_write_b32 a40, v10
	v_mul_lo_u32 v3, s14, v9
	v_mul_lo_u32 v9, s15, v8
	v_mad_u64_u32 v[10:11], s[4:5], s14, v8, v[4:5]
	v_add3_u32 v11, v9, v11, v3
	v_accvgpr_write_b32 a43, v11
	v_accvgpr_write_b32 a42, v10
	v_mad_u64_u32 v[10:11], s[4:5], s14, v8, v[6:7]
	v_add3_u32 v11, v9, v11, v3
	v_accvgpr_write_b32 a45, v11
	v_lshl_add_u64 v[8:9], v[0:1], 0, 24
	v_accvgpr_write_b32 a44, v10
	v_mul_lo_u32 v3, s14, v9
	v_mul_lo_u32 v9, s15, v8
	v_mad_u64_u32 v[10:11], s[4:5], s14, v8, v[4:5]
	v_add3_u32 v11, v9, v11, v3
	v_accvgpr_write_b32 a47, v11
	v_accvgpr_write_b32 a46, v10
	v_mad_u64_u32 v[10:11], s[4:5], s14, v8, v[6:7]
	v_add3_u32 v11, v9, v11, v3
	v_accvgpr_write_b32 a49, v11
	v_lshl_add_u64 v[8:9], v[0:1], 0, 26
	v_accvgpr_write_b32 a48, v10
	v_mul_lo_u32 v3, s14, v9
	v_mul_lo_u32 v9, s15, v8
	v_mad_u64_u32 v[10:11], s[4:5], s14, v8, v[4:5]
	v_add3_u32 v11, v9, v11, v3
	v_accvgpr_write_b32 a51, v11
	v_accvgpr_write_b32 a50, v10
	v_mad_u64_u32 v[10:11], s[4:5], s14, v8, v[6:7]
	v_add3_u32 v11, v9, v11, v3
	v_accvgpr_write_b32 a53, v11
	v_lshl_add_u64 v[8:9], v[0:1], 0, 28
	v_accvgpr_write_b32 a52, v10
	v_mul_lo_u32 v3, s14, v9
	v_mul_lo_u32 v9, s15, v8
	v_mad_u64_u32 v[10:11], s[4:5], s14, v8, v[4:5]
	v_add3_u32 v11, v9, v11, v3
	v_accvgpr_write_b32 a55, v11
	v_accvgpr_write_b32 a54, v10
	v_mad_u64_u32 v[10:11], s[4:5], s14, v8, v[6:7]
	v_add3_u32 v11, v9, v11, v3
	v_accvgpr_write_b32 a57, v11
	v_lshl_add_u64 v[8:9], v[0:1], 0, 30
	v_accvgpr_write_b32 a56, v10
	v_mul_lo_u32 v3, s14, v9
	v_mul_lo_u32 v9, s15, v8
	v_mad_u64_u32 v[10:11], s[4:5], s14, v8, v[4:5]
	v_add3_u32 v11, v9, v11, v3
	v_accvgpr_write_b32 a59, v11
	v_accvgpr_write_b32 a58, v10
	v_mad_u64_u32 v[10:11], s[4:5], s14, v8, v[6:7]
	v_add3_u32 v11, v9, v11, v3
	v_accvgpr_write_b32 a61, v11
	v_lshl_add_u64 v[8:9], v[0:1], 0, 32
	v_accvgpr_write_b32 a60, v10
	v_mul_lo_u32 v3, s14, v9
	v_mul_lo_u32 v9, s15, v8
	v_mad_u64_u32 v[10:11], s[4:5], s14, v8, v[4:5]
	v_add3_u32 v11, v9, v11, v3
	v_accvgpr_write_b32 a63, v11
	v_accvgpr_write_b32 a62, v10
	v_mad_u64_u32 v[10:11], s[4:5], s14, v8, v[6:7]
	v_add3_u32 v11, v9, v11, v3
	v_accvgpr_write_b32 a65, v11
	v_lshl_add_u64 v[8:9], v[0:1], 0, 34
	v_accvgpr_write_b32 a64, v10
	v_mul_lo_u32 v3, s14, v9
	v_mul_lo_u32 v9, s15, v8
	v_mad_u64_u32 v[10:11], s[4:5], s14, v8, v[4:5]
	v_add3_u32 v11, v9, v11, v3
	v_accvgpr_write_b32 a67, v11
	v_accvgpr_write_b32 a66, v10
	v_mad_u64_u32 v[10:11], s[4:5], s14, v8, v[6:7]
	v_add3_u32 v11, v9, v11, v3
	v_accvgpr_write_b32 a69, v11
	v_lshl_add_u64 v[8:9], v[0:1], 0, 36
	v_accvgpr_write_b32 a68, v10
	v_mul_lo_u32 v3, s14, v9
	v_mul_lo_u32 v9, s15, v8
	v_mad_u64_u32 v[10:11], s[4:5], s14, v8, v[4:5]
	v_mad_u64_u32 v[106:107], s[4:5], s14, v8, v[6:7]
	v_add3_u32 v11, v9, v11, v3
	v_add3_u32 v107, v9, v107, v3
	v_lshl_add_u64 v[8:9], v[0:1], 0, 38
	v_mul_lo_u32 v3, s14, v9
	v_mul_lo_u32 v9, s15, v8
	v_mad_u64_u32 v[108:109], s[4:5], s14, v8, v[4:5]
	v_mad_u64_u32 v[110:111], s[4:5], s14, v8, v[6:7]
	v_add3_u32 v109, v9, v109, v3
	v_add3_u32 v111, v9, v111, v3
	v_lshl_add_u64 v[8:9], v[0:1], 0, 40
	;; [unrolled: 7-line block ×12, first 2 shown]
	v_lshl_add_u64 v[0:1], v[0:1], 0, 62
	v_lshlrev_b32_e32 v160, 5, v18
	v_mov_b32_e32 v161, v2
	v_mad_u64_u32 v[154:155], s[4:5], s14, v8, v[6:7]
	v_mad_u64_u32 v[156:157], s[4:5], s14, v0, v[4:5]
	;; [unrolled: 1-line block ×3, first 2 shown]
	v_mul_lo_u32 v1, s14, v1
	v_mul_lo_u32 v0, s15, v0
	v_lshl_add_u64 v[6:7], v[160:161], 0, s[20:21]
	v_mul_lo_u32 v3, s14, v9
	v_mul_lo_u32 v9, s15, v8
	v_mad_u64_u32 v[152:153], s[4:5], s14, v8, v[4:5]
	v_add3_u32 v157, v0, v157, v1
	v_add3_u32 v159, v0, v159, v1
	v_lshl_add_u64 v[0:1], v[6:7], 0, 31
	v_add3_u32 v153, v9, v153, v3
	v_add3_u32 v155, v9, v155, v3
	v_mul_lo_u32 v3, s15, v0
	v_mul_lo_u32 v4, s14, v1
	v_mad_u64_u32 v[0:1], s[4:5], s14, v0, 0
	v_add3_u32 v1, v1, v4, v3
	v_lshl_add_u64 v[4:5], v[6:7], 0, 30
	v_mul_lo_u32 v3, s15, v4
	v_mul_lo_u32 v8, s14, v5
	v_mad_u64_u32 v[4:5], s[4:5], s14, v4, 0
	v_accvgpr_write_b32 a71, v11
	v_add3_u32 v5, v5, v8, v3
	v_lshl_add_u64 v[8:9], v[6:7], 0, 29
	v_accvgpr_write_b32 a70, v10
	v_mul_lo_u32 v3, s15, v8
	v_mul_lo_u32 v10, s14, v9
	v_mad_u64_u32 v[8:9], s[4:5], s14, v8, 0
	v_accvgpr_write_b32 a17, v13
	v_add3_u32 v9, v9, v10, v3
	v_lshl_add_u64 v[10:11], v[6:7], 0, 28
	v_accvgpr_write_b32 a16, v12
	v_mul_lo_u32 v3, s15, v10
	v_mul_lo_u32 v12, s14, v11
	v_mad_u64_u32 v[10:11], s[4:5], s14, v10, 0
	v_add3_u32 v11, v11, v12, v3
	v_lshl_add_u64 v[12:13], v[6:7], 0, 27
	v_mul_lo_u32 v3, s15, v12
	v_mul_lo_u32 v14, s14, v13
	v_mad_u64_u32 v[12:13], s[4:5], s14, v12, 0
	v_add3_u32 v13, v13, v14, v3
	v_lshl_add_u64 v[14:15], v[6:7], 0, 26
	;; [unrolled: 5-line block ×3, first 2 shown]
	v_accvgpr_write_b32 a1, v18
	v_mul_lo_u32 v3, s15, v16
	v_mul_lo_u32 v18, s14, v17
	v_mad_u64_u32 v[16:17], s[4:5], s14, v16, 0
	v_add3_u32 v17, v17, v18, v3
	v_lshl_add_u64 v[18:19], v[6:7], 0, 24
	v_mul_lo_u32 v3, s15, v18
	v_mul_lo_u32 v20, s14, v19
	v_mad_u64_u32 v[18:19], s[4:5], s14, v18, 0
	v_add3_u32 v19, v19, v20, v3
	v_lshl_add_u64 v[20:21], v[6:7], 0, 23
	v_mul_lo_u32 v3, s15, v20
	v_mul_lo_u32 v22, s14, v21
	v_mad_u64_u32 v[20:21], s[4:5], s14, v20, 0
	v_add3_u32 v21, v21, v22, v3
	v_lshl_add_u64 v[22:23], v[6:7], 0, 22
	v_mul_lo_u32 v3, s15, v22
	v_mul_lo_u32 v24, s14, v23
	v_mad_u64_u32 v[22:23], s[4:5], s14, v22, 0
	v_add3_u32 v23, v23, v24, v3
	v_lshl_add_u64 v[24:25], v[6:7], 0, 21
	v_mul_lo_u32 v3, s15, v24
	v_mul_lo_u32 v26, s14, v25
	v_mad_u64_u32 v[24:25], s[4:5], s14, v24, 0
	v_add3_u32 v25, v25, v26, v3
	v_lshl_add_u64 v[26:27], v[6:7], 0, 20
	v_mul_lo_u32 v3, s15, v26
	v_mul_lo_u32 v28, s14, v27
	v_mad_u64_u32 v[26:27], s[4:5], s14, v26, 0
	v_add3_u32 v27, v27, v28, v3
	v_lshl_add_u64 v[28:29], v[6:7], 0, 19
	v_mul_lo_u32 v3, s15, v28
	v_mul_lo_u32 v30, s14, v29
	v_mad_u64_u32 v[28:29], s[4:5], s14, v28, 0
	v_add3_u32 v29, v29, v30, v3
	v_lshl_add_u64 v[30:31], v[6:7], 0, 18
	v_mul_lo_u32 v3, s15, v30
	v_mul_lo_u32 v32, s14, v31
	v_mad_u64_u32 v[30:31], s[4:5], s14, v30, 0
	v_add3_u32 v31, v31, v32, v3
	v_lshl_add_u64 v[32:33], v[6:7], 0, 17
	v_mul_lo_u32 v3, s15, v32
	v_mul_lo_u32 v34, s14, v33
	v_mad_u64_u32 v[32:33], s[4:5], s14, v32, 0
	v_add3_u32 v33, v33, v34, v3
	v_lshl_add_u64 v[34:35], v[6:7], 0, 16
	v_mul_lo_u32 v3, s15, v34
	v_mul_lo_u32 v36, s14, v35
	v_mad_u64_u32 v[34:35], s[4:5], s14, v34, 0
	v_add3_u32 v35, v35, v36, v3
	v_lshl_add_u64 v[36:37], v[6:7], 0, 15
	v_mul_lo_u32 v3, s15, v36
	v_mul_lo_u32 v38, s14, v37
	v_mad_u64_u32 v[36:37], s[4:5], s14, v36, 0
	v_add3_u32 v37, v37, v38, v3
	v_lshl_add_u64 v[38:39], v[6:7], 0, 14
	v_mul_lo_u32 v3, s15, v38
	v_mul_lo_u32 v40, s14, v39
	v_mad_u64_u32 v[38:39], s[4:5], s14, v38, 0
	v_add3_u32 v39, v39, v40, v3
	v_lshl_add_u64 v[40:41], v[6:7], 0, 13
	v_mul_lo_u32 v3, s15, v40
	v_mul_lo_u32 v42, s14, v41
	v_mad_u64_u32 v[40:41], s[4:5], s14, v40, 0
	v_add3_u32 v41, v41, v42, v3
	v_lshl_add_u64 v[42:43], v[6:7], 0, 12
	v_mul_lo_u32 v3, s15, v42
	v_mul_lo_u32 v44, s14, v43
	v_mad_u64_u32 v[42:43], s[4:5], s14, v42, 0
	v_add3_u32 v43, v43, v44, v3
	v_lshl_add_u64 v[44:45], v[6:7], 0, 11
	v_mul_lo_u32 v3, s15, v44
	v_mul_lo_u32 v46, s14, v45
	v_mad_u64_u32 v[44:45], s[4:5], s14, v44, 0
	v_add3_u32 v45, v45, v46, v3
	v_lshl_add_u64 v[46:47], v[6:7], 0, 10
	v_mul_lo_u32 v3, s15, v46
	v_mul_lo_u32 v48, s14, v47
	v_mad_u64_u32 v[46:47], s[4:5], s14, v46, 0
	v_add3_u32 v47, v47, v48, v3
	v_lshl_add_u64 v[48:49], v[6:7], 0, 9
	v_mul_lo_u32 v3, s15, v48
	v_mul_lo_u32 v50, s14, v49
	v_mad_u64_u32 v[48:49], s[4:5], s14, v48, 0
	v_add3_u32 v49, v49, v50, v3
	v_lshl_add_u64 v[50:51], v[6:7], 0, 8
	v_mul_lo_u32 v3, s15, v50
	v_mul_lo_u32 v52, s14, v51
	v_mad_u64_u32 v[50:51], s[4:5], s14, v50, 0
	v_add3_u32 v51, v51, v52, v3
	v_lshl_add_u64 v[52:53], v[6:7], 0, 7
	v_mul_lo_u32 v3, s15, v52
	v_mul_lo_u32 v54, s14, v53
	v_mad_u64_u32 v[52:53], s[4:5], s14, v52, 0
	v_add3_u32 v53, v53, v54, v3
	v_lshl_add_u64 v[54:55], v[6:7], 0, 6
	v_mul_lo_u32 v3, s15, v54
	v_mul_lo_u32 v56, s14, v55
	v_mad_u64_u32 v[54:55], s[4:5], s14, v54, 0
	v_add3_u32 v55, v55, v56, v3
	v_lshl_add_u64 v[56:57], v[6:7], 0, 5
	v_lshlrev_b64 v[0:1], 1, v[0:1]
	v_mul_lo_u32 v3, s15, v56
	v_mul_lo_u32 v58, s14, v57
	v_mad_u64_u32 v[56:57], s[4:5], s14, v56, 0
	v_lshl_add_u64 v[168:169], s[16:17], 0, v[0:1]
	v_lshl_add_u64 v[170:171], s[18:19], 0, v[0:1]
	v_lshlrev_b64 v[0:1], 1, v[4:5]
	v_add3_u32 v57, v57, v58, v3
	v_lshl_add_u64 v[58:59], v[6:7], 0, 4
	v_lshl_add_u64 v[172:173], s[16:17], 0, v[0:1]
	v_lshl_add_u64 v[174:175], s[18:19], 0, v[0:1]
	v_lshlrev_b64 v[0:1], 1, v[8:9]
	v_mul_lo_u32 v3, s15, v58
	v_mul_lo_u32 v60, s14, v59
	v_mad_u64_u32 v[58:59], s[4:5], s14, v58, 0
	v_lshl_add_u64 v[176:177], s[16:17], 0, v[0:1]
	v_lshl_add_u64 v[178:179], s[18:19], 0, v[0:1]
	v_lshlrev_b64 v[0:1], 1, v[10:11]
	v_add3_u32 v59, v59, v60, v3
	v_lshl_add_u64 v[60:61], v[6:7], 0, 3
	v_lshl_add_u64 v[180:181], s[16:17], 0, v[0:1]
	v_lshl_add_u64 v[182:183], s[18:19], 0, v[0:1]
	;; [unrolled: 11-line block ×3, first 2 shown]
	v_lshlrev_b64 v[0:1], 1, v[16:17]
	v_mul_lo_u32 v3, s15, v62
	v_mul_lo_u32 v64, s14, v63
	v_mad_u64_u32 v[62:63], s[4:5], s14, v62, 0
	v_lshl_add_u64 v[192:193], s[16:17], 0, v[0:1]
	v_lshl_add_u64 v[194:195], s[18:19], 0, v[0:1]
	v_lshlrev_b64 v[0:1], 1, v[18:19]
	v_add3_u32 v63, v63, v64, v3
	v_mov_b64_e32 v[64:65], s[14:15]
	v_lshl_add_u64 v[196:197], s[16:17], 0, v[0:1]
	v_lshl_add_u64 v[198:199], s[18:19], 0, v[0:1]
	v_lshlrev_b64 v[0:1], 1, v[20:21]
	v_mad_u64_u32 v[66:67], s[4:5], s14, v6, v[64:65]
	v_mul_lo_u32 v3, s15, v6
	v_mul_lo_u32 v64, s14, v7
	v_mad_u64_u32 v[6:7], s[4:5], s14, v6, 0
	v_lshl_add_u64 v[200:201], s[16:17], 0, v[0:1]
	v_lshl_add_u64 v[202:203], s[18:19], 0, v[0:1]
	v_lshlrev_b64 v[0:1], 1, v[22:23]
	v_add3_u32 v7, v7, v64, v3
	v_add3_u32 v67, v3, v67, v64
	v_accvgpr_write_b32 a0, v206
	v_and_b32_e32 v3, 0x3ff, v206
	v_lshl_add_u64 v[204:205], s[16:17], 0, v[0:1]
	v_lshl_add_u64 v[206:207], s[18:19], 0, v[0:1]
	v_lshlrev_b64 v[0:1], 1, v[24:25]
	v_lshl_add_u64 v[208:209], s[16:17], 0, v[0:1]
	v_lshl_add_u64 v[210:211], s[18:19], 0, v[0:1]
	v_lshlrev_b64 v[0:1], 1, v[26:27]
	;; [unrolled: 3-line block ×9, first 2 shown]
	s_load_dword s4, s[0:1], 0x44
	v_lshl_add_u64 v[240:241], s[16:17], 0, v[0:1]
	v_lshl_add_u64 v[242:243], s[18:19], 0, v[0:1]
	v_lshlrev_b64 v[0:1], 1, v[42:43]
	v_lshlrev_b64 v[4:5], 1, v[50:51]
	v_lshl_add_u64 v[244:245], s[16:17], 0, v[0:1]
	v_lshl_add_u64 v[246:247], s[18:19], 0, v[0:1]
	v_lshlrev_b64 v[0:1], 1, v[44:45]
	v_lshl_add_u64 v[38:39], s[16:17], 0, v[4:5]
	v_lshl_add_u64 v[40:41], s[18:19], 0, v[4:5]
	;; [unrolled: 3-line block ×6, first 2 shown]
	v_lshlrev_b64 v[4:5], 1, v[56:57]
	s_add_u32 s22, s0, 64
	v_lshl_add_u64 v[50:51], s[16:17], 0, v[4:5]
	v_lshl_add_u64 v[52:53], s[18:19], 0, v[4:5]
	v_lshlrev_b64 v[4:5], 1, v[58:59]
	v_accvgpr_write_b32 a72, v3
	v_add_u32_e32 v64, s3, v3
	s_addc_u32 s23, s1, 0
	s_waitcnt lgkmcnt(0)
	s_lshl_b32 s4, s4, 5
	v_lshl_add_u64 v[54:55], s[16:17], 0, v[4:5]
	v_lshl_add_u64 v[56:57], s[18:19], 0, v[4:5]
	v_lshlrev_b64 v[4:5], 1, v[60:61]
	v_mbcnt_lo_u32_b32 v3, -1, 0
	v_mov_b32_e32 v65, v2
	s_mul_i32 s3, s15, s4
	s_mul_hi_u32 s9, s14, s4
	v_lshl_add_u64 v[58:59], s[16:17], 0, v[4:5]
	v_lshl_add_u64 v[60:61], s[18:19], 0, v[4:5]
	v_lshlrev_b64 v[4:5], 1, v[62:63]
	v_mbcnt_hi_u32_b32 v3, -1, v3
	v_lshlrev_b64 v[162:163], 1, v[64:65]
	v_lshlrev_b64 v[6:7], 1, v[6:7]
	s_add_i32 s25, s9, s3
	s_mul_i32 s24, s14, s4
	v_lshl_add_u64 v[62:63], s[16:17], 0, v[4:5]
	v_lshl_add_u64 v[64:65], s[18:19], 0, v[4:5]
	v_lshlrev_b64 v[4:5], 1, v[66:67]
	v_lshlrev_b32_e32 v3, 2, v3
	s_mov_b32 s5, 0
	s_lshl_b64 s[24:25], s[24:25], 1
	v_lshl_add_u64 v[164:165], s[16:17], 0, v[6:7]
	v_lshl_add_u64 v[166:167], s[18:19], 0, v[6:7]
	s_mov_b64 s[26:27], 31
	v_lshl_add_u64 v[36:37], s[16:17], 0, v[0:1]
	v_lshl_add_u64 v[0:1], s[18:19], 0, v[0:1]
	;; [unrolled: 1-line block ×4, first 2 shown]
	v_and_b32_e32 v84, 0x100, v3
	s_mov_b64 s[16:17], s[20:21]
	v_mov_b32_e32 v85, 0
.LBB166_149:                            ; =>This Inner Loop Header: Depth=1
	s_add_u32 s18, s20, s26
	s_addc_u32 s19, 0, s27
	v_mov_b64_e32 v[4:5], s[12:13]
	v_cmp_ge_i64_e32 vcc, s[18:19], v[4:5]
	v_lshl_add_u64 v[70:71], s[20:21], 0, v[160:161]
	s_mov_b64 s[18:19], -1
                                        ; implicit-def: $vgpr3
	s_cbranch_vccz .LBB166_219
; %bb.150:                              ;   in Loop: Header=BB166_149 Depth=1
	s_load_dword s3, s[22:23], 0xc
	v_accvgpr_read_b32 v3, a1
	v_accvgpr_read_b32 v4, a72
	v_accvgpr_write_b32 a2, 0
	v_mov_b32_e32 v86, 0
	s_waitcnt lgkmcnt(0)
	s_and_b32 s3, s3, 0xffff
	v_mad_u32_u24 v3, v3, s3, v4
	v_and_b32_e32 v4, 63, v3
	v_cmp_gt_u32_e32 vcc, 32, v4
	s_and_saveexec_b64 s[18:19], vcc
	s_cbranch_execz .LBB166_154
; %bb.151:                              ;   in Loop: Header=BB166_149 Depth=1
	v_mov_b32_e32 v5, v2
	v_lshl_add_u64 v[4:5], v[70:71], 0, v[4:5]
	v_cmp_gt_i64_e32 vcc, s[12:13], v[4:5]
	v_mov_b32_e32 v86, 0
	s_and_saveexec_b64 s[28:29], vcc
	s_cbranch_execz .LBB166_153
; %bb.152:                              ;   in Loop: Header=BB166_149 Depth=1
	v_lshl_add_u64 v[4:5], v[4:5], 2, s[10:11]
	global_load_dword v86, v[4:5], off
.LBB166_153:                            ;   in Loop: Header=BB166_149 Depth=1
	s_or_b64 exec, exec, s[28:29]
.LBB166_154:                            ;   in Loop: Header=BB166_149 Depth=1
	s_or_b64 exec, exec, s[18:19]
	v_mov_b32_e32 v4, v2
	v_mov_b32_e32 v5, v2
	;; [unrolled: 1-line block ×31, first 2 shown]
	v_mov_b64_e32 v[34:35], v[32:33]
	v_cmp_gt_i64_e32 vcc, s[12:13], v[70:71]
	v_mov_b64_e32 v[32:33], v[30:31]
	v_mov_b64_e32 v[30:31], v[28:29]
	;; [unrolled: 1-line block ×15, first 2 shown]
	s_and_saveexec_b64 s[18:19], vcc
	s_cbranch_execz .LBB166_156
; %bb.155:                              ;   in Loop: Header=BB166_149 Depth=1
	v_lshl_add_u64 v[4:5], v[164:165], 0, v[162:163]
	global_load_ushort v3, v[4:5], off
	v_lshl_add_u64 v[4:5], v[166:167], 0, v[162:163]
	global_load_ushort v33, v[4:5], off
	v_mov_b32_e32 v5, v2
	v_mov_b32_e32 v6, v2
	;; [unrolled: 1-line block ×30, first 2 shown]
	s_waitcnt vmcnt(1)
	v_cvt_f32_f16_e32 v4, v3
	s_waitcnt vmcnt(0)
	v_cvt_f32_f16_e32 v3, v33
	v_mov_b32_e32 v33, v2
	v_accvgpr_write_b32 a2, v3
.LBB166_156:                            ;   in Loop: Header=BB166_149 Depth=1
	s_or_b64 exec, exec, s[18:19]
	v_lshl_add_u64 v[72:73], v[70:71], 0, 1
	v_cmp_gt_i64_e32 vcc, s[12:13], v[72:73]
	v_accvgpr_write_b32 a3, 0
	v_accvgpr_write_b32 a4, 0
	s_and_saveexec_b64 s[18:19], vcc
	s_cbranch_execz .LBB166_158
; %bb.157:                              ;   in Loop: Header=BB166_149 Depth=1
	v_lshl_add_u64 v[72:73], v[66:67], 0, v[162:163]
	global_load_ushort v3, v[72:73], off
	v_lshl_add_u64 v[72:73], v[68:69], 0, v[162:163]
	global_load_ushort v72, v[72:73], off
	s_waitcnt vmcnt(1)
	v_cvt_f32_f16_e32 v5, v3
	s_waitcnt vmcnt(0)
	v_cvt_f32_f16_e32 v3, v72
	v_accvgpr_write_b32 a4, v3
.LBB166_158:                            ;   in Loop: Header=BB166_149 Depth=1
	s_or_b64 exec, exec, s[18:19]
	v_lshl_add_u64 v[72:73], v[70:71], 0, 2
	v_cmp_gt_i64_e32 vcc, s[12:13], v[72:73]
	s_and_saveexec_b64 s[18:19], vcc
	s_cbranch_execz .LBB166_160
; %bb.159:                              ;   in Loop: Header=BB166_149 Depth=1
	v_lshl_add_u64 v[72:73], v[62:63], 0, v[162:163]
	global_load_ushort v3, v[72:73], off
	v_lshl_add_u64 v[72:73], v[64:65], 0, v[162:163]
	global_load_ushort v72, v[72:73], off
	s_waitcnt vmcnt(1)
	v_cvt_f32_f16_e32 v6, v3
	s_waitcnt vmcnt(0)
	v_cvt_f32_f16_e32 v3, v72
	v_accvgpr_write_b32 a3, v3
.LBB166_160:                            ;   in Loop: Header=BB166_149 Depth=1
	s_or_b64 exec, exec, s[18:19]
	v_lshl_add_u64 v[72:73], v[70:71], 0, 3
	v_cmp_gt_i64_e32 vcc, s[12:13], v[72:73]
	v_accvgpr_write_b32 a5, 0
	v_accvgpr_write_b32 a6, 0
	s_and_saveexec_b64 s[18:19], vcc
	s_cbranch_execz .LBB166_162
; %bb.161:                              ;   in Loop: Header=BB166_149 Depth=1
	v_lshl_add_u64 v[72:73], v[58:59], 0, v[162:163]
	global_load_ushort v3, v[72:73], off
	v_lshl_add_u64 v[72:73], v[60:61], 0, v[162:163]
	global_load_ushort v72, v[72:73], off
	s_waitcnt vmcnt(1)
	v_cvt_f32_f16_e32 v7, v3
	s_waitcnt vmcnt(0)
	v_cvt_f32_f16_e32 v3, v72
	v_accvgpr_write_b32 a6, v3
.LBB166_162:                            ;   in Loop: Header=BB166_149 Depth=1
	s_or_b64 exec, exec, s[18:19]
	v_lshl_add_u64 v[72:73], v[70:71], 0, 4
	v_cmp_gt_i64_e32 vcc, s[12:13], v[72:73]
	s_and_saveexec_b64 s[18:19], vcc
	s_cbranch_execz .LBB166_164
; %bb.163:                              ;   in Loop: Header=BB166_149 Depth=1
	v_lshl_add_u64 v[72:73], v[54:55], 0, v[162:163]
	global_load_ushort v3, v[72:73], off
	v_lshl_add_u64 v[72:73], v[56:57], 0, v[162:163]
	global_load_ushort v72, v[72:73], off
	s_waitcnt vmcnt(1)
	v_cvt_f32_f16_e32 v8, v3
	s_waitcnt vmcnt(0)
	v_cvt_f32_f16_e32 v3, v72
	v_accvgpr_write_b32 a5, v3
.LBB166_164:                            ;   in Loop: Header=BB166_149 Depth=1
	s_or_b64 exec, exec, s[18:19]
	v_lshl_add_u64 v[72:73], v[70:71], 0, 5
	v_cmp_gt_i64_e32 vcc, s[12:13], v[72:73]
	v_accvgpr_write_b32 a7, 0
	v_accvgpr_write_b32 a8, 0
	s_and_saveexec_b64 s[18:19], vcc
	s_cbranch_execz .LBB166_166
; %bb.165:                              ;   in Loop: Header=BB166_149 Depth=1
	v_lshl_add_u64 v[72:73], v[50:51], 0, v[162:163]
	global_load_ushort v3, v[72:73], off
	v_lshl_add_u64 v[72:73], v[52:53], 0, v[162:163]
	global_load_ushort v72, v[72:73], off
	s_waitcnt vmcnt(1)
	v_cvt_f32_f16_e32 v9, v3
	s_waitcnt vmcnt(0)
	v_cvt_f32_f16_e32 v3, v72
	v_accvgpr_write_b32 a8, v3
.LBB166_166:                            ;   in Loop: Header=BB166_149 Depth=1
	s_or_b64 exec, exec, s[18:19]
	v_lshl_add_u64 v[72:73], v[70:71], 0, 6
	v_cmp_gt_i64_e32 vcc, s[12:13], v[72:73]
	s_and_saveexec_b64 s[18:19], vcc
	s_cbranch_execz .LBB166_168
; %bb.167:                              ;   in Loop: Header=BB166_149 Depth=1
	v_lshl_add_u64 v[72:73], v[46:47], 0, v[162:163]
	global_load_ushort v3, v[72:73], off
	v_lshl_add_u64 v[72:73], v[48:49], 0, v[162:163]
	global_load_ushort v72, v[72:73], off
	s_waitcnt vmcnt(1)
	v_cvt_f32_f16_e32 v10, v3
	s_waitcnt vmcnt(0)
	v_cvt_f32_f16_e32 v3, v72
	v_accvgpr_write_b32 a7, v3
.LBB166_168:                            ;   in Loop: Header=BB166_149 Depth=1
	s_or_b64 exec, exec, s[18:19]
	v_lshl_add_u64 v[72:73], v[70:71], 0, 7
	v_cmp_gt_i64_e32 vcc, s[12:13], v[72:73]
	v_accvgpr_write_b32 a9, 0
	v_accvgpr_write_b32 a10, 0
	s_and_saveexec_b64 s[18:19], vcc
	s_cbranch_execz .LBB166_170
; %bb.169:                              ;   in Loop: Header=BB166_149 Depth=1
	v_lshl_add_u64 v[72:73], v[42:43], 0, v[162:163]
	global_load_ushort v3, v[72:73], off
	v_lshl_add_u64 v[72:73], v[44:45], 0, v[162:163]
	global_load_ushort v72, v[72:73], off
	s_waitcnt vmcnt(1)
	v_cvt_f32_f16_e32 v11, v3
	s_waitcnt vmcnt(0)
	v_cvt_f32_f16_e32 v3, v72
	v_accvgpr_write_b32 a10, v3
.LBB166_170:                            ;   in Loop: Header=BB166_149 Depth=1
	s_or_b64 exec, exec, s[18:19]
	v_lshl_add_u64 v[72:73], v[70:71], 0, 8
	v_cmp_gt_i64_e32 vcc, s[12:13], v[72:73]
	s_and_saveexec_b64 s[18:19], vcc
	s_cbranch_execz .LBB166_172
; %bb.171:                              ;   in Loop: Header=BB166_149 Depth=1
	v_lshl_add_u64 v[72:73], v[38:39], 0, v[162:163]
	global_load_ushort v3, v[72:73], off
	v_lshl_add_u64 v[72:73], v[40:41], 0, v[162:163]
	global_load_ushort v72, v[72:73], off
	s_waitcnt vmcnt(1)
	v_cvt_f32_f16_e32 v12, v3
	s_waitcnt vmcnt(0)
	v_cvt_f32_f16_e32 v3, v72
	v_accvgpr_write_b32 a9, v3
.LBB166_172:                            ;   in Loop: Header=BB166_149 Depth=1
	s_or_b64 exec, exec, s[18:19]
	v_lshl_add_u64 v[72:73], v[70:71], 0, 9
	v_cmp_gt_i64_e32 vcc, s[12:13], v[72:73]
	v_accvgpr_write_b32 a11, 0
	v_accvgpr_write_b32 a12, 0
	s_and_saveexec_b64 s[18:19], vcc
	s_cbranch_execz .LBB166_174
; %bb.173:                              ;   in Loop: Header=BB166_149 Depth=1
	v_lshl_add_u64 v[72:73], v[36:37], 0, v[162:163]
	global_load_ushort v3, v[72:73], off
	v_lshl_add_u64 v[72:73], v[0:1], 0, v[162:163]
	global_load_ushort v72, v[72:73], off
	s_waitcnt vmcnt(1)
	v_cvt_f32_f16_e32 v13, v3
	s_waitcnt vmcnt(0)
	v_cvt_f32_f16_e32 v3, v72
	v_accvgpr_write_b32 a12, v3
.LBB166_174:                            ;   in Loop: Header=BB166_149 Depth=1
	s_or_b64 exec, exec, s[18:19]
	v_lshl_add_u64 v[72:73], v[70:71], 0, 10
	v_cmp_gt_i64_e32 vcc, s[12:13], v[72:73]
	s_and_saveexec_b64 s[18:19], vcc
	s_cbranch_execz .LBB166_176
; %bb.175:                              ;   in Loop: Header=BB166_149 Depth=1
	v_lshl_add_u64 v[72:73], v[252:253], 0, v[162:163]
	global_load_ushort v3, v[72:73], off
	v_lshl_add_u64 v[72:73], v[254:255], 0, v[162:163]
	global_load_ushort v72, v[72:73], off
	s_waitcnt vmcnt(1)
	v_cvt_f32_f16_e32 v14, v3
	s_waitcnt vmcnt(0)
	v_cvt_f32_f16_e32 v3, v72
	v_accvgpr_write_b32 a11, v3
.LBB166_176:                            ;   in Loop: Header=BB166_149 Depth=1
	s_or_b64 exec, exec, s[18:19]
	v_lshl_add_u64 v[72:73], v[70:71], 0, 11
	v_cmp_gt_i64_e32 vcc, s[12:13], v[72:73]
	v_accvgpr_write_b32 a13, 0
	v_accvgpr_write_b32 a73, 0
	s_and_saveexec_b64 s[18:19], vcc
	s_cbranch_execz .LBB166_178
; %bb.177:                              ;   in Loop: Header=BB166_149 Depth=1
	v_lshl_add_u64 v[72:73], v[248:249], 0, v[162:163]
	global_load_ushort v3, v[72:73], off
	v_lshl_add_u64 v[72:73], v[250:251], 0, v[162:163]
	global_load_ushort v72, v[72:73], off
	s_waitcnt vmcnt(1)
	v_cvt_f32_f16_e32 v15, v3
	s_waitcnt vmcnt(0)
	v_cvt_f32_f16_e32 v3, v72
	v_accvgpr_write_b32 a73, v3
.LBB166_178:                            ;   in Loop: Header=BB166_149 Depth=1
	s_or_b64 exec, exec, s[18:19]
	v_lshl_add_u64 v[72:73], v[70:71], 0, 12
	v_cmp_gt_i64_e32 vcc, s[12:13], v[72:73]
	s_and_saveexec_b64 s[18:19], vcc
	s_cbranch_execz .LBB166_180
; %bb.179:                              ;   in Loop: Header=BB166_149 Depth=1
	v_lshl_add_u64 v[72:73], v[244:245], 0, v[162:163]
	global_load_ushort v3, v[72:73], off
	v_lshl_add_u64 v[72:73], v[246:247], 0, v[162:163]
	global_load_ushort v72, v[72:73], off
	s_waitcnt vmcnt(1)
	v_cvt_f32_f16_e32 v16, v3
	s_waitcnt vmcnt(0)
	v_cvt_f32_f16_e32 v3, v72
	v_accvgpr_write_b32 a13, v3
.LBB166_180:                            ;   in Loop: Header=BB166_149 Depth=1
	s_or_b64 exec, exec, s[18:19]
	v_lshl_add_u64 v[72:73], v[70:71], 0, 13
	v_cmp_gt_i64_e32 vcc, s[12:13], v[72:73]
	v_accvgpr_write_b32 a74, 0
	v_mov_b32_e32 v87, 0
	s_and_saveexec_b64 s[18:19], vcc
	s_cbranch_execz .LBB166_182
; %bb.181:                              ;   in Loop: Header=BB166_149 Depth=1
	v_lshl_add_u64 v[72:73], v[240:241], 0, v[162:163]
	global_load_ushort v3, v[72:73], off
	v_lshl_add_u64 v[72:73], v[242:243], 0, v[162:163]
	global_load_ushort v72, v[72:73], off
	s_waitcnt vmcnt(1)
	v_cvt_f32_f16_e32 v17, v3
	s_waitcnt vmcnt(0)
	v_cvt_f32_f16_e32 v87, v72
.LBB166_182:                            ;   in Loop: Header=BB166_149 Depth=1
	s_or_b64 exec, exec, s[18:19]
	v_lshl_add_u64 v[72:73], v[70:71], 0, 14
	v_cmp_gt_i64_e32 vcc, s[12:13], v[72:73]
	s_and_saveexec_b64 s[18:19], vcc
	s_cbranch_execz .LBB166_184
; %bb.183:                              ;   in Loop: Header=BB166_149 Depth=1
	v_lshl_add_u64 v[72:73], v[236:237], 0, v[162:163]
	global_load_ushort v3, v[72:73], off
	v_lshl_add_u64 v[72:73], v[238:239], 0, v[162:163]
	global_load_ushort v72, v[72:73], off
	s_waitcnt vmcnt(1)
	v_cvt_f32_f16_e32 v18, v3
	s_waitcnt vmcnt(0)
	v_cvt_f32_f16_e32 v3, v72
	v_accvgpr_write_b32 a74, v3
.LBB166_184:                            ;   in Loop: Header=BB166_149 Depth=1
	s_or_b64 exec, exec, s[18:19]
	v_lshl_add_u64 v[72:73], v[70:71], 0, 15
	v_cmp_gt_i64_e32 vcc, s[12:13], v[72:73]
	v_mov_b32_e32 v3, 0
	v_mov_b32_e32 v89, 0
	s_and_saveexec_b64 s[18:19], vcc
	s_cbranch_execz .LBB166_186
; %bb.185:                              ;   in Loop: Header=BB166_149 Depth=1
	v_lshl_add_u64 v[72:73], v[232:233], 0, v[162:163]
	global_load_ushort v19, v[72:73], off
	v_lshl_add_u64 v[72:73], v[234:235], 0, v[162:163]
	global_load_ushort v72, v[72:73], off
	s_waitcnt vmcnt(1)
	v_cvt_f32_f16_e32 v19, v19
	s_waitcnt vmcnt(0)
	v_cvt_f32_f16_e32 v89, v72
.LBB166_186:                            ;   in Loop: Header=BB166_149 Depth=1
	s_or_b64 exec, exec, s[18:19]
	v_lshl_add_u64 v[72:73], v[70:71], 0, 16
	v_cmp_gt_i64_e32 vcc, s[12:13], v[72:73]
	s_and_saveexec_b64 s[18:19], vcc
	s_cbranch_execz .LBB166_188
; %bb.187:                              ;   in Loop: Header=BB166_149 Depth=1
	v_lshl_add_u64 v[72:73], v[228:229], 0, v[162:163]
	global_load_ushort v3, v[72:73], off
	v_lshl_add_u64 v[72:73], v[230:231], 0, v[162:163]
	global_load_ushort v72, v[72:73], off
	s_waitcnt vmcnt(1)
	v_cvt_f32_f16_e32 v20, v3
	s_waitcnt vmcnt(0)
	v_cvt_f32_f16_e32 v3, v72
.LBB166_188:                            ;   in Loop: Header=BB166_149 Depth=1
	s_or_b64 exec, exec, s[18:19]
	v_lshl_add_u64 v[72:73], v[70:71], 0, 17
	v_cmp_gt_i64_e32 vcc, s[12:13], v[72:73]
	v_mov_b32_e32 v88, 0
	v_mov_b32_e32 v90, 0
	s_and_saveexec_b64 s[18:19], vcc
	s_cbranch_execz .LBB166_190
; %bb.189:                              ;   in Loop: Header=BB166_149 Depth=1
	v_lshl_add_u64 v[72:73], v[224:225], 0, v[162:163]
	global_load_ushort v21, v[72:73], off
	v_lshl_add_u64 v[72:73], v[226:227], 0, v[162:163]
	global_load_ushort v72, v[72:73], off
	s_waitcnt vmcnt(1)
	v_cvt_f32_f16_e32 v21, v21
	s_waitcnt vmcnt(0)
	v_cvt_f32_f16_e32 v90, v72
.LBB166_190:                            ;   in Loop: Header=BB166_149 Depth=1
	s_or_b64 exec, exec, s[18:19]
	v_lshl_add_u64 v[72:73], v[70:71], 0, 18
	v_cmp_gt_i64_e32 vcc, s[12:13], v[72:73]
	s_and_saveexec_b64 s[18:19], vcc
	s_cbranch_execz .LBB166_192
; %bb.191:                              ;   in Loop: Header=BB166_149 Depth=1
	v_lshl_add_u64 v[72:73], v[220:221], 0, v[162:163]
	global_load_ushort v22, v[72:73], off
	v_lshl_add_u64 v[72:73], v[222:223], 0, v[162:163]
	global_load_ushort v72, v[72:73], off
	s_waitcnt vmcnt(1)
	v_cvt_f32_f16_e32 v22, v22
	s_waitcnt vmcnt(0)
	v_cvt_f32_f16_e32 v88, v72
.LBB166_192:                            ;   in Loop: Header=BB166_149 Depth=1
	;; [unrolled: 32-line block ×8, first 2 shown]
	s_or_b64 exec, exec, s[18:19]
	v_lshl_add_u64 v[92:93], v[70:71], 0, 31
	v_cmp_gt_i64_e32 vcc, s[12:13], v[92:93]
	v_mov_b32_e32 v83, 0
	s_and_saveexec_b64 s[18:19], vcc
	s_cbranch_execz .LBB166_218
; %bb.217:                              ;   in Loop: Header=BB166_149 Depth=1
	v_lshl_add_u64 v[92:93], v[168:169], 0, v[162:163]
	global_load_ushort v35, v[92:93], off
	v_lshl_add_u64 v[92:93], v[170:171], 0, v[162:163]
	global_load_ushort v83, v[92:93], off
	s_waitcnt vmcnt(1)
	v_cvt_f32_f16_e32 v35, v35
	s_waitcnt vmcnt(0)
	v_cvt_f32_f16_e32 v83, v83
.LBB166_218:                            ;   in Loop: Header=BB166_149 Depth=1
	s_or_b64 exec, exec, s[18:19]
	s_waitcnt vmcnt(0)
	ds_bpermute_b32 v92, v84, v86
	v_accvgpr_read_b32 v93, a2
	v_mul_f32_e32 v4, v93, v4
	v_accvgpr_read_b32 v93, a4
	v_mul_f32_e32 v5, v93, v5
	s_waitcnt lgkmcnt(0)
	v_fma_f32 v92, v4, v92, v85
	ds_bpermute_b32 v4, v84, v86 offset:4
	v_mul_f32_e32 v3, v3, v20
	s_mov_b64 s[18:19], 0
	s_waitcnt lgkmcnt(0)
	v_fmac_f32_e32 v92, v5, v4
	ds_bpermute_b32 v4, v84, v86 offset:8
	v_accvgpr_read_b32 v5, a3
	v_mul_f32_e32 v5, v5, v6
	s_waitcnt lgkmcnt(0)
	v_fmac_f32_e32 v92, v5, v4
	ds_bpermute_b32 v4, v84, v86 offset:12
	v_accvgpr_read_b32 v5, a6
	v_mul_f32_e32 v5, v5, v7
	v_pk_mul_f32 v[6:7], v[72:73], v[24:25]
	s_waitcnt lgkmcnt(0)
	v_fmac_f32_e32 v92, v5, v4
	ds_bpermute_b32 v4, v84, v86 offset:16
	v_accvgpr_read_b32 v5, a5
	v_mul_f32_e32 v5, v5, v8
	s_waitcnt lgkmcnt(0)
	v_fmac_f32_e32 v92, v5, v4
	ds_bpermute_b32 v4, v84, v86 offset:20
	v_accvgpr_read_b32 v5, a8
	v_mul_f32_e32 v5, v5, v9
	;; [unrolled: 5-line block ×9, first 2 shown]
	s_waitcnt lgkmcnt(0)
	v_fmac_f32_e32 v92, v5, v4
	ds_bpermute_b32 v4, v84, v86 offset:52
	v_mul_f32_e32 v5, v87, v17
	s_waitcnt lgkmcnt(0)
	v_fmac_f32_e32 v92, v5, v4
	ds_bpermute_b32 v4, v84, v86 offset:56
	v_accvgpr_read_b32 v5, a74
	v_mul_f32_e32 v5, v5, v18
	s_waitcnt lgkmcnt(0)
	v_fmac_f32_e32 v92, v5, v4
	ds_bpermute_b32 v4, v84, v86 offset:60
	v_mul_f32_e32 v5, v89, v19
	s_waitcnt lgkmcnt(0)
	v_fmac_f32_e32 v92, v5, v4
	ds_bpermute_b32 v4, v84, v86 offset:64
	ds_bpermute_b32 v5, v84, v86 offset:84
	s_waitcnt lgkmcnt(1)
	v_fmac_f32_e32 v92, v3, v4
	ds_bpermute_b32 v3, v84, v86 offset:68
	v_mul_f32_e32 v4, v90, v21
	s_waitcnt lgkmcnt(0)
	v_fmac_f32_e32 v92, v4, v3
	ds_bpermute_b32 v3, v84, v86 offset:72
	v_mul_f32_e32 v4, v88, v22
	;; [unrolled: 4-line block ×3, first 2 shown]
	s_waitcnt lgkmcnt(0)
	v_fmac_f32_e32 v92, v4, v3
	ds_bpermute_b32 v4, v84, v86 offset:80
	s_waitcnt lgkmcnt(0)
	v_pk_mul_f32 v[4:5], v[6:7], v[4:5]
	s_nop 0
	v_add_f32_e32 v3, v92, v4
	v_add_f32_e32 v3, v3, v5
	ds_bpermute_b32 v4, v84, v86 offset:88
	ds_bpermute_b32 v5, v84, v86 offset:92
	v_pk_mul_f32 v[6:7], v[74:75], v[26:27]
	s_waitcnt lgkmcnt(0)
	v_pk_mul_f32 v[4:5], v[6:7], v[4:5]
	s_nop 0
	v_add_f32_e32 v3, v3, v4
	v_add_f32_e32 v3, v3, v5
	ds_bpermute_b32 v4, v84, v86 offset:96
	ds_bpermute_b32 v5, v84, v86 offset:100
	v_pk_mul_f32 v[6:7], v[76:77], v[28:29]
	;; [unrolled: 8-line block ×5, first 2 shown]
	s_waitcnt lgkmcnt(0)
	v_pk_mul_f32 v[4:5], v[6:7], v[4:5]
	s_nop 0
	v_add_f32_e32 v3, v3, v4
	v_add_f32_e32 v3, v3, v5
.LBB166_219:                            ;   in Loop: Header=BB166_149 Depth=1
	s_and_b64 vcc, exec, s[18:19]
	s_cbranch_vccz .LBB166_225
; %bb.220:                              ;   in Loop: Header=BB166_149 Depth=1
	s_load_dword s3, s[22:23], 0x0
	v_accvgpr_read_b32 v4, a1
	v_accvgpr_read_b32 v5, a72
	s_waitcnt lgkmcnt(0)
	s_cmp_lt_u32 s2, s3
	s_cselect_b32 s3, 12, 18
	s_add_u32 s18, s22, s3
	s_addc_u32 s19, s23, 0
	global_load_ushort v3, v2, s[18:19]
	s_waitcnt vmcnt(0)
	v_mad_u32_u24 v3, v4, v3, v5
	v_and_b32_e32 v4, 63, v3
	v_cmp_gt_u32_e32 vcc, 32, v4
	v_mov_b32_e32 v3, 0
	s_and_saveexec_b64 s[18:19], vcc
	s_cbranch_execz .LBB166_224
; %bb.221:                              ;   in Loop: Header=BB166_149 Depth=1
	v_mov_b32_e32 v5, v2
	v_lshl_add_u64 v[4:5], v[70:71], 0, v[4:5]
	v_cmp_gt_i64_e32 vcc, s[12:13], v[4:5]
	v_mov_b32_e32 v3, 0
	s_and_saveexec_b64 s[28:29], vcc
	s_cbranch_execz .LBB166_223
; %bb.222:                              ;   in Loop: Header=BB166_149 Depth=1
	v_lshl_add_u64 v[4:5], v[4:5], 2, s[10:11]
	global_load_dword v3, v[4:5], off
.LBB166_223:                            ;   in Loop: Header=BB166_149 Depth=1
	s_or_b64 exec, exec, s[28:29]
.LBB166_224:                            ;   in Loop: Header=BB166_149 Depth=1
	s_or_b64 exec, exec, s[18:19]
	v_lshl_add_u64 v[4:5], v[164:165], 0, v[162:163]
	global_load_ushort v4, v[4:5], off
	v_accvgpr_write_b32 a2, v94
	v_accvgpr_write_b32 a3, v95
	;; [unrolled: 1-line block ×12, first 2 shown]
	s_waitcnt vmcnt(0)
	v_cvt_f32_f16_e32 v6, v4
	v_lshl_add_u64 v[4:5], v[166:167], 0, v[162:163]
	global_load_ushort v4, v[4:5], off
	s_waitcnt vmcnt(0)
	v_cvt_f32_f16_e32 v7, v4
	v_lshl_add_u64 v[4:5], v[94:95], 0, v[162:163]
	global_load_ushort v4, v[4:5], off
	;; [unrolled: 4-line block ×6, first 2 shown]
	s_waitcnt vmcnt(0)
	v_cvt_f32_f16_e32 v12, v4
	v_accvgpr_read_b32 v4, a14
	v_accvgpr_read_b32 v5, a15
	v_lshl_add_u64 v[4:5], v[4:5], 0, v[162:163]
	global_load_ushort v4, v[4:5], off
	s_waitcnt vmcnt(0)
	v_cvt_f32_f16_e32 v13, v4
	v_lshl_add_u64 v[4:5], v[102:103], 0, v[162:163]
	global_load_ushort v4, v[4:5], off
	s_waitcnt vmcnt(0)
	v_cvt_f32_f16_e32 v14, v4
	v_accvgpr_read_b32 v4, a16
	v_accvgpr_read_b32 v5, a17
	v_lshl_add_u64 v[4:5], v[4:5], 0, v[162:163]
	global_load_ushort v4, v[4:5], off
	s_waitcnt vmcnt(0)
	v_cvt_f32_f16_e32 v15, v4
	v_accvgpr_read_b32 v4, a18
	v_accvgpr_read_b32 v5, a19
	;; [unrolled: 6-line block ×28, first 2 shown]
	v_lshl_add_u64 v[4:5], v[4:5], 0, v[162:163]
	global_load_ushort v4, v[4:5], off
	s_waitcnt vmcnt(0)
	v_cvt_f32_f16_e32 v76, v4
	v_lshl_add_u64 v[4:5], v[106:107], 0, v[162:163]
	global_load_ushort v4, v[4:5], off
	s_waitcnt vmcnt(0)
	v_cvt_f32_f16_e32 v77, v4
	v_lshl_add_u64 v[4:5], v[108:109], 0, v[162:163]
	global_load_ushort v4, v[4:5], off
	s_waitcnt vmcnt(0)
	v_cvt_f32_f16_e32 v78, v4
	v_lshl_add_u64 v[4:5], v[110:111], 0, v[162:163]
	global_load_ushort v4, v[4:5], off
	s_waitcnt vmcnt(0)
	v_cvt_f32_f16_e32 v79, v4
	v_lshl_add_u64 v[4:5], v[112:113], 0, v[162:163]
	global_load_ushort v80, v[4:5], off
	v_lshl_add_u64 v[4:5], v[114:115], 0, v[162:163]
	global_load_ushort v81, v[4:5], off
	;; [unrolled: 2-line block ×24, first 2 shown]
	ds_bpermute_b32 v4, v84, v3
	v_mul_f32_e32 v5, v6, v7
	s_waitcnt lgkmcnt(0)
	v_fmac_f32_e32 v85, v5, v4
	ds_bpermute_b32 v4, v84, v3 offset:4
	v_mul_f32_e32 v5, v8, v9
	s_waitcnt lgkmcnt(0)
	v_fmac_f32_e32 v85, v5, v4
	ds_bpermute_b32 v4, v84, v3 offset:8
	;; [unrolled: 4-line block ×5, first 2 shown]
	v_mul_f32_e32 v5, v16, v17
	s_waitcnt vmcnt(23)
	v_cvt_f32_f16_e32 v6, v80
	s_waitcnt lgkmcnt(0)
	v_fmac_f32_e32 v85, v5, v4
	ds_bpermute_b32 v4, v84, v3 offset:24
	v_mul_f32_e32 v5, v18, v19
	s_waitcnt vmcnt(21)
	v_cvt_f32_f16_e32 v7, v82
	s_waitcnt vmcnt(20)
	v_cvt_f32_f16_e32 v9, v83
	v_cvt_f32_f16_e32 v8, v81
	s_waitcnt lgkmcnt(0)
	v_fmac_f32_e32 v85, v5, v4
	ds_bpermute_b32 v4, v84, v3 offset:28
	v_mul_f32_e32 v5, v20, v21
	v_pk_mul_f32 v[6:7], v[6:7], v[8:9]
	s_waitcnt vmcnt(18)
	v_cvt_f32_f16_e32 v8, v87
	s_waitcnt lgkmcnt(0)
	v_fmac_f32_e32 v85, v5, v4
	ds_bpermute_b32 v4, v84, v3 offset:32
	v_mul_f32_e32 v5, v22, v23
	s_waitcnt vmcnt(16)
	v_cvt_f32_f16_e32 v9, v89
	s_waitcnt lgkmcnt(0)
	v_fmac_f32_e32 v85, v5, v4
	ds_bpermute_b32 v4, v84, v3 offset:36
	v_mul_f32_e32 v5, v24, v25
	s_waitcnt lgkmcnt(0)
	v_fmac_f32_e32 v85, v5, v4
	ds_bpermute_b32 v4, v84, v3 offset:40
	v_mul_f32_e32 v5, v26, v27
	s_waitcnt lgkmcnt(0)
	v_fmac_f32_e32 v85, v5, v4
	ds_bpermute_b32 v4, v84, v3 offset:44
	v_mul_f32_e32 v5, v28, v29
	s_waitcnt lgkmcnt(0)
	v_fmac_f32_e32 v85, v5, v4
	ds_bpermute_b32 v4, v84, v3 offset:48
	v_mul_f32_e32 v5, v30, v31
	s_waitcnt lgkmcnt(0)
	v_fmac_f32_e32 v85, v5, v4
	ds_bpermute_b32 v4, v84, v3 offset:52
	v_mul_f32_e32 v5, v32, v33
	s_waitcnt lgkmcnt(0)
	v_fmac_f32_e32 v85, v5, v4
	ds_bpermute_b32 v4, v84, v3 offset:56
	v_mul_f32_e32 v5, v34, v35
	s_waitcnt lgkmcnt(0)
	v_fmac_f32_e32 v85, v5, v4
	ds_bpermute_b32 v4, v84, v3 offset:60
	v_mul_f32_e32 v5, v70, v71
	s_waitcnt lgkmcnt(0)
	v_fmac_f32_e32 v85, v5, v4
	ds_bpermute_b32 v4, v84, v3 offset:64
	v_mul_f32_e32 v5, v72, v73
	s_waitcnt lgkmcnt(0)
	v_fmac_f32_e32 v85, v5, v4
	ds_bpermute_b32 v4, v84, v3 offset:68
	v_mul_f32_e32 v5, v74, v75
	s_waitcnt lgkmcnt(0)
	v_fmac_f32_e32 v85, v5, v4
	ds_bpermute_b32 v4, v84, v3 offset:72
	v_mul_f32_e32 v5, v76, v77
	s_waitcnt lgkmcnt(0)
	v_fmac_f32_e32 v85, v5, v4
	ds_bpermute_b32 v4, v84, v3 offset:76
	v_mul_f32_e32 v5, v78, v79
	s_waitcnt lgkmcnt(0)
	v_fmac_f32_e32 v85, v5, v4
	ds_bpermute_b32 v4, v84, v3 offset:80
	ds_bpermute_b32 v5, v84, v3 offset:84
	s_waitcnt lgkmcnt(0)
	v_pk_mul_f32 v[4:5], v[6:7], v[4:5]
	s_nop 0
	v_add_f32_e32 v4, v85, v4
	v_add_f32_e32 v10, v4, v5
	ds_bpermute_b32 v4, v84, v3 offset:88
	ds_bpermute_b32 v5, v84, v3 offset:92
	v_cvt_f32_f16_e32 v7, v88
	v_cvt_f32_f16_e32 v6, v86
	v_pk_mul_f32 v[6:7], v[6:7], v[8:9]
	s_waitcnt lgkmcnt(0)
	v_pk_mul_f32 v[4:5], v[6:7], v[4:5]
	s_waitcnt vmcnt(13)
	v_cvt_f32_f16_e32 v7, v92
	v_add_f32_e32 v4, v10, v4
	v_add_f32_e32 v10, v4, v5
	ds_bpermute_b32 v4, v84, v3 offset:96
	ds_bpermute_b32 v5, v84, v3 offset:100
	v_cvt_f32_f16_e32 v6, v90
	s_waitcnt vmcnt(12)
	v_cvt_f32_f16_e32 v9, v93
	v_cvt_f32_f16_e32 v8, v91
	v_pk_mul_f32 v[6:7], v[6:7], v[8:9]
	s_waitcnt lgkmcnt(0)
	v_pk_mul_f32 v[4:5], v[6:7], v[4:5]
	s_waitcnt vmcnt(9)
	v_cvt_f32_f16_e32 v7, v96
	v_add_f32_e32 v4, v10, v4
	v_add_f32_e32 v10, v4, v5
	ds_bpermute_b32 v4, v84, v3 offset:104
	ds_bpermute_b32 v5, v84, v3 offset:108
	v_cvt_f32_f16_e32 v6, v94
	s_waitcnt vmcnt(8)
	v_cvt_f32_f16_e32 v9, v97
	v_cvt_f32_f16_e32 v8, v95
	v_accvgpr_read_b32 v97, a5
	v_accvgpr_read_b32 v95, a3
	;; [unrolled: 1-line block ×3, first 2 shown]
	v_pk_mul_f32 v[6:7], v[6:7], v[8:9]
	s_waitcnt vmcnt(4)
	v_cvt_f32_f16_e32 v9, v101
	s_waitcnt lgkmcnt(0)
	v_pk_mul_f32 v[4:5], v[6:7], v[4:5]
	v_cvt_f32_f16_e32 v7, v100
	v_add_f32_e32 v4, v10, v4
	v_add_f32_e32 v10, v4, v5
	ds_bpermute_b32 v4, v84, v3 offset:112
	ds_bpermute_b32 v5, v84, v3 offset:116
	v_cvt_f32_f16_e32 v6, v98
	v_cvt_f32_f16_e32 v8, v99
	v_accvgpr_read_b32 v101, a9
	v_accvgpr_read_b32 v99, a7
	;; [unrolled: 1-line block ×3, first 2 shown]
	v_pk_mul_f32 v[6:7], v[6:7], v[8:9]
	s_waitcnt vmcnt(0)
	v_cvt_f32_f16_e32 v9, v105
	s_waitcnt lgkmcnt(0)
	v_pk_mul_f32 v[4:5], v[6:7], v[4:5]
	v_cvt_f32_f16_e32 v7, v104
	v_add_f32_e32 v4, v10, v4
	v_add_f32_e32 v10, v4, v5
	ds_bpermute_b32 v4, v84, v3 offset:120
	ds_bpermute_b32 v5, v84, v3 offset:124
	v_cvt_f32_f16_e32 v6, v102
	v_cvt_f32_f16_e32 v8, v103
	v_accvgpr_read_b32 v105, a13
	v_accvgpr_read_b32 v103, a11
	;; [unrolled: 1-line block ×3, first 2 shown]
	v_pk_mul_f32 v[6:7], v[6:7], v[8:9]
	v_accvgpr_read_b32 v98, a6
	s_waitcnt lgkmcnt(0)
	v_pk_mul_f32 v[4:5], v[6:7], v[4:5]
	v_accvgpr_read_b32 v104, a12
	v_add_f32_e32 v3, v10, v4
	v_accvgpr_read_b32 v102, a10
	v_add_f32_e32 v3, v3, v5
.LBB166_225:                            ;   in Loop: Header=BB166_149 Depth=1
	s_add_u32 s16, s16, s4
	s_addc_u32 s17, s17, 0
	v_mov_b64_e32 v[4:5], s[12:13]
	v_cmp_ge_i64_e32 vcc, s[16:17], v[4:5]
	v_accvgpr_read_b32 v4, a18
	v_accvgpr_read_b32 v5, a19
	v_lshl_add_u64 v[4:5], v[4:5], 0, s[24:25]
	v_accvgpr_write_b32 a19, v5
	v_accvgpr_write_b32 a18, v4
	v_accvgpr_read_b32 v4, a22
	v_accvgpr_read_b32 v5, a23
	v_lshl_add_u64 v[4:5], v[4:5], 0, s[24:25]
	v_accvgpr_write_b32 a23, v5
	v_accvgpr_write_b32 a22, v4
	;; [unrolled: 5-line block ×28, first 2 shown]
	v_accvgpr_read_b32 v4, a68
	v_accvgpr_read_b32 v5, a69
	s_add_u32 s26, s26, s4
	v_lshl_add_u64 v[164:165], v[164:165], 0, s[24:25]
	v_lshl_add_u64 v[166:167], v[166:167], 0, s[24:25]
	v_lshl_add_u64 v[160:161], v[160:161], 0, s[4:5]
	v_lshl_add_u64 v[94:95], v[94:95], 0, s[24:25]
	v_lshl_add_u64 v[96:97], v[96:97], 0, s[24:25]
	v_lshl_add_u64 v[98:99], v[98:99], 0, s[24:25]
	v_lshl_add_u64 v[102:103], v[102:103], 0, s[24:25]
	v_lshl_add_u64 v[108:109], v[108:109], 0, s[24:25]
	v_lshl_add_u64 v[112:113], v[112:113], 0, s[24:25]
	v_lshl_add_u64 v[116:117], v[116:117], 0, s[24:25]
	v_lshl_add_u64 v[120:121], v[120:121], 0, s[24:25]
	v_lshl_add_u64 v[124:125], v[124:125], 0, s[24:25]
	v_lshl_add_u64 v[128:129], v[128:129], 0, s[24:25]
	v_lshl_add_u64 v[132:133], v[132:133], 0, s[24:25]
	v_lshl_add_u64 v[136:137], v[136:137], 0, s[24:25]
	v_lshl_add_u64 v[140:141], v[140:141], 0, s[24:25]
	v_lshl_add_u64 v[144:145], v[144:145], 0, s[24:25]
	v_lshl_add_u64 v[148:149], v[148:149], 0, s[24:25]
	v_lshl_add_u64 v[152:153], v[152:153], 0, s[24:25]
	v_lshl_add_u64 v[156:157], v[156:157], 0, s[24:25]
	v_lshl_add_u64 v[100:101], v[100:101], 0, s[24:25]
	v_lshl_add_u64 v[104:105], v[104:105], 0, s[24:25]
	v_lshl_add_u64 v[4:5], v[4:5], 0, s[24:25]
	v_lshl_add_u64 v[106:107], v[106:107], 0, s[24:25]
	v_lshl_add_u64 v[110:111], v[110:111], 0, s[24:25]
	v_lshl_add_u64 v[114:115], v[114:115], 0, s[24:25]
	v_lshl_add_u64 v[118:119], v[118:119], 0, s[24:25]
	v_lshl_add_u64 v[122:123], v[122:123], 0, s[24:25]
	v_lshl_add_u64 v[126:127], v[126:127], 0, s[24:25]
	v_lshl_add_u64 v[130:131], v[130:131], 0, s[24:25]
	v_lshl_add_u64 v[134:135], v[134:135], 0, s[24:25]
	v_lshl_add_u64 v[138:139], v[138:139], 0, s[24:25]
	v_lshl_add_u64 v[142:143], v[142:143], 0, s[24:25]
	v_lshl_add_u64 v[146:147], v[146:147], 0, s[24:25]
	v_lshl_add_u64 v[150:151], v[150:151], 0, s[24:25]
	v_lshl_add_u64 v[154:155], v[154:155], 0, s[24:25]
	v_lshl_add_u64 v[158:159], v[158:159], 0, s[24:25]
	v_lshl_add_u64 v[168:169], v[168:169], 0, s[24:25]
	v_lshl_add_u64 v[170:171], v[170:171], 0, s[24:25]
	v_lshl_add_u64 v[172:173], v[172:173], 0, s[24:25]
	v_lshl_add_u64 v[174:175], v[174:175], 0, s[24:25]
	v_lshl_add_u64 v[176:177], v[176:177], 0, s[24:25]
	v_lshl_add_u64 v[178:179], v[178:179], 0, s[24:25]
	v_lshl_add_u64 v[180:181], v[180:181], 0, s[24:25]
	v_lshl_add_u64 v[182:183], v[182:183], 0, s[24:25]
	v_lshl_add_u64 v[184:185], v[184:185], 0, s[24:25]
	v_lshl_add_u64 v[186:187], v[186:187], 0, s[24:25]
	v_lshl_add_u64 v[188:189], v[188:189], 0, s[24:25]
	v_lshl_add_u64 v[190:191], v[190:191], 0, s[24:25]
	v_lshl_add_u64 v[192:193], v[192:193], 0, s[24:25]
	v_lshl_add_u64 v[194:195], v[194:195], 0, s[24:25]
	v_lshl_add_u64 v[196:197], v[196:197], 0, s[24:25]
	v_lshl_add_u64 v[198:199], v[198:199], 0, s[24:25]
	v_lshl_add_u64 v[200:201], v[200:201], 0, s[24:25]
	v_lshl_add_u64 v[202:203], v[202:203], 0, s[24:25]
	v_lshl_add_u64 v[204:205], v[204:205], 0, s[24:25]
	v_lshl_add_u64 v[206:207], v[206:207], 0, s[24:25]
	v_lshl_add_u64 v[208:209], v[208:209], 0, s[24:25]
	v_lshl_add_u64 v[210:211], v[210:211], 0, s[24:25]
	v_lshl_add_u64 v[212:213], v[212:213], 0, s[24:25]
	v_lshl_add_u64 v[214:215], v[214:215], 0, s[24:25]
	v_lshl_add_u64 v[216:217], v[216:217], 0, s[24:25]
	v_lshl_add_u64 v[218:219], v[218:219], 0, s[24:25]
	v_lshl_add_u64 v[220:221], v[220:221], 0, s[24:25]
	v_lshl_add_u64 v[222:223], v[222:223], 0, s[24:25]
	v_lshl_add_u64 v[224:225], v[224:225], 0, s[24:25]
	v_lshl_add_u64 v[226:227], v[226:227], 0, s[24:25]
	v_lshl_add_u64 v[228:229], v[228:229], 0, s[24:25]
	v_lshl_add_u64 v[230:231], v[230:231], 0, s[24:25]
	v_lshl_add_u64 v[232:233], v[232:233], 0, s[24:25]
	v_lshl_add_u64 v[234:235], v[234:235], 0, s[24:25]
	v_lshl_add_u64 v[236:237], v[236:237], 0, s[24:25]
	v_lshl_add_u64 v[238:239], v[238:239], 0, s[24:25]
	v_lshl_add_u64 v[240:241], v[240:241], 0, s[24:25]
	v_lshl_add_u64 v[242:243], v[242:243], 0, s[24:25]
	v_lshl_add_u64 v[244:245], v[244:245], 0, s[24:25]
	v_lshl_add_u64 v[246:247], v[246:247], 0, s[24:25]
	v_lshl_add_u64 v[248:249], v[248:249], 0, s[24:25]
	v_lshl_add_u64 v[250:251], v[250:251], 0, s[24:25]
	v_lshl_add_u64 v[252:253], v[252:253], 0, s[24:25]
	v_lshl_add_u64 v[254:255], v[254:255], 0, s[24:25]
	v_lshl_add_u64 v[36:37], v[36:37], 0, s[24:25]
	v_lshl_add_u64 v[0:1], v[0:1], 0, s[24:25]
	v_lshl_add_u64 v[38:39], v[38:39], 0, s[24:25]
	v_lshl_add_u64 v[40:41], v[40:41], 0, s[24:25]
	v_lshl_add_u64 v[42:43], v[42:43], 0, s[24:25]
	v_lshl_add_u64 v[44:45], v[44:45], 0, s[24:25]
	v_lshl_add_u64 v[46:47], v[46:47], 0, s[24:25]
	v_lshl_add_u64 v[48:49], v[48:49], 0, s[24:25]
	v_lshl_add_u64 v[50:51], v[50:51], 0, s[24:25]
	v_lshl_add_u64 v[52:53], v[52:53], 0, s[24:25]
	v_lshl_add_u64 v[54:55], v[54:55], 0, s[24:25]
	v_lshl_add_u64 v[56:57], v[56:57], 0, s[24:25]
	v_lshl_add_u64 v[58:59], v[58:59], 0, s[24:25]
	v_lshl_add_u64 v[60:61], v[60:61], 0, s[24:25]
	v_lshl_add_u64 v[62:63], v[62:63], 0, s[24:25]
	v_lshl_add_u64 v[64:65], v[64:65], 0, s[24:25]
	v_lshl_add_u64 v[66:67], v[66:67], 0, s[24:25]
	v_lshl_add_u64 v[68:69], v[68:69], 0, s[24:25]
	s_addc_u32 s27, 0, s27
	s_cbranch_vccnz .LBB166_227
; %bb.226:                              ;   in Loop: Header=BB166_149 Depth=1
	v_accvgpr_write_b32 a69, v5
	v_accvgpr_write_b32 a68, v4
	v_mov_b32_e32 v85, v3
	s_branch .LBB166_149
.LBB166_227:
	v_accvgpr_read_b32 v206, a0
.LBB166_228:
	s_mov_b32 s3, 0
	s_lshl_b64 s[2:3], s[2:3], 6
	v_and_b32_e32 v0, 0x3ff, v206
	v_or_b32_e32 v0, s2, v0
	v_mov_b32_e32 v1, s3
	s_waitcnt lgkmcnt(0)
	s_cmp_lg_u64 s[6:7], 0
	v_cmp_gt_i64_e32 vcc, s[14:15], v[0:1]
	s_cselect_b64 s[2:3], -1, 0
	s_and_b64 s[2:3], vcc, s[2:3]
	s_and_saveexec_b64 s[4:5], s[2:3]
	s_cbranch_execz .LBB166_230
; %bb.229:
	s_load_dword s0, s[0:1], 0x4c
	v_bfe_u32 v4, v206, 10, 10
	v_mov_b32_e32 v5, 0
	v_mov_b32_e32 v2, s8
	v_cvt_f16_f32_e32 v6, v3
	s_waitcnt lgkmcnt(0)
	s_lshr_b32 s0, s0, 16
	v_mad_u64_u32 v[4:5], s[0:1], s0, v2, v[4:5]
	v_mul_lo_u32 v5, v5, s14
	v_mul_lo_u32 v7, v4, s15
	v_mad_u64_u32 v[2:3], s[0:1], v4, s14, 0
	v_add3_u32 v3, v3, v7, v5
	v_lshl_add_u64 v[2:3], v[2:3], 1, s[6:7]
	v_lshl_add_u64 v[0:1], v[0:1], 1, v[2:3]
	global_store_short v[0:1], v6, off
.LBB166_230:
	s_endpgm
	.section	.rodata,"a",@progbits
	.p2align	6, 0x0
	.amdhsa_kernel _ZN2at6native12_GLOBAL__N_135GammaBetaBackwardCUDAKernelTemplateIN3c104HalfEfLj64ELj1ELj32ELb1ELb0ELb1EEEvllPKT_S7_PKT0_SA_PS5_SB_
		.amdhsa_group_segment_fixed_size 0
		.amdhsa_private_segment_fixed_size 0
		.amdhsa_kernarg_size 320
		.amdhsa_user_sgpr_count 2
		.amdhsa_user_sgpr_dispatch_ptr 0
		.amdhsa_user_sgpr_queue_ptr 0
		.amdhsa_user_sgpr_kernarg_segment_ptr 1
		.amdhsa_user_sgpr_dispatch_id 0
		.amdhsa_user_sgpr_kernarg_preload_length 0
		.amdhsa_user_sgpr_kernarg_preload_offset 0
		.amdhsa_user_sgpr_private_segment_size 0
		.amdhsa_uses_dynamic_stack 0
		.amdhsa_enable_private_segment 0
		.amdhsa_system_sgpr_workgroup_id_x 1
		.amdhsa_system_sgpr_workgroup_id_y 1
		.amdhsa_system_sgpr_workgroup_id_z 0
		.amdhsa_system_sgpr_workgroup_info 0
		.amdhsa_system_vgpr_workitem_id 1
		.amdhsa_next_free_vgpr 331
		.amdhsa_next_free_sgpr 38
		.amdhsa_accum_offset 256
		.amdhsa_reserve_vcc 1
		.amdhsa_float_round_mode_32 0
		.amdhsa_float_round_mode_16_64 0
		.amdhsa_float_denorm_mode_32 3
		.amdhsa_float_denorm_mode_16_64 3
		.amdhsa_dx10_clamp 1
		.amdhsa_ieee_mode 1
		.amdhsa_fp16_overflow 0
		.amdhsa_tg_split 0
		.amdhsa_exception_fp_ieee_invalid_op 0
		.amdhsa_exception_fp_denorm_src 0
		.amdhsa_exception_fp_ieee_div_zero 0
		.amdhsa_exception_fp_ieee_overflow 0
		.amdhsa_exception_fp_ieee_underflow 0
		.amdhsa_exception_fp_ieee_inexact 0
		.amdhsa_exception_int_div_zero 0
	.end_amdhsa_kernel
	.section	.text._ZN2at6native12_GLOBAL__N_135GammaBetaBackwardCUDAKernelTemplateIN3c104HalfEfLj64ELj1ELj32ELb1ELb0ELb1EEEvllPKT_S7_PKT0_SA_PS5_SB_,"axG",@progbits,_ZN2at6native12_GLOBAL__N_135GammaBetaBackwardCUDAKernelTemplateIN3c104HalfEfLj64ELj1ELj32ELb1ELb0ELb1EEEvllPKT_S7_PKT0_SA_PS5_SB_,comdat
.Lfunc_end166:
	.size	_ZN2at6native12_GLOBAL__N_135GammaBetaBackwardCUDAKernelTemplateIN3c104HalfEfLj64ELj1ELj32ELb1ELb0ELb1EEEvllPKT_S7_PKT0_SA_PS5_SB_, .Lfunc_end166-_ZN2at6native12_GLOBAL__N_135GammaBetaBackwardCUDAKernelTemplateIN3c104HalfEfLj64ELj1ELj32ELb1ELb0ELb1EEEvllPKT_S7_PKT0_SA_PS5_SB_
                                        ; -- End function
	.set _ZN2at6native12_GLOBAL__N_135GammaBetaBackwardCUDAKernelTemplateIN3c104HalfEfLj64ELj1ELj32ELb1ELb0ELb1EEEvllPKT_S7_PKT0_SA_PS5_SB_.num_vgpr, 256
	.set _ZN2at6native12_GLOBAL__N_135GammaBetaBackwardCUDAKernelTemplateIN3c104HalfEfLj64ELj1ELj32ELb1ELb0ELb1EEEvllPKT_S7_PKT0_SA_PS5_SB_.num_agpr, 75
	.set _ZN2at6native12_GLOBAL__N_135GammaBetaBackwardCUDAKernelTemplateIN3c104HalfEfLj64ELj1ELj32ELb1ELb0ELb1EEEvllPKT_S7_PKT0_SA_PS5_SB_.numbered_sgpr, 38
	.set _ZN2at6native12_GLOBAL__N_135GammaBetaBackwardCUDAKernelTemplateIN3c104HalfEfLj64ELj1ELj32ELb1ELb0ELb1EEEvllPKT_S7_PKT0_SA_PS5_SB_.num_named_barrier, 0
	.set _ZN2at6native12_GLOBAL__N_135GammaBetaBackwardCUDAKernelTemplateIN3c104HalfEfLj64ELj1ELj32ELb1ELb0ELb1EEEvllPKT_S7_PKT0_SA_PS5_SB_.private_seg_size, 0
	.set _ZN2at6native12_GLOBAL__N_135GammaBetaBackwardCUDAKernelTemplateIN3c104HalfEfLj64ELj1ELj32ELb1ELb0ELb1EEEvllPKT_S7_PKT0_SA_PS5_SB_.uses_vcc, 1
	.set _ZN2at6native12_GLOBAL__N_135GammaBetaBackwardCUDAKernelTemplateIN3c104HalfEfLj64ELj1ELj32ELb1ELb0ELb1EEEvllPKT_S7_PKT0_SA_PS5_SB_.uses_flat_scratch, 0
	.set _ZN2at6native12_GLOBAL__N_135GammaBetaBackwardCUDAKernelTemplateIN3c104HalfEfLj64ELj1ELj32ELb1ELb0ELb1EEEvllPKT_S7_PKT0_SA_PS5_SB_.has_dyn_sized_stack, 0
	.set _ZN2at6native12_GLOBAL__N_135GammaBetaBackwardCUDAKernelTemplateIN3c104HalfEfLj64ELj1ELj32ELb1ELb0ELb1EEEvllPKT_S7_PKT0_SA_PS5_SB_.has_recursion, 0
	.set _ZN2at6native12_GLOBAL__N_135GammaBetaBackwardCUDAKernelTemplateIN3c104HalfEfLj64ELj1ELj32ELb1ELb0ELb1EEEvllPKT_S7_PKT0_SA_PS5_SB_.has_indirect_call, 0
	.section	.AMDGPU.csdata,"",@progbits
; Kernel info:
; codeLenInByte = 23184
; TotalNumSgprs: 44
; NumVgprs: 256
; NumAgprs: 75
; TotalNumVgprs: 331
; ScratchSize: 0
; MemoryBound: 0
; FloatMode: 240
; IeeeMode: 1
; LDSByteSize: 0 bytes/workgroup (compile time only)
; SGPRBlocks: 5
; VGPRBlocks: 41
; NumSGPRsForWavesPerEU: 44
; NumVGPRsForWavesPerEU: 331
; AccumOffset: 256
; Occupancy: 1
; WaveLimiterHint : 0
; COMPUTE_PGM_RSRC2:SCRATCH_EN: 0
; COMPUTE_PGM_RSRC2:USER_SGPR: 2
; COMPUTE_PGM_RSRC2:TRAP_HANDLER: 0
; COMPUTE_PGM_RSRC2:TGID_X_EN: 1
; COMPUTE_PGM_RSRC2:TGID_Y_EN: 1
; COMPUTE_PGM_RSRC2:TGID_Z_EN: 0
; COMPUTE_PGM_RSRC2:TIDIG_COMP_CNT: 1
; COMPUTE_PGM_RSRC3_GFX90A:ACCUM_OFFSET: 63
; COMPUTE_PGM_RSRC3_GFX90A:TG_SPLIT: 0
	.section	.text._ZN2at6native12_GLOBAL__N_135GammaBetaBackwardCUDAKernelTemplateIN3c104HalfEfLj64ELj1ELj8ELb1ELb1ELb1EEEvllPKT_S7_PKT0_SA_PS5_SB_,"axG",@progbits,_ZN2at6native12_GLOBAL__N_135GammaBetaBackwardCUDAKernelTemplateIN3c104HalfEfLj64ELj1ELj8ELb1ELb1ELb1EEEvllPKT_S7_PKT0_SA_PS5_SB_,comdat
	.globl	_ZN2at6native12_GLOBAL__N_135GammaBetaBackwardCUDAKernelTemplateIN3c104HalfEfLj64ELj1ELj8ELb1ELb1ELb1EEEvllPKT_S7_PKT0_SA_PS5_SB_ ; -- Begin function _ZN2at6native12_GLOBAL__N_135GammaBetaBackwardCUDAKernelTemplateIN3c104HalfEfLj64ELj1ELj8ELb1ELb1ELb1EEEvllPKT_S7_PKT0_SA_PS5_SB_
	.p2align	8
	.type	_ZN2at6native12_GLOBAL__N_135GammaBetaBackwardCUDAKernelTemplateIN3c104HalfEfLj64ELj1ELj8ELb1ELb1ELb1EEEvllPKT_S7_PKT0_SA_PS5_SB_,@function
_ZN2at6native12_GLOBAL__N_135GammaBetaBackwardCUDAKernelTemplateIN3c104HalfEfLj64ELj1ELj8ELb1ELb1ELb1EEEvllPKT_S7_PKT0_SA_PS5_SB_: ; @_ZN2at6native12_GLOBAL__N_135GammaBetaBackwardCUDAKernelTemplateIN3c104HalfEfLj64ELj1ELj8ELb1ELb1ELb1EEEvllPKT_S7_PKT0_SA_PS5_SB_
; %bb.0:
	s_load_dwordx4 s[8:11], s[0:1], 0x0
	s_load_dwordx2 s[16:17], s[0:1], 0x30
	s_lshl_b32 s18, s3, 3
	s_mov_b32 s19, 0
	v_mov_b64_e32 v[2:3], s[18:19]
	s_waitcnt lgkmcnt(0)
	v_cmp_le_i64_e32 vcc, s[8:9], v[2:3]
	s_mov_b32 s6, s3
	v_mov_b32_e32 v1, 0
	v_bfe_u32 v2, v0, 10, 10
	s_cbranch_vccnz .LBB167_8
; %bb.1:
	s_load_dword s3, s[0:1], 0x4c
	s_load_dword s7, s[0:1], 0x44
	s_load_dwordx4 s[12:15], s[0:1], 0x10
	s_load_dwordx2 s[22:23], s[0:1], 0x28
	v_and_b32_e32 v1, 0x3ff, v0
	s_waitcnt lgkmcnt(0)
	s_and_b32 s3, s3, 0xffff
	v_mad_u32_u24 v3, v2, s3, v1
	v_lshlrev_b32_e32 v4, 3, v2
	v_mov_b32_e32 v5, 0
	v_lshl_or_b32 v10, s2, 6, v1
	v_mbcnt_lo_u32_b32 v1, -1, 0
	v_and_b32_e32 v6, 63, v3
	v_mov_b32_e32 v7, v5
	v_mbcnt_hi_u32_b32 v1, -1, v1
	s_lshl_b32 s20, s7, 3
	v_lshl_add_u64 v[12:13], v[4:5], 0, s[18:19]
	v_cmp_gt_u32_e64 s[4:5], 8, v6
	v_mov_b32_e32 v11, v5
	v_lshlrev_b32_e32 v1, 2, v1
	v_lshl_add_u64 v[6:7], v[12:13], 0, v[6:7]
	v_mul_lo_u32 v4, s11, v12
	v_mul_lo_u32 v20, s10, v13
	v_mad_u64_u32 v[12:13], s[24:25], s10, v12, 0
	s_mul_i32 s3, s11, s20
	s_mul_hi_u32 s7, s10, s20
	v_and_b32_e32 v1, 0x100, v1
	s_mov_b32 s21, s19
	v_add3_u32 v13, v13, v20, v4
	v_lshlrev_b64 v[10:11], 1, v[10:11]
	s_add_i32 s25, s7, s3
	s_mul_i32 s24, s10, s20
	v_or_b32_e32 v3, 4, v1
	v_or_b32_e32 v14, 8, v1
	v_or_b32_e32 v15, 12, v1
	v_or_b32_e32 v16, 16, v1
	v_or_b32_e32 v17, 20, v1
	v_or_b32_e32 v18, 24, v1
	v_or_b32_e32 v19, 28, v1
	v_lshl_add_u64 v[8:9], v[6:7], 2, s[22:23]
	s_lshl_b64 s[22:23], s[20:21], 2
	v_lshl_add_u64 v[10:11], v[12:13], 1, v[10:11]
	s_lshl_b64 s[24:25], s[24:25], 1
	s_lshl_b64 s[26:27], s[10:11], 1
	v_mov_b64_e32 v[12:13], s[8:9]
	s_branch .LBB167_4
.LBB167_2:                              ;   in Loop: Header=BB167_4 Depth=1
	s_or_b64 exec, exec, s[30:31]
.LBB167_3:                              ;   in Loop: Header=BB167_4 Depth=1
	s_or_b64 exec, exec, s[28:29]
	v_lshl_add_u64 v[20:21], s[12:13], 0, v[10:11]
	global_load_ushort v28, v[20:21], off
	v_lshl_add_u64 v[22:23], s[14:15], 0, v[10:11]
	v_lshl_add_u64 v[20:21], v[20:21], 0, s[26:27]
	global_load_ushort v29, v[22:23], off
	global_load_ushort v31, v[20:21], off
	v_lshl_add_u64 v[22:23], v[22:23], 0, s[26:27]
	v_lshl_add_u64 v[20:21], v[20:21], 0, s[26:27]
	global_load_ushort v32, v[22:23], off
	;; [unrolled: 4-line block ×7, first 2 shown]
	v_lshl_add_u64 v[20:21], v[22:23], 0, s[26:27]
	global_load_ushort v42, v[22:23], off
	global_load_ushort v44, v[20:21], off
	s_waitcnt vmcnt(16)
	ds_bpermute_b32 v20, v1, v4
	ds_bpermute_b32 v21, v3, v4
	;; [unrolled: 1-line block ×8, first 2 shown]
	s_add_u32 s18, s18, s20
	s_addc_u32 s19, s19, 0
	v_cmp_lt_i64_e32 vcc, s[18:19], v[12:13]
	v_lshl_add_u64 v[8:9], v[8:9], 0, s[22:23]
	v_lshl_add_u64 v[6:7], v[6:7], 0, s[20:21]
	;; [unrolled: 1-line block ×3, first 2 shown]
	s_and_b64 vcc, exec, vcc
	s_waitcnt vmcnt(15)
	v_cvt_f32_f16_e32 v28, v28
	s_waitcnt vmcnt(14)
	v_cvt_f32_f16_e32 v30, v29
	;; [unrolled: 2-line block ×7, first 2 shown]
	v_pk_mul_f32 v[28:29], v[28:29], v[30:31]
	s_waitcnt vmcnt(8)
	v_cvt_f32_f16_e32 v35, v36
	s_waitcnt vmcnt(7)
	v_cvt_f32_f16_e32 v36, v37
	s_waitcnt lgkmcnt(6)
	v_pk_mul_f32 v[20:21], v[28:29], v[20:21]
	s_waitcnt vmcnt(6)
	v_cvt_f32_f16_e32 v38, v38
	s_waitcnt vmcnt(5)
	v_cvt_f32_f16_e32 v37, v39
	v_add_f32_e32 v20, v5, v20
	v_pk_mul_f32 v[30:31], v[32:33], v[34:35]
	s_waitcnt vmcnt(4)
	v_cvt_f32_f16_e32 v39, v40
	s_waitcnt vmcnt(3)
	v_cvt_f32_f16_e32 v4, v41
	v_add_f32_e32 v32, v20, v21
	s_waitcnt lgkmcnt(4)
	v_pk_mul_f32 v[20:21], v[30:31], v[22:23]
	s_waitcnt vmcnt(2)
	v_cvt_f32_f16_e32 v5, v43
	v_add_f32_e32 v20, v32, v20
	s_waitcnt vmcnt(1)
	v_cvt_f32_f16_e32 v28, v42
	s_waitcnt vmcnt(0)
	v_cvt_f32_f16_e32 v29, v44
	v_pk_mul_f32 v[22:23], v[36:37], v[38:39]
	v_add_f32_e32 v30, v20, v21
	s_waitcnt lgkmcnt(2)
	v_pk_mul_f32 v[20:21], v[22:23], v[24:25]
	v_pk_mul_f32 v[4:5], v[4:5], v[28:29]
	v_add_f32_e32 v20, v30, v20
	v_add_f32_e32 v20, v20, v21
	s_waitcnt lgkmcnt(0)
	v_pk_mul_f32 v[4:5], v[4:5], v[26:27]
	s_nop 0
	v_add_f32_e32 v4, v20, v4
	v_add_f32_e32 v5, v4, v5
	s_cbranch_vccz .LBB167_7
.LBB167_4:                              ; =>This Inner Loop Header: Depth=1
	v_mov_b32_e32 v4, 0
	s_and_saveexec_b64 s[28:29], s[4:5]
	s_cbranch_execz .LBB167_3
; %bb.5:                                ;   in Loop: Header=BB167_4 Depth=1
	v_cmp_gt_i64_e32 vcc, s[8:9], v[6:7]
	v_mov_b32_e32 v4, 0
	s_and_saveexec_b64 s[30:31], vcc
	s_cbranch_execz .LBB167_2
; %bb.6:                                ;   in Loop: Header=BB167_4 Depth=1
	global_load_dword v4, v[8:9], off
	s_branch .LBB167_2
.LBB167_7:
	v_cvt_f16_f32_e32 v1, v5
.LBB167_8:
	s_cmp_eq_u64 s[16:17], 0
	s_cbranch_scc1 .LBB167_10
; %bb.9:
	s_load_dword s0, s[0:1], 0x4c
	v_mov_b32_e32 v3, 0
	v_mov_b32_e32 v4, s6
	s_mov_b32 s3, 0
	v_and_b32_e32 v0, 0x3ff, v0
	s_waitcnt lgkmcnt(0)
	s_lshr_b32 s0, s0, 16
	v_mad_u64_u32 v[4:5], s[0:1], s0, v4, v[2:3]
	v_mul_lo_u32 v2, v5, s10
	v_mul_lo_u32 v6, v4, s11
	v_mad_u64_u32 v[4:5], s[0:1], v4, s10, 0
	v_add3_u32 v5, v5, v6, v2
	v_lshl_add_u64 v[4:5], v[4:5], 1, s[16:17]
	s_lshl_b64 s[0:1], s[2:3], 7
	v_lshl_add_u64 v[4:5], v[4:5], 0, s[0:1]
	v_lshlrev_b32_e32 v2, 1, v0
	v_lshl_add_u64 v[2:3], v[4:5], 0, v[2:3]
	global_store_short v[2:3], v1, off
.LBB167_10:
	s_endpgm
	.section	.rodata,"a",@progbits
	.p2align	6, 0x0
	.amdhsa_kernel _ZN2at6native12_GLOBAL__N_135GammaBetaBackwardCUDAKernelTemplateIN3c104HalfEfLj64ELj1ELj8ELb1ELb1ELb1EEEvllPKT_S7_PKT0_SA_PS5_SB_
		.amdhsa_group_segment_fixed_size 0
		.amdhsa_private_segment_fixed_size 0
		.amdhsa_kernarg_size 320
		.amdhsa_user_sgpr_count 2
		.amdhsa_user_sgpr_dispatch_ptr 0
		.amdhsa_user_sgpr_queue_ptr 0
		.amdhsa_user_sgpr_kernarg_segment_ptr 1
		.amdhsa_user_sgpr_dispatch_id 0
		.amdhsa_user_sgpr_kernarg_preload_length 0
		.amdhsa_user_sgpr_kernarg_preload_offset 0
		.amdhsa_user_sgpr_private_segment_size 0
		.amdhsa_uses_dynamic_stack 0
		.amdhsa_enable_private_segment 0
		.amdhsa_system_sgpr_workgroup_id_x 1
		.amdhsa_system_sgpr_workgroup_id_y 1
		.amdhsa_system_sgpr_workgroup_id_z 0
		.amdhsa_system_sgpr_workgroup_info 0
		.amdhsa_system_vgpr_workitem_id 1
		.amdhsa_next_free_vgpr 45
		.amdhsa_next_free_sgpr 32
		.amdhsa_accum_offset 48
		.amdhsa_reserve_vcc 1
		.amdhsa_float_round_mode_32 0
		.amdhsa_float_round_mode_16_64 0
		.amdhsa_float_denorm_mode_32 3
		.amdhsa_float_denorm_mode_16_64 3
		.amdhsa_dx10_clamp 1
		.amdhsa_ieee_mode 1
		.amdhsa_fp16_overflow 0
		.amdhsa_tg_split 0
		.amdhsa_exception_fp_ieee_invalid_op 0
		.amdhsa_exception_fp_denorm_src 0
		.amdhsa_exception_fp_ieee_div_zero 0
		.amdhsa_exception_fp_ieee_overflow 0
		.amdhsa_exception_fp_ieee_underflow 0
		.amdhsa_exception_fp_ieee_inexact 0
		.amdhsa_exception_int_div_zero 0
	.end_amdhsa_kernel
	.section	.text._ZN2at6native12_GLOBAL__N_135GammaBetaBackwardCUDAKernelTemplateIN3c104HalfEfLj64ELj1ELj8ELb1ELb1ELb1EEEvllPKT_S7_PKT0_SA_PS5_SB_,"axG",@progbits,_ZN2at6native12_GLOBAL__N_135GammaBetaBackwardCUDAKernelTemplateIN3c104HalfEfLj64ELj1ELj8ELb1ELb1ELb1EEEvllPKT_S7_PKT0_SA_PS5_SB_,comdat
.Lfunc_end167:
	.size	_ZN2at6native12_GLOBAL__N_135GammaBetaBackwardCUDAKernelTemplateIN3c104HalfEfLj64ELj1ELj8ELb1ELb1ELb1EEEvllPKT_S7_PKT0_SA_PS5_SB_, .Lfunc_end167-_ZN2at6native12_GLOBAL__N_135GammaBetaBackwardCUDAKernelTemplateIN3c104HalfEfLj64ELj1ELj8ELb1ELb1ELb1EEEvllPKT_S7_PKT0_SA_PS5_SB_
                                        ; -- End function
	.set _ZN2at6native12_GLOBAL__N_135GammaBetaBackwardCUDAKernelTemplateIN3c104HalfEfLj64ELj1ELj8ELb1ELb1ELb1EEEvllPKT_S7_PKT0_SA_PS5_SB_.num_vgpr, 45
	.set _ZN2at6native12_GLOBAL__N_135GammaBetaBackwardCUDAKernelTemplateIN3c104HalfEfLj64ELj1ELj8ELb1ELb1ELb1EEEvllPKT_S7_PKT0_SA_PS5_SB_.num_agpr, 0
	.set _ZN2at6native12_GLOBAL__N_135GammaBetaBackwardCUDAKernelTemplateIN3c104HalfEfLj64ELj1ELj8ELb1ELb1ELb1EEEvllPKT_S7_PKT0_SA_PS5_SB_.numbered_sgpr, 32
	.set _ZN2at6native12_GLOBAL__N_135GammaBetaBackwardCUDAKernelTemplateIN3c104HalfEfLj64ELj1ELj8ELb1ELb1ELb1EEEvllPKT_S7_PKT0_SA_PS5_SB_.num_named_barrier, 0
	.set _ZN2at6native12_GLOBAL__N_135GammaBetaBackwardCUDAKernelTemplateIN3c104HalfEfLj64ELj1ELj8ELb1ELb1ELb1EEEvllPKT_S7_PKT0_SA_PS5_SB_.private_seg_size, 0
	.set _ZN2at6native12_GLOBAL__N_135GammaBetaBackwardCUDAKernelTemplateIN3c104HalfEfLj64ELj1ELj8ELb1ELb1ELb1EEEvllPKT_S7_PKT0_SA_PS5_SB_.uses_vcc, 1
	.set _ZN2at6native12_GLOBAL__N_135GammaBetaBackwardCUDAKernelTemplateIN3c104HalfEfLj64ELj1ELj8ELb1ELb1ELb1EEEvllPKT_S7_PKT0_SA_PS5_SB_.uses_flat_scratch, 0
	.set _ZN2at6native12_GLOBAL__N_135GammaBetaBackwardCUDAKernelTemplateIN3c104HalfEfLj64ELj1ELj8ELb1ELb1ELb1EEEvllPKT_S7_PKT0_SA_PS5_SB_.has_dyn_sized_stack, 0
	.set _ZN2at6native12_GLOBAL__N_135GammaBetaBackwardCUDAKernelTemplateIN3c104HalfEfLj64ELj1ELj8ELb1ELb1ELb1EEEvllPKT_S7_PKT0_SA_PS5_SB_.has_recursion, 0
	.set _ZN2at6native12_GLOBAL__N_135GammaBetaBackwardCUDAKernelTemplateIN3c104HalfEfLj64ELj1ELj8ELb1ELb1ELb1EEEvllPKT_S7_PKT0_SA_PS5_SB_.has_indirect_call, 0
	.section	.AMDGPU.csdata,"",@progbits
; Kernel info:
; codeLenInByte = 1116
; TotalNumSgprs: 38
; NumVgprs: 45
; NumAgprs: 0
; TotalNumVgprs: 45
; ScratchSize: 0
; MemoryBound: 0
; FloatMode: 240
; IeeeMode: 1
; LDSByteSize: 0 bytes/workgroup (compile time only)
; SGPRBlocks: 4
; VGPRBlocks: 5
; NumSGPRsForWavesPerEU: 38
; NumVGPRsForWavesPerEU: 45
; AccumOffset: 48
; Occupancy: 8
; WaveLimiterHint : 0
; COMPUTE_PGM_RSRC2:SCRATCH_EN: 0
; COMPUTE_PGM_RSRC2:USER_SGPR: 2
; COMPUTE_PGM_RSRC2:TRAP_HANDLER: 0
; COMPUTE_PGM_RSRC2:TGID_X_EN: 1
; COMPUTE_PGM_RSRC2:TGID_Y_EN: 1
; COMPUTE_PGM_RSRC2:TGID_Z_EN: 0
; COMPUTE_PGM_RSRC2:TIDIG_COMP_CNT: 1
; COMPUTE_PGM_RSRC3_GFX90A:ACCUM_OFFSET: 11
; COMPUTE_PGM_RSRC3_GFX90A:TG_SPLIT: 0
	.section	.text._ZN2at6native12_GLOBAL__N_135GammaBetaBackwardCUDAKernelTemplateIN3c104HalfEfLj64ELj1ELj8ELb1ELb0ELb1EEEvllPKT_S7_PKT0_SA_PS5_SB_,"axG",@progbits,_ZN2at6native12_GLOBAL__N_135GammaBetaBackwardCUDAKernelTemplateIN3c104HalfEfLj64ELj1ELj8ELb1ELb0ELb1EEEvllPKT_S7_PKT0_SA_PS5_SB_,comdat
	.globl	_ZN2at6native12_GLOBAL__N_135GammaBetaBackwardCUDAKernelTemplateIN3c104HalfEfLj64ELj1ELj8ELb1ELb0ELb1EEEvllPKT_S7_PKT0_SA_PS5_SB_ ; -- Begin function _ZN2at6native12_GLOBAL__N_135GammaBetaBackwardCUDAKernelTemplateIN3c104HalfEfLj64ELj1ELj8ELb1ELb0ELb1EEEvllPKT_S7_PKT0_SA_PS5_SB_
	.p2align	8
	.type	_ZN2at6native12_GLOBAL__N_135GammaBetaBackwardCUDAKernelTemplateIN3c104HalfEfLj64ELj1ELj8ELb1ELb0ELb1EEEvllPKT_S7_PKT0_SA_PS5_SB_,@function
_ZN2at6native12_GLOBAL__N_135GammaBetaBackwardCUDAKernelTemplateIN3c104HalfEfLj64ELj1ELj8ELb1ELb0ELb1EEEvllPKT_S7_PKT0_SA_PS5_SB_: ; @_ZN2at6native12_GLOBAL__N_135GammaBetaBackwardCUDAKernelTemplateIN3c104HalfEfLj64ELj1ELj8ELb1ELb0ELb1EEEvllPKT_S7_PKT0_SA_PS5_SB_
; %bb.0:
	s_load_dwordx8 s[12:19], s[0:1], 0x0
	s_load_dwordx2 s[10:11], s[0:1], 0x28
	s_mov_b32 s8, s3
	s_lshl_b32 s3, s2, 6
	s_mov_b32 s21, 0
	s_lshl_b32 s20, s8, 3
	s_or_b32 s4, s3, 63
	v_mov_b64_e32 v[4:5], s[20:21]
	v_mov_b32_e32 v2, s4
	v_mov_b32_e32 v3, 0
	s_waitcnt lgkmcnt(0)
	v_cmp_gt_i64_e64 s[4:5], s[12:13], v[4:5]
	v_cmp_le_i64_e32 vcc, s[14:15], v[2:3]
	s_nop 0
	v_cndmask_b32_e64 v1, 0, 1, s[4:5]
	v_cmp_ne_u32_e64 s[4:5], 1, v1
	s_cbranch_vccz .LBB168_49
; %bb.1:
	s_and_b64 vcc, exec, s[4:5]
	s_cbranch_vccnz .LBB168_50
; %bb.2:
	v_and_b32_e32 v1, 0x3ff, v0
	v_mov_b32_e32 v2, 0
	v_bfe_u32 v58, v0, 10, 10
	v_add_u32_e32 v4, s3, v1
	v_mov_b32_e32 v5, v2
	v_lshlrev_b32_e32 v20, 3, v58
	v_mov_b32_e32 v21, v2
	v_cmp_gt_i64_e64 s[6:7], s[14:15], v[4:5]
	v_lshlrev_b64 v[22:23], 1, v[4:5]
	v_lshl_add_u64 v[4:5], v[20:21], 0, s[20:21]
	v_mul_lo_u32 v3, s15, v4
	v_mul_lo_u32 v8, s14, v5
	v_mad_u64_u32 v[6:7], s[26:27], s14, v4, 0
	v_add3_u32 v7, v7, v8, v3
	v_lshlrev_b64 v[6:7], 1, v[6:7]
	v_lshl_add_u64 v[24:25], s[16:17], 0, v[6:7]
	v_lshl_add_u64 v[26:27], s[18:19], 0, v[6:7]
	v_lshl_add_u64 v[6:7], v[4:5], 0, 7
	v_mul_lo_u32 v9, s15, v6
	v_mul_lo_u32 v10, s14, v7
	v_mad_u64_u32 v[6:7], s[30:31], s14, v6, 0
	v_add3_u32 v7, v7, v10, v9
	v_lshlrev_b64 v[6:7], 1, v[6:7]
	v_lshl_add_u64 v[28:29], s[16:17], 0, v[6:7]
	v_lshl_add_u64 v[30:31], s[18:19], 0, v[6:7]
	;; [unrolled: 8-line block ×6, first 2 shown]
	v_lshl_add_u64 v[6:7], v[4:5], 0, 2
	s_load_dword s9, s[0:1], 0x44
	v_mul_lo_u32 v5, s15, v6
	v_mul_lo_u32 v9, s14, v7
	v_mad_u64_u32 v[6:7], s[30:31], s14, v6, 0
	v_add3_u32 v7, v7, v9, v5
	v_lshlrev_b64 v[6:7], 1, v[6:7]
	v_lshl_add_u64 v[48:49], s[16:17], 0, v[6:7]
	v_lshl_add_u64 v[50:51], s[18:19], 0, v[6:7]
	v_mov_b64_e32 v[6:7], s[14:15]
	s_add_u32 s24, s0, 64
	v_mad_u64_u32 v[4:5], s[30:31], s14, v4, v[6:7]
	s_addc_u32 s25, s1, 0
	s_waitcnt lgkmcnt(0)
	s_lshl_b32 s22, s9, 3
	v_add3_u32 v5, v3, v5, v8
	v_mbcnt_lo_u32_b32 v3, -1, 0
	s_mul_i32 s9, s15, s22
	s_mul_hi_u32 s26, s14, s22
	v_mbcnt_hi_u32_b32 v3, -1, v3
	s_add_i32 s27, s26, s9
	s_mul_i32 s26, s14, s22
	v_lshlrev_b64 v[4:5], 1, v[4:5]
	v_lshlrev_b32_e32 v3, 2, v3
	s_mov_b32 s23, 0
	s_lshl_b64 s[26:27], s[26:27], 1
	s_mov_b64 s[28:29], 7
	v_lshl_add_u64 v[52:53], s[16:17], 0, v[4:5]
	v_lshl_add_u64 v[54:55], s[18:19], 0, v[4:5]
	v_and_b32_e32 v59, 0x100, v3
	s_mov_b64 s[30:31], s[20:21]
	v_mov_b32_e32 v60, 0
.LBB168_3:                              ; =>This Inner Loop Header: Depth=1
	s_add_u32 s34, s20, s28
	s_addc_u32 s35, 0, s29
	v_mov_b64_e32 v[4:5], s[12:13]
	v_cmp_ge_i64_e32 vcc, s[34:35], v[4:5]
	v_lshl_add_u64 v[56:57], s[20:21], 0, v[20:21]
	s_mov_b64 s[34:35], -1
	s_and_b64 vcc, exec, vcc
                                        ; implicit-def: $vgpr4_vgpr5_vgpr6_vgpr7_vgpr8_vgpr9_vgpr10_vgpr11
                                        ; implicit-def: $vgpr3
                                        ; implicit-def: $vgpr12_vgpr13_vgpr14_vgpr15_vgpr16_vgpr17_vgpr18_vgpr19
                                        ; implicit-def: $vgpr4
	s_cbranch_vccz .LBB168_25
; %bb.4:                                ;   in Loop: Header=BB168_3 Depth=1
	s_load_dword s9, s[24:25], 0xc
	v_mov_b32_e32 v61, 0
	s_waitcnt lgkmcnt(0)
	s_and_b32 s9, s9, 0xffff
	v_mad_u32_u24 v3, v58, s9, v1
	v_and_b32_e32 v4, 63, v3
	v_cmp_gt_u32_e32 vcc, 8, v4
	s_and_saveexec_b64 s[34:35], vcc
	s_cbranch_execz .LBB168_8
; %bb.5:                                ;   in Loop: Header=BB168_3 Depth=1
	v_mov_b32_e32 v5, v2
	v_lshl_add_u64 v[4:5], v[56:57], 0, v[4:5]
	v_cmp_gt_i64_e32 vcc, s[12:13], v[4:5]
	v_mov_b32_e32 v61, 0
	s_and_saveexec_b64 s[36:37], vcc
	s_cbranch_execz .LBB168_7
; %bb.6:                                ;   in Loop: Header=BB168_3 Depth=1
	v_lshl_add_u64 v[4:5], v[4:5], 2, s[10:11]
	global_load_dword v61, v[4:5], off
.LBB168_7:                              ;   in Loop: Header=BB168_3 Depth=1
	s_or_b64 exec, exec, s[36:37]
.LBB168_8:                              ;   in Loop: Header=BB168_3 Depth=1
	s_or_b64 exec, exec, s[34:35]
	v_mov_b32_e32 v8, v2
	v_mov_b32_e32 v9, v2
	;; [unrolled: 1-line block ×7, first 2 shown]
	v_mov_b64_e32 v[18:19], v[8:9]
	v_cmp_gt_i64_e32 vcc, s[12:13], v[56:57]
	v_mov_b64_e32 v[16:17], v[6:7]
	v_mov_b64_e32 v[14:15], v[4:5]
	;; [unrolled: 1-line block ×4, first 2 shown]
	s_and_b64 s[36:37], s[6:7], vcc
	v_mov_b64_e32 v[8:9], v[6:7]
	v_mov_b64_e32 v[6:7], v[4:5]
	;; [unrolled: 1-line block ×3, first 2 shown]
	s_and_saveexec_b64 s[34:35], s[36:37]
	s_cbranch_execz .LBB168_10
; %bb.9:                                ;   in Loop: Header=BB168_3 Depth=1
	v_lshl_add_u64 v[4:5], v[24:25], 0, v[22:23]
	global_load_ushort v3, v[4:5], off
	v_lshl_add_u64 v[4:5], v[26:27], 0, v[22:23]
	global_load_ushort v12, v[4:5], off
	v_mov_b32_e32 v5, v2
	v_mov_b32_e32 v6, v2
	v_mov_b32_e32 v7, v2
	v_mov_b32_e32 v8, v2
	v_mov_b32_e32 v9, v2
	v_mov_b32_e32 v10, v2
	v_mov_b32_e32 v11, v2
	v_mov_b32_e32 v13, v2
	v_mov_b32_e32 v14, v2
	v_mov_b32_e32 v15, v2
	v_mov_b32_e32 v16, v2
	v_mov_b32_e32 v17, v2
	v_mov_b32_e32 v18, v2
	v_mov_b32_e32 v19, v2
	s_waitcnt vmcnt(1)
	v_cvt_f32_f16_e32 v4, v3
	s_waitcnt vmcnt(0)
	v_cvt_f32_f16_e32 v12, v12
.LBB168_10:                             ;   in Loop: Header=BB168_3 Depth=1
	s_or_b64 exec, exec, s[34:35]
	v_lshl_add_u64 v[62:63], v[56:57], 0, 1
	v_cmp_gt_i64_e32 vcc, s[12:13], v[62:63]
	s_and_b64 s[36:37], s[6:7], vcc
	s_and_saveexec_b64 s[34:35], s[36:37]
	s_cbranch_execz .LBB168_12
; %bb.11:                               ;   in Loop: Header=BB168_3 Depth=1
	v_lshl_add_u64 v[62:63], v[52:53], 0, v[22:23]
	global_load_ushort v3, v[62:63], off
	v_lshl_add_u64 v[62:63], v[54:55], 0, v[22:23]
	global_load_ushort v13, v[62:63], off
	s_waitcnt vmcnt(1)
	v_cvt_f32_f16_e32 v5, v3
	s_waitcnt vmcnt(0)
	v_cvt_f32_f16_e32 v13, v13
.LBB168_12:                             ;   in Loop: Header=BB168_3 Depth=1
	s_or_b64 exec, exec, s[34:35]
	v_lshl_add_u64 v[62:63], v[56:57], 0, 2
	v_cmp_gt_i64_e32 vcc, s[12:13], v[62:63]
	s_and_b64 s[36:37], s[6:7], vcc
	s_and_saveexec_b64 s[34:35], s[36:37]
	s_cbranch_execz .LBB168_14
; %bb.13:                               ;   in Loop: Header=BB168_3 Depth=1
	v_lshl_add_u64 v[62:63], v[48:49], 0, v[22:23]
	global_load_ushort v3, v[62:63], off
	v_lshl_add_u64 v[62:63], v[50:51], 0, v[22:23]
	global_load_ushort v14, v[62:63], off
	s_waitcnt vmcnt(1)
	v_cvt_f32_f16_e32 v6, v3
	s_waitcnt vmcnt(0)
	v_cvt_f32_f16_e32 v14, v14
.LBB168_14:                             ;   in Loop: Header=BB168_3 Depth=1
	;; [unrolled: 16-line block ×7, first 2 shown]
	s_or_b64 exec, exec, s[34:35]
	s_waitcnt vmcnt(0)
	ds_bpermute_b32 v3, v59, v61
	ds_bpermute_b32 v62, v59, v61 offset:4
	ds_bpermute_b32 v63, v59, v61 offset:8
	v_mul_f32_e32 v4, v12, v4
	v_pk_mul_f32 v[8:9], v[16:17], v[8:9]
	s_waitcnt lgkmcnt(2)
	v_fma_f32 v16, v4, v3, v60
	v_pk_mul_f32 v[6:7], v[14:15], v[6:7]
	v_mul_f32_e32 v3, v13, v5
	ds_bpermute_b32 v14, v59, v61 offset:12
	ds_bpermute_b32 v15, v59, v61 offset:16
	v_pk_mov_b32 v[12:13], v[2:3], v[6:7] op_sel:[1,0]
	v_pk_mov_b32 v[6:7], v[6:7], v[8:9] op_sel:[1,0]
	s_waitcnt lgkmcnt(2)
	v_pk_mul_f32 v[12:13], v[12:13], v[62:63]
	v_mul_f32_e32 v4, v18, v10
	v_add_f32_e32 v3, v16, v12
	v_add_f32_e32 v3, v3, v13
	ds_bpermute_b32 v12, v59, v61 offset:20
	ds_bpermute_b32 v13, v59, v61 offset:24
	s_waitcnt lgkmcnt(2)
	v_pk_mul_f32 v[6:7], v[6:7], v[14:15]
	s_mov_b64 s[34:35], 0
	v_add_f32_e32 v3, v3, v6
	v_add_f32_e32 v3, v3, v7
	v_pk_mov_b32 v[6:7], v[8:9], v[4:5] op_sel:[1,0]
	ds_bpermute_b32 v4, v59, v61 offset:28
	s_waitcnt lgkmcnt(1)
	v_pk_mul_f32 v[6:7], v[6:7], v[12:13]
	s_nop 0
	v_add_f32_e32 v3, v3, v6
	v_add_f32_e32 v3, v3, v7
.LBB168_25:                             ;   in Loop: Header=BB168_3 Depth=1
	s_and_b64 vcc, exec, s[34:35]
	s_cbranch_vccz .LBB168_40
; %bb.26:                               ;   in Loop: Header=BB168_3 Depth=1
	s_load_dword s9, s[24:25], 0x0
	v_mov_b32_e32 v61, 0
	s_waitcnt lgkmcnt(0)
	s_cmp_lt_u32 s2, s9
	s_cselect_b32 s9, 12, 18
	s_add_u32 s34, s24, s9
	s_addc_u32 s35, s25, 0
	global_load_ushort v3, v2, s[34:35]
	s_waitcnt vmcnt(0)
	v_mad_u32_u24 v3, v58, v3, v1
	v_and_b32_e32 v4, 63, v3
	v_cmp_gt_u32_e32 vcc, 8, v4
	s_and_saveexec_b64 s[34:35], vcc
	s_cbranch_execz .LBB168_30
; %bb.27:                               ;   in Loop: Header=BB168_3 Depth=1
	v_mov_b32_e32 v5, v2
	v_lshl_add_u64 v[4:5], v[56:57], 0, v[4:5]
	v_cmp_gt_i64_e32 vcc, s[12:13], v[4:5]
	v_mov_b32_e32 v61, 0
	s_and_saveexec_b64 s[36:37], vcc
	s_cbranch_execz .LBB168_29
; %bb.28:                               ;   in Loop: Header=BB168_3 Depth=1
	v_lshl_add_u64 v[4:5], v[4:5], 2, s[10:11]
	global_load_dword v61, v[4:5], off
.LBB168_29:                             ;   in Loop: Header=BB168_3 Depth=1
	s_or_b64 exec, exec, s[36:37]
.LBB168_30:                             ;   in Loop: Header=BB168_3 Depth=1
	s_or_b64 exec, exec, s[34:35]
	v_mov_b32_e32 v8, v2
	v_mov_b32_e32 v9, v2
	;; [unrolled: 1-line block ×7, first 2 shown]
	v_mov_b64_e32 v[18:19], v[8:9]
	v_mov_b64_e32 v[16:17], v[6:7]
	;; [unrolled: 1-line block ×8, first 2 shown]
	s_and_saveexec_b64 s[34:35], s[6:7]
	s_cbranch_execnz .LBB168_42
; %bb.31:                               ;   in Loop: Header=BB168_3 Depth=1
	s_or_b64 exec, exec, s[34:35]
	s_and_saveexec_b64 s[34:35], s[6:7]
	s_cbranch_execnz .LBB168_43
.LBB168_32:                             ;   in Loop: Header=BB168_3 Depth=1
	s_or_b64 exec, exec, s[34:35]
	s_and_saveexec_b64 s[34:35], s[6:7]
	s_cbranch_execnz .LBB168_44
.LBB168_33:                             ;   in Loop: Header=BB168_3 Depth=1
	s_or_b64 exec, exec, s[34:35]
	s_and_saveexec_b64 s[34:35], s[6:7]
	s_cbranch_execnz .LBB168_45
.LBB168_34:                             ;   in Loop: Header=BB168_3 Depth=1
	s_or_b64 exec, exec, s[34:35]
	s_and_saveexec_b64 s[34:35], s[6:7]
	s_cbranch_execnz .LBB168_46
.LBB168_35:                             ;   in Loop: Header=BB168_3 Depth=1
	s_or_b64 exec, exec, s[34:35]
	s_and_saveexec_b64 s[34:35], s[6:7]
	s_cbranch_execnz .LBB168_47
.LBB168_36:                             ;   in Loop: Header=BB168_3 Depth=1
	s_or_b64 exec, exec, s[34:35]
	s_and_saveexec_b64 s[34:35], s[6:7]
	s_cbranch_execnz .LBB168_48
.LBB168_37:                             ;   in Loop: Header=BB168_3 Depth=1
	s_or_b64 exec, exec, s[34:35]
	s_and_saveexec_b64 s[34:35], s[6:7]
	s_cbranch_execz .LBB168_39
.LBB168_38:                             ;   in Loop: Header=BB168_3 Depth=1
	v_lshl_add_u64 v[56:57], v[28:29], 0, v[22:23]
	global_load_ushort v3, v[56:57], off
	v_lshl_add_u64 v[56:57], v[30:31], 0, v[22:23]
	global_load_ushort v19, v[56:57], off
	s_waitcnt vmcnt(1)
	v_cvt_f32_f16_e32 v11, v3
	s_waitcnt vmcnt(0)
	v_cvt_f32_f16_e32 v19, v19
.LBB168_39:                             ;   in Loop: Header=BB168_3 Depth=1
	s_or_b64 exec, exec, s[34:35]
	s_waitcnt vmcnt(0)
	ds_bpermute_b32 v3, v59, v61
	ds_bpermute_b32 v56, v59, v61 offset:4
	ds_bpermute_b32 v57, v59, v61 offset:8
	v_mul_f32_e32 v4, v12, v4
	v_pk_mul_f32 v[6:7], v[14:15], v[6:7]
	s_waitcnt lgkmcnt(2)
	v_fmac_f32_e32 v60, v4, v3
	v_mul_f32_e32 v3, v13, v5
	v_pk_mov_b32 v[4:5], v[2:3], v[6:7] op_sel:[1,0]
	ds_bpermute_b32 v12, v59, v61 offset:12
	ds_bpermute_b32 v13, v59, v61 offset:16
	s_waitcnt lgkmcnt(2)
	v_pk_mul_f32 v[4:5], v[4:5], v[56:57]
	v_pk_mul_f32 v[8:9], v[16:17], v[8:9]
	v_add_f32_e32 v3, v60, v4
	v_add_f32_e32 v3, v3, v5
	v_pk_mov_b32 v[4:5], v[6:7], v[8:9] op_sel:[1,0]
	ds_bpermute_b32 v6, v59, v61 offset:20
	ds_bpermute_b32 v7, v59, v61 offset:24
	s_waitcnt lgkmcnt(2)
	v_pk_mul_f32 v[4:5], v[4:5], v[12:13]
	v_mul_f32_e32 v10, v18, v10
	v_add_f32_e32 v3, v3, v4
	ds_bpermute_b32 v4, v59, v61 offset:28
	v_pk_mov_b32 v[8:9], v[8:9], v[10:11] op_sel:[1,0]
	v_add_f32_e32 v3, v3, v5
	s_waitcnt lgkmcnt(1)
	v_pk_mul_f32 v[6:7], v[8:9], v[6:7]
	s_nop 0
	v_add_f32_e32 v3, v3, v6
	v_add_f32_e32 v3, v3, v7
.LBB168_40:                             ;   in Loop: Header=BB168_3 Depth=1
	v_mul_f32_e32 v5, v11, v19
	s_add_u32 s30, s30, s22
	s_waitcnt lgkmcnt(0)
	v_fmac_f32_e32 v3, v5, v4
	s_addc_u32 s31, s31, 0
	v_mov_b64_e32 v[4:5], s[12:13]
	s_add_u32 s28, s28, s22
	v_cmp_lt_i64_e32 vcc, s[30:31], v[4:5]
	v_lshl_add_u64 v[24:25], v[24:25], 0, s[26:27]
	v_lshl_add_u64 v[26:27], v[26:27], 0, s[26:27]
	;; [unrolled: 1-line block ×17, first 2 shown]
	s_addc_u32 s29, 0, s29
	s_cbranch_vccz .LBB168_50
; %bb.41:                               ;   in Loop: Header=BB168_3 Depth=1
	v_mov_b32_e32 v60, v3
	s_branch .LBB168_3
.LBB168_42:                             ;   in Loop: Header=BB168_3 Depth=1
	v_lshl_add_u64 v[4:5], v[24:25], 0, v[22:23]
	global_load_ushort v3, v[4:5], off
	v_lshl_add_u64 v[4:5], v[26:27], 0, v[22:23]
	global_load_ushort v12, v[4:5], off
	v_mov_b32_e32 v5, v2
	v_mov_b32_e32 v6, v2
	;; [unrolled: 1-line block ×14, first 2 shown]
	s_waitcnt vmcnt(1)
	v_cvt_f32_f16_e32 v4, v3
	s_waitcnt vmcnt(0)
	v_cvt_f32_f16_e32 v12, v12
	s_or_b64 exec, exec, s[34:35]
	s_and_saveexec_b64 s[34:35], s[6:7]
	s_cbranch_execz .LBB168_32
.LBB168_43:                             ;   in Loop: Header=BB168_3 Depth=1
	v_lshl_add_u64 v[56:57], v[52:53], 0, v[22:23]
	global_load_ushort v3, v[56:57], off
	v_lshl_add_u64 v[56:57], v[54:55], 0, v[22:23]
	global_load_ushort v13, v[56:57], off
	s_waitcnt vmcnt(1)
	v_cvt_f32_f16_e32 v5, v3
	s_waitcnt vmcnt(0)
	v_cvt_f32_f16_e32 v13, v13
	s_or_b64 exec, exec, s[34:35]
	s_and_saveexec_b64 s[34:35], s[6:7]
	s_cbranch_execz .LBB168_33
.LBB168_44:                             ;   in Loop: Header=BB168_3 Depth=1
	v_lshl_add_u64 v[56:57], v[48:49], 0, v[22:23]
	global_load_ushort v3, v[56:57], off
	v_lshl_add_u64 v[56:57], v[50:51], 0, v[22:23]
	global_load_ushort v14, v[56:57], off
	s_waitcnt vmcnt(1)
	v_cvt_f32_f16_e32 v6, v3
	s_waitcnt vmcnt(0)
	v_cvt_f32_f16_e32 v14, v14
	s_or_b64 exec, exec, s[34:35]
	s_and_saveexec_b64 s[34:35], s[6:7]
	s_cbranch_execz .LBB168_34
.LBB168_45:                             ;   in Loop: Header=BB168_3 Depth=1
	v_lshl_add_u64 v[56:57], v[44:45], 0, v[22:23]
	global_load_ushort v3, v[56:57], off
	v_lshl_add_u64 v[56:57], v[46:47], 0, v[22:23]
	global_load_ushort v15, v[56:57], off
	s_waitcnt vmcnt(1)
	v_cvt_f32_f16_e32 v7, v3
	s_waitcnt vmcnt(0)
	v_cvt_f32_f16_e32 v15, v15
	s_or_b64 exec, exec, s[34:35]
	s_and_saveexec_b64 s[34:35], s[6:7]
	s_cbranch_execz .LBB168_35
.LBB168_46:                             ;   in Loop: Header=BB168_3 Depth=1
	v_lshl_add_u64 v[56:57], v[40:41], 0, v[22:23]
	global_load_ushort v3, v[56:57], off
	v_lshl_add_u64 v[56:57], v[42:43], 0, v[22:23]
	global_load_ushort v16, v[56:57], off
	s_waitcnt vmcnt(1)
	v_cvt_f32_f16_e32 v8, v3
	s_waitcnt vmcnt(0)
	v_cvt_f32_f16_e32 v16, v16
	s_or_b64 exec, exec, s[34:35]
	s_and_saveexec_b64 s[34:35], s[6:7]
	s_cbranch_execz .LBB168_36
.LBB168_47:                             ;   in Loop: Header=BB168_3 Depth=1
	v_lshl_add_u64 v[56:57], v[36:37], 0, v[22:23]
	global_load_ushort v3, v[56:57], off
	v_lshl_add_u64 v[56:57], v[38:39], 0, v[22:23]
	global_load_ushort v17, v[56:57], off
	s_waitcnt vmcnt(1)
	v_cvt_f32_f16_e32 v9, v3
	s_waitcnt vmcnt(0)
	v_cvt_f32_f16_e32 v17, v17
	s_or_b64 exec, exec, s[34:35]
	s_and_saveexec_b64 s[34:35], s[6:7]
	s_cbranch_execz .LBB168_37
.LBB168_48:                             ;   in Loop: Header=BB168_3 Depth=1
	v_lshl_add_u64 v[56:57], v[32:33], 0, v[22:23]
	global_load_ushort v3, v[56:57], off
	v_lshl_add_u64 v[56:57], v[34:35], 0, v[22:23]
	global_load_ushort v18, v[56:57], off
	s_waitcnt vmcnt(1)
	v_cvt_f32_f16_e32 v10, v3
	s_waitcnt vmcnt(0)
	v_cvt_f32_f16_e32 v18, v18
	s_or_b64 exec, exec, s[34:35]
	s_and_saveexec_b64 s[34:35], s[6:7]
	s_cbranch_execnz .LBB168_38
	s_branch .LBB168_39
.LBB168_49:
                                        ; implicit-def: $vgpr3
	s_load_dwordx2 s[6:7], s[0:1], 0x30
	s_branch .LBB168_51
.LBB168_50:
	s_load_dwordx2 s[6:7], s[0:1], 0x30
	s_cbranch_execnz .LBB168_83
.LBB168_51:
	s_and_b64 vcc, exec, s[4:5]
	v_mov_b32_e32 v3, 0
	s_cbranch_vccnz .LBB168_83
; %bb.52:
	v_mov_b32_e32 v2, 0
	v_bfe_u32 v86, v0, 10, 10
	v_lshlrev_b32_e32 v6, 4, v86
	v_mov_b32_e32 v7, v2
	v_lshl_add_u64 v[6:7], s[20:21], 1, v[6:7]
	v_lshl_add_u64 v[8:9], v[6:7], 0, 2
	v_mov_b64_e32 v[10:11], s[16:17]
	v_lshl_add_u64 v[12:13], v[6:7], 0, 4
	v_lshl_add_u64 v[14:15], v[6:7], 0, 6
	;; [unrolled: 1-line block ×6, first 2 shown]
	v_mad_u64_u32 v[22:23], s[4:5], s14, v8, v[10:11]
	v_mad_u64_u32 v[24:25], s[4:5], s14, v12, v[10:11]
	;; [unrolled: 1-line block ×7, first 2 shown]
	v_mov_b64_e32 v[10:11], s[18:19]
	v_mul_lo_u32 v9, s14, v9
	v_mul_lo_u32 v38, s15, v8
	v_mad_u64_u32 v[36:37], s[4:5], s14, v8, v[10:11]
	v_add3_u32 v23, v38, v23, v9
	v_mul_lo_u32 v13, s14, v13
	v_mul_lo_u32 v40, s15, v12
	v_add3_u32 v37, v38, v37, v9
	v_mad_u64_u32 v[38:39], s[4:5], s14, v12, v[10:11]
	v_add3_u32 v25, v40, v25, v13
	v_mul_lo_u32 v15, s14, v15
	v_mul_lo_u32 v42, s15, v14
	v_add3_u32 v39, v40, v39, v13
	;; [unrolled: 5-line block ×3, first 2 shown]
	v_mad_u64_u32 v[42:43], s[4:5], s14, v16, v[10:11]
	v_lshlrev_b32_e32 v20, 3, v86
	v_mov_b32_e32 v21, v2
	v_add3_u32 v29, v44, v29, v17
	v_mul_lo_u32 v19, s14, v19
	v_mul_lo_u32 v48, s15, v18
	;; [unrolled: 1-line block ×4, first 2 shown]
	v_add3_u32 v43, v44, v43, v17
	v_mad_u64_u32 v[44:45], s[4:5], s14, v18, v[10:11]
	v_mad_u64_u32 v[46:47], s[4:5], s14, v46, v[10:11]
	v_lshl_add_u64 v[4:5], v[20:21], 0, s[20:21]
	v_add3_u32 v31, v48, v31, v19
	v_add3_u32 v33, v51, v33, v49
	v_mul_lo_u32 v7, s14, v7
	v_mul_lo_u32 v8, s15, v6
	v_add3_u32 v45, v48, v45, v19
	v_add3_u32 v47, v51, v47, v49
	v_mad_u64_u32 v[48:49], s[4:5], s14, v6, v[10:11]
	v_add3_u32 v35, v8, v35, v7
	v_add3_u32 v49, v8, v49, v7
	v_lshl_add_u64 v[6:7], v[4:5], 0, 7
	v_mul_lo_u32 v8, s15, v6
	v_mul_lo_u32 v9, s14, v7
	v_mad_u64_u32 v[6:7], s[4:5], s14, v6, 0
	v_add3_u32 v7, v7, v9, v8
	v_lshl_add_u64 v[8:9], v[4:5], 0, 6
	v_mul_lo_u32 v10, s15, v8
	v_mul_lo_u32 v11, s14, v9
	v_mad_u64_u32 v[8:9], s[4:5], s14, v8, 0
	;; [unrolled: 5-line block ×5, first 2 shown]
	v_add3_u32 v15, v15, v17, v16
	v_lshl_add_u64 v[16:17], v[4:5], 0, 2
	v_mul_lo_u32 v50, s14, v5
	v_mul_lo_u32 v5, s15, v16
	;; [unrolled: 1-line block ×3, first 2 shown]
	v_mad_u64_u32 v[16:17], s[4:5], s14, v16, 0
	v_add3_u32 v17, v17, v18, v5
	v_mov_b64_e32 v[18:19], s[14:15]
	v_mul_lo_u32 v3, s15, v4
	v_mad_u64_u32 v[18:19], s[4:5], s14, v4, v[18:19]
	v_mad_u64_u32 v[4:5], s[4:5], s14, v4, 0
	v_and_b32_e32 v1, 0x3ff, v0
	v_add3_u32 v5, v5, v50, v3
	v_add3_u32 v19, v3, v19, v50
	v_add_u32_e32 v50, s3, v1
	s_load_dword s3, s[0:1], 0x44
	v_lshlrev_b64 v[4:5], 1, v[4:5]
	v_lshl_add_u64 v[52:53], s[16:17], 0, v[4:5]
	v_lshl_add_u64 v[54:55], s[18:19], 0, v[4:5]
	v_lshlrev_b64 v[4:5], 1, v[6:7]
	v_lshl_add_u64 v[56:57], s[16:17], 0, v[4:5]
	v_lshl_add_u64 v[58:59], s[18:19], 0, v[4:5]
	;; [unrolled: 3-line block ×3, first 2 shown]
	v_lshlrev_b64 v[4:5], 1, v[10:11]
	s_add_u32 s22, s0, 64
	v_lshl_add_u64 v[64:65], s[16:17], 0, v[4:5]
	v_lshl_add_u64 v[66:67], s[18:19], 0, v[4:5]
	v_lshlrev_b64 v[4:5], 1, v[12:13]
	s_addc_u32 s23, s1, 0
	s_waitcnt lgkmcnt(0)
	s_lshl_b32 s4, s3, 3
	v_lshl_add_u64 v[68:69], s[16:17], 0, v[4:5]
	v_lshl_add_u64 v[70:71], s[18:19], 0, v[4:5]
	v_lshlrev_b64 v[4:5], 1, v[14:15]
	v_mbcnt_lo_u32_b32 v3, -1, 0
	s_mul_i32 s3, s15, s4
	s_mul_hi_u32 s9, s14, s4
	v_lshl_add_u64 v[72:73], s[16:17], 0, v[4:5]
	v_lshl_add_u64 v[74:75], s[18:19], 0, v[4:5]
	v_lshlrev_b64 v[4:5], 1, v[16:17]
	v_mbcnt_hi_u32_b32 v3, -1, v3
	v_mov_b32_e32 v51, v2
	s_add_i32 s25, s9, s3
	s_mul_i32 s24, s14, s4
	v_lshl_add_u64 v[76:77], s[16:17], 0, v[4:5]
	v_lshl_add_u64 v[78:79], s[18:19], 0, v[4:5]
	v_lshlrev_b64 v[4:5], 1, v[18:19]
	v_lshlrev_b32_e32 v3, 2, v3
	s_mov_b32 s5, 0
	v_lshlrev_b64 v[50:51], 1, v[50:51]
	s_lshl_b64 s[24:25], s[24:25], 1
	s_mov_b64 s[26:27], 7
	v_lshl_add_u64 v[80:81], s[16:17], 0, v[4:5]
	v_lshl_add_u64 v[82:83], s[18:19], 0, v[4:5]
	v_and_b32_e32 v87, 0x100, v3
	s_mov_b64 s[16:17], s[20:21]
	v_mov_b32_e32 v88, 0
.LBB168_53:                             ; =>This Inner Loop Header: Depth=1
	s_add_u32 s18, s20, s26
	s_addc_u32 s19, 0, s27
	v_mov_b64_e32 v[4:5], s[12:13]
	v_cmp_ge_i64_e32 vcc, s[18:19], v[4:5]
	v_lshl_add_u64 v[84:85], s[20:21], 0, v[20:21]
	s_mov_b64 s[18:19], -1
                                        ; implicit-def: $vgpr3
	s_cbranch_vccz .LBB168_75
; %bb.54:                               ;   in Loop: Header=BB168_53 Depth=1
	s_load_dword s3, s[22:23], 0xc
	v_mov_b32_e32 v89, 0
	s_waitcnt lgkmcnt(0)
	s_and_b32 s3, s3, 0xffff
	v_mad_u32_u24 v3, v86, s3, v1
	v_and_b32_e32 v4, 63, v3
	v_cmp_gt_u32_e32 vcc, 8, v4
	s_and_saveexec_b64 s[18:19], vcc
	s_cbranch_execz .LBB168_58
; %bb.55:                               ;   in Loop: Header=BB168_53 Depth=1
	v_mov_b32_e32 v5, v2
	v_lshl_add_u64 v[4:5], v[84:85], 0, v[4:5]
	v_cmp_gt_i64_e32 vcc, s[12:13], v[4:5]
	v_mov_b32_e32 v89, 0
	s_and_saveexec_b64 s[28:29], vcc
	s_cbranch_execz .LBB168_57
; %bb.56:                               ;   in Loop: Header=BB168_53 Depth=1
	v_lshl_add_u64 v[4:5], v[4:5], 2, s[10:11]
	global_load_dword v89, v[4:5], off
.LBB168_57:                             ;   in Loop: Header=BB168_53 Depth=1
	s_or_b64 exec, exec, s[28:29]
.LBB168_58:                             ;   in Loop: Header=BB168_53 Depth=1
	s_or_b64 exec, exec, s[18:19]
	v_mov_b32_e32 v8, v2
	v_mov_b32_e32 v9, v2
	;; [unrolled: 1-line block ×7, first 2 shown]
	v_mov_b64_e32 v[18:19], v[8:9]
	v_mov_b64_e32 v[16:17], v[6:7]
	;; [unrolled: 1-line block ×5, first 2 shown]
	v_cmp_gt_i64_e32 vcc, s[12:13], v[84:85]
	v_mov_b64_e32 v[8:9], v[6:7]
	v_mov_b64_e32 v[6:7], v[4:5]
	;; [unrolled: 1-line block ×3, first 2 shown]
	s_and_saveexec_b64 s[18:19], vcc
	s_cbranch_execz .LBB168_60
; %bb.59:                               ;   in Loop: Header=BB168_53 Depth=1
	v_lshl_add_u64 v[4:5], v[52:53], 0, v[50:51]
	global_load_ushort v3, v[4:5], off
	v_lshl_add_u64 v[4:5], v[54:55], 0, v[50:51]
	global_load_ushort v12, v[4:5], off
	v_mov_b32_e32 v5, v2
	v_mov_b32_e32 v6, v2
	;; [unrolled: 1-line block ×14, first 2 shown]
	s_waitcnt vmcnt(1)
	v_cvt_f32_f16_e32 v4, v3
	s_waitcnt vmcnt(0)
	v_cvt_f32_f16_e32 v12, v12
.LBB168_60:                             ;   in Loop: Header=BB168_53 Depth=1
	s_or_b64 exec, exec, s[18:19]
	v_lshl_add_u64 v[90:91], v[84:85], 0, 1
	v_cmp_gt_i64_e32 vcc, s[12:13], v[90:91]
	s_and_saveexec_b64 s[18:19], vcc
	s_cbranch_execz .LBB168_62
; %bb.61:                               ;   in Loop: Header=BB168_53 Depth=1
	v_lshl_add_u64 v[90:91], v[80:81], 0, v[50:51]
	global_load_ushort v3, v[90:91], off
	v_lshl_add_u64 v[90:91], v[82:83], 0, v[50:51]
	global_load_ushort v13, v[90:91], off
	s_waitcnt vmcnt(1)
	v_cvt_f32_f16_e32 v5, v3
	s_waitcnt vmcnt(0)
	v_cvt_f32_f16_e32 v13, v13
.LBB168_62:                             ;   in Loop: Header=BB168_53 Depth=1
	s_or_b64 exec, exec, s[18:19]
	v_lshl_add_u64 v[90:91], v[84:85], 0, 2
	v_cmp_gt_i64_e32 vcc, s[12:13], v[90:91]
	s_and_saveexec_b64 s[18:19], vcc
	s_cbranch_execz .LBB168_64
; %bb.63:                               ;   in Loop: Header=BB168_53 Depth=1
	v_lshl_add_u64 v[90:91], v[76:77], 0, v[50:51]
	global_load_ushort v3, v[90:91], off
	v_lshl_add_u64 v[90:91], v[78:79], 0, v[50:51]
	global_load_ushort v14, v[90:91], off
	s_waitcnt vmcnt(1)
	v_cvt_f32_f16_e32 v6, v3
	s_waitcnt vmcnt(0)
	v_cvt_f32_f16_e32 v14, v14
.LBB168_64:                             ;   in Loop: Header=BB168_53 Depth=1
	;; [unrolled: 15-line block ×7, first 2 shown]
	s_or_b64 exec, exec, s[18:19]
	s_waitcnt vmcnt(0)
	ds_bpermute_b32 v90, v87, v89
	ds_bpermute_b32 v91, v87, v89 offset:4
	v_pk_mul_f32 v[6:7], v[14:15], v[6:7]
	ds_bpermute_b32 v14, v87, v89 offset:8
	ds_bpermute_b32 v15, v87, v89 offset:12
	v_pk_mul_f32 v[4:5], v[12:13], v[4:5]
	ds_bpermute_b32 v12, v87, v89 offset:24
	s_waitcnt lgkmcnt(3)
	v_pk_mul_f32 v[4:5], v[4:5], v[90:91]
	ds_bpermute_b32 v13, v87, v89 offset:28
	v_add_f32_e32 v3, v88, v4
	v_add_f32_e32 v3, v3, v5
	s_waitcnt lgkmcnt(2)
	v_pk_mul_f32 v[4:5], v[6:7], v[14:15]
	ds_bpermute_b32 v6, v87, v89 offset:16
	ds_bpermute_b32 v7, v87, v89 offset:20
	v_pk_mul_f32 v[8:9], v[16:17], v[8:9]
	v_add_f32_e32 v3, v3, v4
	v_add_f32_e32 v3, v3, v5
	v_pk_mul_f32 v[10:11], v[18:19], v[10:11]
	s_waitcnt lgkmcnt(0)
	v_pk_mul_f32 v[4:5], v[8:9], v[6:7]
	s_mov_b64 s[18:19], 0
	v_add_f32_e32 v3, v3, v4
	v_add_f32_e32 v3, v3, v5
	v_pk_mul_f32 v[4:5], v[10:11], v[12:13]
	s_nop 0
	v_add_f32_e32 v3, v3, v4
	v_add_f32_e32 v3, v3, v5
.LBB168_75:                             ;   in Loop: Header=BB168_53 Depth=1
	s_and_b64 vcc, exec, s[18:19]
	s_cbranch_vccz .LBB168_81
; %bb.76:                               ;   in Loop: Header=BB168_53 Depth=1
	s_load_dword s3, s[22:23], 0x0
	s_waitcnt lgkmcnt(0)
	s_cmp_lt_u32 s2, s3
	s_cselect_b32 s3, 12, 18
	s_add_u32 s18, s22, s3
	s_addc_u32 s19, s23, 0
	global_load_ushort v3, v2, s[18:19]
	s_waitcnt vmcnt(0)
	v_mad_u32_u24 v3, v86, v3, v1
	v_and_b32_e32 v4, 63, v3
	v_cmp_gt_u32_e32 vcc, 8, v4
	v_mov_b32_e32 v3, 0
	s_and_saveexec_b64 s[18:19], vcc
	s_cbranch_execz .LBB168_80
; %bb.77:                               ;   in Loop: Header=BB168_53 Depth=1
	v_mov_b32_e32 v5, v2
	v_lshl_add_u64 v[4:5], v[84:85], 0, v[4:5]
	v_cmp_gt_i64_e32 vcc, s[12:13], v[4:5]
	v_mov_b32_e32 v3, 0
	s_and_saveexec_b64 s[28:29], vcc
	s_cbranch_execz .LBB168_79
; %bb.78:                               ;   in Loop: Header=BB168_53 Depth=1
	v_lshl_add_u64 v[4:5], v[4:5], 2, s[10:11]
	global_load_dword v3, v[4:5], off
.LBB168_79:                             ;   in Loop: Header=BB168_53 Depth=1
	s_or_b64 exec, exec, s[28:29]
.LBB168_80:                             ;   in Loop: Header=BB168_53 Depth=1
	s_or_b64 exec, exec, s[18:19]
	v_lshl_add_u64 v[4:5], v[52:53], 0, v[50:51]
	global_load_ushort v12, v[4:5], off
	v_lshl_add_u64 v[4:5], v[54:55], 0, v[50:51]
	global_load_ushort v14, v[4:5], off
	;; [unrolled: 2-line block ×12, first 2 shown]
	v_lshl_add_u64 v[6:7], v[34:35], 0, v[50:51]
	v_lshl_add_u64 v[4:5], v[32:33], 0, v[50:51]
	global_load_ushort v93, v[6:7], off
	v_lshl_add_u64 v[6:7], v[48:49], 0, v[50:51]
	global_load_ushort v92, v[4:5], off
	;; [unrolled: 2-line block ×3, first 2 shown]
	global_load_ushort v96, v[4:5], off
	s_waitcnt vmcnt(16)
	ds_bpermute_b32 v4, v87, v3
	ds_bpermute_b32 v5, v87, v3 offset:4
	ds_bpermute_b32 v6, v87, v3 offset:8
	;; [unrolled: 1-line block ×7, first 2 shown]
	s_waitcnt vmcnt(15)
	v_cvt_f32_f16_e32 v12, v12
	s_waitcnt vmcnt(14)
	v_cvt_f32_f16_e32 v14, v14
	;; [unrolled: 2-line block ×6, first 2 shown]
	v_pk_mul_f32 v[12:13], v[12:13], v[14:15]
	s_waitcnt vmcnt(9)
	v_cvt_f32_f16_e32 v17, v17
	s_waitcnt lgkmcnt(6)
	v_pk_mul_f32 v[4:5], v[12:13], v[4:5]
	s_waitcnt vmcnt(8)
	v_cvt_f32_f16_e32 v19, v19
	v_add_f32_e32 v3, v88, v4
	s_waitcnt vmcnt(7)
	v_cvt_f32_f16_e32 v84, v84
	v_add_f32_e32 v3, v3, v5
	v_pk_mul_f32 v[14:15], v[16:17], v[18:19]
	s_waitcnt vmcnt(5)
	v_cvt_f32_f16_e32 v85, v85
	s_waitcnt lgkmcnt(4)
	v_pk_mul_f32 v[6:7], v[14:15], v[6:7]
	s_waitcnt vmcnt(4)
	v_cvt_f32_f16_e32 v91, v90
	v_cvt_f32_f16_e32 v90, v89
	v_add_f32_e32 v3, v3, v6
	s_waitcnt vmcnt(3)
	v_cvt_f32_f16_e32 v93, v93
	v_add_f32_e32 v3, v3, v7
	s_waitcnt vmcnt(2)
	v_cvt_f32_f16_e32 v92, v92
	s_waitcnt vmcnt(1)
	v_cvt_f32_f16_e32 v95, v94
	;; [unrolled: 2-line block ×3, first 2 shown]
	v_pk_mul_f32 v[16:17], v[84:85], v[90:91]
	v_pk_mul_f32 v[18:19], v[92:93], v[94:95]
	s_waitcnt lgkmcnt(2)
	v_pk_mul_f32 v[8:9], v[16:17], v[8:9]
	s_waitcnt lgkmcnt(0)
	v_pk_mul_f32 v[4:5], v[18:19], v[10:11]
	v_add_f32_e32 v3, v3, v8
	v_add_f32_e32 v3, v3, v9
	;; [unrolled: 1-line block ×4, first 2 shown]
.LBB168_81:                             ;   in Loop: Header=BB168_53 Depth=1
	s_add_u32 s16, s16, s4
	s_addc_u32 s17, s17, 0
	v_mov_b64_e32 v[4:5], s[12:13]
	s_add_u32 s26, s26, s4
	v_cmp_ge_i64_e32 vcc, s[16:17], v[4:5]
	v_lshl_add_u64 v[52:53], v[52:53], 0, s[24:25]
	v_lshl_add_u64 v[54:55], v[54:55], 0, s[24:25]
	;; [unrolled: 1-line block ×31, first 2 shown]
	s_addc_u32 s27, 0, s27
	s_cbranch_vccnz .LBB168_83
; %bb.82:                               ;   in Loop: Header=BB168_53 Depth=1
	v_mov_b32_e32 v88, v3
	s_branch .LBB168_53
.LBB168_83:
	s_mov_b32 s3, 0
	s_lshl_b64 s[2:3], s[2:3], 6
	v_and_b32_e32 v1, 0x3ff, v0
	v_or_b32_e32 v4, s2, v1
	v_mov_b32_e32 v5, s3
	s_waitcnt lgkmcnt(0)
	s_cmp_lg_u64 s[6:7], 0
	v_cmp_gt_i64_e32 vcc, s[14:15], v[4:5]
	s_cselect_b64 s[2:3], -1, 0
	s_and_b64 s[2:3], vcc, s[2:3]
	s_and_saveexec_b64 s[4:5], s[2:3]
	s_cbranch_execz .LBB168_85
; %bb.84:
	s_load_dword s0, s[0:1], 0x4c
	v_bfe_u32 v0, v0, 10, 10
	v_mov_b32_e32 v1, 0
	v_mov_b32_e32 v2, s8
	s_waitcnt lgkmcnt(0)
	s_lshr_b32 s0, s0, 16
	v_mad_u64_u32 v[0:1], s[0:1], s0, v2, v[0:1]
	v_cvt_f16_f32_e32 v2, v3
	v_mul_lo_u32 v3, v1, s14
	v_mul_lo_u32 v6, v0, s15
	v_mad_u64_u32 v[0:1], s[0:1], v0, s14, 0
	v_add3_u32 v1, v1, v6, v3
	v_lshl_add_u64 v[0:1], v[0:1], 1, s[6:7]
	v_lshl_add_u64 v[0:1], v[4:5], 1, v[0:1]
	global_store_short v[0:1], v2, off
.LBB168_85:
	s_endpgm
	.section	.rodata,"a",@progbits
	.p2align	6, 0x0
	.amdhsa_kernel _ZN2at6native12_GLOBAL__N_135GammaBetaBackwardCUDAKernelTemplateIN3c104HalfEfLj64ELj1ELj8ELb1ELb0ELb1EEEvllPKT_S7_PKT0_SA_PS5_SB_
		.amdhsa_group_segment_fixed_size 0
		.amdhsa_private_segment_fixed_size 0
		.amdhsa_kernarg_size 320
		.amdhsa_user_sgpr_count 2
		.amdhsa_user_sgpr_dispatch_ptr 0
		.amdhsa_user_sgpr_queue_ptr 0
		.amdhsa_user_sgpr_kernarg_segment_ptr 1
		.amdhsa_user_sgpr_dispatch_id 0
		.amdhsa_user_sgpr_kernarg_preload_length 0
		.amdhsa_user_sgpr_kernarg_preload_offset 0
		.amdhsa_user_sgpr_private_segment_size 0
		.amdhsa_uses_dynamic_stack 0
		.amdhsa_enable_private_segment 0
		.amdhsa_system_sgpr_workgroup_id_x 1
		.amdhsa_system_sgpr_workgroup_id_y 1
		.amdhsa_system_sgpr_workgroup_id_z 0
		.amdhsa_system_sgpr_workgroup_info 0
		.amdhsa_system_vgpr_workitem_id 1
		.amdhsa_next_free_vgpr 97
		.amdhsa_next_free_sgpr 38
		.amdhsa_accum_offset 100
		.amdhsa_reserve_vcc 1
		.amdhsa_float_round_mode_32 0
		.amdhsa_float_round_mode_16_64 0
		.amdhsa_float_denorm_mode_32 3
		.amdhsa_float_denorm_mode_16_64 3
		.amdhsa_dx10_clamp 1
		.amdhsa_ieee_mode 1
		.amdhsa_fp16_overflow 0
		.amdhsa_tg_split 0
		.amdhsa_exception_fp_ieee_invalid_op 0
		.amdhsa_exception_fp_denorm_src 0
		.amdhsa_exception_fp_ieee_div_zero 0
		.amdhsa_exception_fp_ieee_overflow 0
		.amdhsa_exception_fp_ieee_underflow 0
		.amdhsa_exception_fp_ieee_inexact 0
		.amdhsa_exception_int_div_zero 0
	.end_amdhsa_kernel
	.section	.text._ZN2at6native12_GLOBAL__N_135GammaBetaBackwardCUDAKernelTemplateIN3c104HalfEfLj64ELj1ELj8ELb1ELb0ELb1EEEvllPKT_S7_PKT0_SA_PS5_SB_,"axG",@progbits,_ZN2at6native12_GLOBAL__N_135GammaBetaBackwardCUDAKernelTemplateIN3c104HalfEfLj64ELj1ELj8ELb1ELb0ELb1EEEvllPKT_S7_PKT0_SA_PS5_SB_,comdat
.Lfunc_end168:
	.size	_ZN2at6native12_GLOBAL__N_135GammaBetaBackwardCUDAKernelTemplateIN3c104HalfEfLj64ELj1ELj8ELb1ELb0ELb1EEEvllPKT_S7_PKT0_SA_PS5_SB_, .Lfunc_end168-_ZN2at6native12_GLOBAL__N_135GammaBetaBackwardCUDAKernelTemplateIN3c104HalfEfLj64ELj1ELj8ELb1ELb0ELb1EEEvllPKT_S7_PKT0_SA_PS5_SB_
                                        ; -- End function
	.set _ZN2at6native12_GLOBAL__N_135GammaBetaBackwardCUDAKernelTemplateIN3c104HalfEfLj64ELj1ELj8ELb1ELb0ELb1EEEvllPKT_S7_PKT0_SA_PS5_SB_.num_vgpr, 97
	.set _ZN2at6native12_GLOBAL__N_135GammaBetaBackwardCUDAKernelTemplateIN3c104HalfEfLj64ELj1ELj8ELb1ELb0ELb1EEEvllPKT_S7_PKT0_SA_PS5_SB_.num_agpr, 0
	.set _ZN2at6native12_GLOBAL__N_135GammaBetaBackwardCUDAKernelTemplateIN3c104HalfEfLj64ELj1ELj8ELb1ELb0ELb1EEEvllPKT_S7_PKT0_SA_PS5_SB_.numbered_sgpr, 38
	.set _ZN2at6native12_GLOBAL__N_135GammaBetaBackwardCUDAKernelTemplateIN3c104HalfEfLj64ELj1ELj8ELb1ELb0ELb1EEEvllPKT_S7_PKT0_SA_PS5_SB_.num_named_barrier, 0
	.set _ZN2at6native12_GLOBAL__N_135GammaBetaBackwardCUDAKernelTemplateIN3c104HalfEfLj64ELj1ELj8ELb1ELb0ELb1EEEvllPKT_S7_PKT0_SA_PS5_SB_.private_seg_size, 0
	.set _ZN2at6native12_GLOBAL__N_135GammaBetaBackwardCUDAKernelTemplateIN3c104HalfEfLj64ELj1ELj8ELb1ELb0ELb1EEEvllPKT_S7_PKT0_SA_PS5_SB_.uses_vcc, 1
	.set _ZN2at6native12_GLOBAL__N_135GammaBetaBackwardCUDAKernelTemplateIN3c104HalfEfLj64ELj1ELj8ELb1ELb0ELb1EEEvllPKT_S7_PKT0_SA_PS5_SB_.uses_flat_scratch, 0
	.set _ZN2at6native12_GLOBAL__N_135GammaBetaBackwardCUDAKernelTemplateIN3c104HalfEfLj64ELj1ELj8ELb1ELb0ELb1EEEvllPKT_S7_PKT0_SA_PS5_SB_.has_dyn_sized_stack, 0
	.set _ZN2at6native12_GLOBAL__N_135GammaBetaBackwardCUDAKernelTemplateIN3c104HalfEfLj64ELj1ELj8ELb1ELb0ELb1EEEvllPKT_S7_PKT0_SA_PS5_SB_.has_recursion, 0
	.set _ZN2at6native12_GLOBAL__N_135GammaBetaBackwardCUDAKernelTemplateIN3c104HalfEfLj64ELj1ELj8ELb1ELb0ELb1EEEvllPKT_S7_PKT0_SA_PS5_SB_.has_indirect_call, 0
	.section	.AMDGPU.csdata,"",@progbits
; Kernel info:
; codeLenInByte = 6172
; TotalNumSgprs: 44
; NumVgprs: 97
; NumAgprs: 0
; TotalNumVgprs: 97
; ScratchSize: 0
; MemoryBound: 0
; FloatMode: 240
; IeeeMode: 1
; LDSByteSize: 0 bytes/workgroup (compile time only)
; SGPRBlocks: 5
; VGPRBlocks: 12
; NumSGPRsForWavesPerEU: 44
; NumVGPRsForWavesPerEU: 97
; AccumOffset: 100
; Occupancy: 4
; WaveLimiterHint : 0
; COMPUTE_PGM_RSRC2:SCRATCH_EN: 0
; COMPUTE_PGM_RSRC2:USER_SGPR: 2
; COMPUTE_PGM_RSRC2:TRAP_HANDLER: 0
; COMPUTE_PGM_RSRC2:TGID_X_EN: 1
; COMPUTE_PGM_RSRC2:TGID_Y_EN: 1
; COMPUTE_PGM_RSRC2:TGID_Z_EN: 0
; COMPUTE_PGM_RSRC2:TIDIG_COMP_CNT: 1
; COMPUTE_PGM_RSRC3_GFX90A:ACCUM_OFFSET: 24
; COMPUTE_PGM_RSRC3_GFX90A:TG_SPLIT: 0
	.section	.text._ZN2at6native12_GLOBAL__N_135GammaBetaBackwardCUDAKernelTemplateIN3c104HalfEfLj64ELj8ELj64ELb0ELb1ELb1EEEvllPKT_S7_PKT0_SA_PS5_SB_,"axG",@progbits,_ZN2at6native12_GLOBAL__N_135GammaBetaBackwardCUDAKernelTemplateIN3c104HalfEfLj64ELj8ELj64ELb0ELb1ELb1EEEvllPKT_S7_PKT0_SA_PS5_SB_,comdat
	.globl	_ZN2at6native12_GLOBAL__N_135GammaBetaBackwardCUDAKernelTemplateIN3c104HalfEfLj64ELj8ELj64ELb0ELb1ELb1EEEvllPKT_S7_PKT0_SA_PS5_SB_ ; -- Begin function _ZN2at6native12_GLOBAL__N_135GammaBetaBackwardCUDAKernelTemplateIN3c104HalfEfLj64ELj8ELj64ELb0ELb1ELb1EEEvllPKT_S7_PKT0_SA_PS5_SB_
	.p2align	8
	.type	_ZN2at6native12_GLOBAL__N_135GammaBetaBackwardCUDAKernelTemplateIN3c104HalfEfLj64ELj8ELj64ELb0ELb1ELb1EEEvllPKT_S7_PKT0_SA_PS5_SB_,@function
_ZN2at6native12_GLOBAL__N_135GammaBetaBackwardCUDAKernelTemplateIN3c104HalfEfLj64ELj8ELj64ELb0ELb1ELb1EEEvllPKT_S7_PKT0_SA_PS5_SB_: ; @_ZN2at6native12_GLOBAL__N_135GammaBetaBackwardCUDAKernelTemplateIN3c104HalfEfLj64ELj8ELj64ELb0ELb1ELb1EEEvllPKT_S7_PKT0_SA_PS5_SB_
; %bb.0:
	s_load_dwordx4 s[4:7], s[0:1], 0x0
	s_lshl_b32 s14, s3, 6
	s_mov_b32 s15, 0
	v_mov_b64_e32 v[2:3], s[14:15]
	v_bfe_u32 v12, v0, 10, 10
	s_waitcnt lgkmcnt(0)
	v_cmp_gt_i64_e32 vcc, s[4:5], v[2:3]
	s_cbranch_vccnz .LBB169_2
; %bb.1:
	s_mov_b64 s[8:9], 0
	v_bfe_u32 v2, v0, 10, 10
	s_branch .LBB169_3
.LBB169_2:
	s_mov_b64 s[8:9], -1
                                        ; implicit-def: $vgpr2
.LBB169_3:
	s_load_dwordx2 s[12:13], s[0:1], 0x30
	v_and_b32_e32 v10, 0x3ff, v0
	v_mov_b32_e32 v1, 0
	s_andn2_b64 vcc, exec, s[8:9]
	v_mbcnt_lo_u32_b32 v11, -1, 0
	s_cbranch_vccnz .LBB169_11
; %bb.4:
	s_load_dword s3, s[0:1], 0x4c
	s_load_dword s16, s[0:1], 0x44
	s_load_dwordx2 s[18:19], s[0:1], 0x28
	s_load_dwordx4 s[8:11], s[0:1], 0x10
	v_lshlrev_b32_e32 v0, 3, v12
	s_waitcnt lgkmcnt(0)
	s_and_b32 s0, s3, 0xffff
	v_mad_u32_u24 v1, v12, s0, v10
	v_and_b32_e32 v2, 63, v1
	v_mov_b32_e32 v1, 0
	v_mov_b32_e32 v3, v1
	v_lshl_add_u64 v[8:9], v[0:1], 0, s[14:15]
	v_cmp_gt_u32_e64 s[0:1], 8, v2
	v_mbcnt_hi_u32_b32 v4, -1, v11
	s_lshl_b32 s16, s16, 6
	v_lshl_add_u64 v[2:3], v[8:9], 0, v[2:3]
	v_mul_lo_u32 v0, s7, v8
	v_mul_lo_u32 v21, s6, v9
	v_mad_u64_u32 v[8:9], s[20:21], s6, v8, 0
	v_lshl_add_u32 v6, s2, 6, v10
	v_mov_b32_e32 v7, v1
	v_lshlrev_b32_e32 v4, 2, v4
	s_mul_i32 s3, s7, s16
	s_mul_hi_u32 s20, s6, s16
	s_mov_b32 s17, 0
	v_and_b32_e32 v13, 0x100, v4
	v_add3_u32 v9, v9, v21, v0
	v_lshlrev_b64 v[6:7], 1, v[6:7]
	s_add_i32 s21, s20, s3
	s_mul_i32 s20, s6, s16
	v_or_b32_e32 v14, 4, v13
	v_or_b32_e32 v15, 8, v13
	;; [unrolled: 1-line block ×7, first 2 shown]
	v_lshl_add_u64 v[4:5], v[2:3], 2, s[18:19]
	s_lshl_b64 s[18:19], s[16:17], 2
	v_lshl_add_u64 v[6:7], v[8:9], 1, v[6:7]
	s_lshl_b64 s[20:21], s[20:21], 1
	s_lshl_b64 s[6:7], s[6:7], 1
	v_mov_b64_e32 v[8:9], s[4:5]
	s_branch .LBB169_7
.LBB169_5:                              ;   in Loop: Header=BB169_7 Depth=1
	s_or_b64 exec, exec, s[24:25]
.LBB169_6:                              ;   in Loop: Header=BB169_7 Depth=1
	s_or_b64 exec, exec, s[22:23]
	v_lshl_add_u64 v[22:23], s[8:9], 0, v[6:7]
	global_load_ushort v21, v[22:23], off
	v_lshl_add_u64 v[24:25], s[10:11], 0, v[6:7]
	v_lshl_add_u64 v[22:23], v[22:23], 0, s[6:7]
	global_load_ushort v31, v[24:25], off
	global_load_ushort v33, v[22:23], off
	v_lshl_add_u64 v[24:25], v[24:25], 0, s[6:7]
	v_lshl_add_u64 v[22:23], v[22:23], 0, s[6:7]
	global_load_ushort v34, v[24:25], off
	;; [unrolled: 4-line block ×7, first 2 shown]
	v_lshl_add_u64 v[22:23], v[24:25], 0, s[6:7]
	global_load_ushort v44, v[24:25], off
	global_load_ushort v46, v[22:23], off
	s_waitcnt vmcnt(16)
	ds_bpermute_b32 v22, v13, v0
	ds_bpermute_b32 v23, v14, v0
	;; [unrolled: 1-line block ×8, first 2 shown]
	s_add_u32 s14, s14, s16
	s_addc_u32 s15, s15, 0
	v_cmp_lt_i64_e32 vcc, s[14:15], v[8:9]
	v_lshl_add_u64 v[4:5], v[4:5], 0, s[18:19]
	v_lshl_add_u64 v[2:3], v[2:3], 0, s[16:17]
	;; [unrolled: 1-line block ×3, first 2 shown]
	s_and_b64 vcc, exec, vcc
	s_waitcnt vmcnt(15)
	v_cvt_f32_f16_e32 v30, v21
	s_waitcnt vmcnt(14)
	v_cvt_f32_f16_e32 v32, v31
	;; [unrolled: 2-line block ×7, first 2 shown]
	v_pk_mul_f32 v[30:31], v[30:31], v[32:33]
	s_waitcnt vmcnt(8)
	v_cvt_f32_f16_e32 v37, v38
	s_waitcnt vmcnt(7)
	v_cvt_f32_f16_e32 v38, v39
	s_waitcnt lgkmcnt(6)
	v_pk_mul_f32 v[22:23], v[30:31], v[22:23]
	s_waitcnt vmcnt(6)
	v_cvt_f32_f16_e32 v40, v40
	s_waitcnt vmcnt(5)
	v_cvt_f32_f16_e32 v39, v41
	v_add_f32_e32 v21, v1, v22
	v_pk_mul_f32 v[32:33], v[34:35], v[36:37]
	s_waitcnt vmcnt(4)
	v_cvt_f32_f16_e32 v41, v42
	s_waitcnt vmcnt(3)
	v_cvt_f32_f16_e32 v0, v43
	v_add_f32_e32 v21, v21, v23
	s_waitcnt lgkmcnt(4)
	v_pk_mul_f32 v[22:23], v[32:33], v[24:25]
	s_waitcnt vmcnt(2)
	v_cvt_f32_f16_e32 v1, v45
	v_add_f32_e32 v21, v21, v22
	s_waitcnt vmcnt(1)
	v_cvt_f32_f16_e32 v30, v44
	s_waitcnt vmcnt(0)
	v_cvt_f32_f16_e32 v31, v46
	v_pk_mul_f32 v[24:25], v[38:39], v[40:41]
	v_add_f32_e32 v21, v21, v23
	s_waitcnt lgkmcnt(2)
	v_pk_mul_f32 v[22:23], v[24:25], v[26:27]
	v_pk_mul_f32 v[0:1], v[0:1], v[30:31]
	v_add_f32_e32 v21, v21, v22
	v_add_f32_e32 v21, v21, v23
	s_waitcnt lgkmcnt(0)
	v_pk_mul_f32 v[0:1], v[0:1], v[28:29]
	s_nop 0
	v_add_f32_e32 v0, v21, v0
	v_add_f32_e32 v1, v0, v1
	s_cbranch_vccz .LBB169_10
.LBB169_7:                              ; =>This Inner Loop Header: Depth=1
	v_mov_b32_e32 v0, 0
	s_and_saveexec_b64 s[22:23], s[0:1]
	s_cbranch_execz .LBB169_6
; %bb.8:                                ;   in Loop: Header=BB169_7 Depth=1
	v_cmp_gt_i64_e32 vcc, s[4:5], v[2:3]
	v_mov_b32_e32 v0, 0
	s_and_saveexec_b64 s[24:25], vcc
	s_cbranch_execz .LBB169_5
; %bb.9:                                ;   in Loop: Header=BB169_7 Depth=1
	global_load_dword v0, v[4:5], off
	s_branch .LBB169_5
.LBB169_10:
	v_mov_b32_e32 v2, v12
.LBB169_11:
	s_movk_i32 s0, 0x41
	v_mad_u32_u24 v0, v2, s0, v10
	v_lshl_add_u32 v0, v0, 2, 0
	ds_write_b32 v0, v1
	v_mov_b32_e32 v1, 0
	ds_write_b32 v0, v1 offset:2080
	v_lshrrev_b32_e32 v0, 6, v10
	v_add_u32_e32 v0, v0, v2
	v_cmp_gt_u32_e32 vcc, 64, v0
	s_waitcnt lgkmcnt(0)
	s_barrier
	s_and_saveexec_b64 s[0:1], vcc
	s_cbranch_execz .LBB169_51
; %bb.12:
	v_and_b32_e32 v1, 63, v10
	v_cmp_gt_u32_e32 vcc, 8, v1
	v_mul_u32_u24_e32 v2, 0x41, v1
                                        ; implicit-def: $vgpr1
	s_and_saveexec_b64 s[0:1], vcc
; %bb.13:
	v_lshlrev_b32_e32 v1, 2, v0
	v_lshlrev_b32_e32 v3, 2, v2
	v_add3_u32 v1, 0, v1, v3
	ds_read_b32 v1, v1
; %bb.14:
	s_or_b64 exec, exec, s[0:1]
	v_mbcnt_hi_u32_b32 v5, -1, v11
	v_and_b32_e32 v3, 64, v5
	v_add_u32_e32 v6, 64, v3
	v_xor_b32_e32 v3, 4, v5
	v_cmp_lt_i32_e64 s[0:1], v3, v6
	v_xor_b32_e32 v7, 2, v5
	s_cmp_lg_u64 s[12:13], 0
	v_cndmask_b32_e64 v3, v5, v3, s[0:1]
	v_lshlrev_b32_e32 v3, 2, v3
	s_waitcnt lgkmcnt(0)
	ds_bpermute_b32 v4, v3, v1
	v_cmp_lt_i32_e64 s[0:1], v7, v6
	s_mov_b32 s3, 0
	s_cselect_b64 s[6:7], -1, 0
	s_waitcnt lgkmcnt(0)
	v_add_f32_e32 v1, v1, v4
	v_cndmask_b32_e64 v4, v5, v7, s[0:1]
	v_lshlrev_b32_e32 v4, 2, v4
	ds_bpermute_b32 v7, v4, v1
	v_cmp_eq_u32_e64 s[0:1], 0, v10
	s_waitcnt lgkmcnt(0)
	v_add_f32_e32 v1, v1, v7
	v_xor_b32_e32 v7, 1, v5
	v_cmp_lt_i32_e64 s[4:5], v7, v6
	s_nop 1
	v_cndmask_b32_e64 v5, v5, v7, s[4:5]
	v_lshlrev_b32_e32 v5, 2, v5
	ds_bpermute_b32 v6, v5, v1
	s_and_b64 s[4:5], s[0:1], s[6:7]
	s_lshl_b64 s[0:1], s[2:3], 7
	s_add_u32 s2, s12, s0
	s_addc_u32 s3, s13, s1
	s_waitcnt lgkmcnt(0)
	v_add_f32_e32 v6, v1, v6
	s_and_saveexec_b64 s[0:1], s[4:5]
	s_cbranch_execz .LBB169_16
; %bb.15:
	v_cvt_f16_f32_e32 v7, v6
	v_mov_b32_e32 v1, 0
	v_lshl_add_u64 v[8:9], v[0:1], 1, s[2:3]
	global_store_short v[8:9], v7, off
.LBB169_16:
	s_or_b64 exec, exec, s[0:1]
	v_cmp_gt_u32_e64 s[0:1], 56, v0
	s_and_b64 exec, exec, s[0:1]
	s_cbranch_execz .LBB169_51
; %bb.17:
	s_and_saveexec_b64 s[0:1], vcc
; %bb.18:
	v_lshlrev_b32_e32 v1, 2, v0
	v_lshlrev_b32_e32 v6, 2, v2
	v_add3_u32 v1, 0, v1, v6
	ds_read_b32 v6, v1 offset:32
; %bb.19:
	s_or_b64 exec, exec, s[0:1]
	s_waitcnt lgkmcnt(0)
	ds_bpermute_b32 v1, v3, v6
	s_waitcnt lgkmcnt(0)
	v_add_f32_e32 v1, v6, v1
	ds_bpermute_b32 v6, v4, v1
	s_waitcnt lgkmcnt(0)
	v_add_f32_e32 v1, v1, v6
	ds_bpermute_b32 v6, v5, v1
	s_waitcnt lgkmcnt(0)
	v_add_f32_e32 v6, v1, v6
	s_and_saveexec_b64 s[0:1], s[4:5]
	s_cbranch_execz .LBB169_21
; %bb.20:
	v_cvt_f16_f32_e32 v7, v6
	v_mov_b32_e32 v1, 0
	v_lshl_add_u64 v[8:9], v[0:1], 1, s[2:3]
	global_store_short v[8:9], v7, off offset:16
.LBB169_21:
	s_or_b64 exec, exec, s[0:1]
	v_cmp_gt_u32_e64 s[0:1], 48, v0
	s_and_b64 exec, exec, s[0:1]
	s_cbranch_execz .LBB169_51
; %bb.22:
	s_and_saveexec_b64 s[0:1], vcc
; %bb.23:
	v_lshlrev_b32_e32 v1, 2, v0
	v_lshlrev_b32_e32 v6, 2, v2
	v_add3_u32 v1, 0, v1, v6
	ds_read_b32 v6, v1 offset:64
; %bb.24:
	s_or_b64 exec, exec, s[0:1]
	s_waitcnt lgkmcnt(0)
	ds_bpermute_b32 v1, v3, v6
	s_waitcnt lgkmcnt(0)
	v_add_f32_e32 v1, v6, v1
	ds_bpermute_b32 v6, v4, v1
	s_waitcnt lgkmcnt(0)
	v_add_f32_e32 v1, v1, v6
	ds_bpermute_b32 v6, v5, v1
	s_waitcnt lgkmcnt(0)
	v_add_f32_e32 v6, v1, v6
	s_and_saveexec_b64 s[0:1], s[4:5]
	s_cbranch_execz .LBB169_26
; %bb.25:
	v_cvt_f16_f32_e32 v7, v6
	v_mov_b32_e32 v1, 0
	v_lshl_add_u64 v[8:9], v[0:1], 1, s[2:3]
	global_store_short v[8:9], v7, off offset:32
.LBB169_26:
	;; [unrolled: 31-line block ×6, first 2 shown]
	s_or_b64 exec, exec, s[0:1]
	v_cmp_gt_u32_e64 s[0:1], 8, v0
	s_and_b64 exec, exec, s[0:1]
	s_cbranch_execz .LBB169_51
; %bb.47:
	s_and_saveexec_b64 s[0:1], vcc
; %bb.48:
	v_lshlrev_b32_e32 v1, 2, v0
	v_lshlrev_b32_e32 v2, 2, v2
	v_add3_u32 v1, 0, v1, v2
	ds_read_b32 v6, v1 offset:224
; %bb.49:
	s_or_b64 exec, exec, s[0:1]
	s_waitcnt lgkmcnt(0)
	ds_bpermute_b32 v1, v3, v6
	s_waitcnt lgkmcnt(0)
	v_add_f32_e32 v1, v6, v1
	ds_bpermute_b32 v2, v4, v1
	s_waitcnt lgkmcnt(0)
	v_add_f32_e32 v1, v1, v2
	ds_bpermute_b32 v2, v5, v1
	s_and_saveexec_b64 s[0:1], s[4:5]
	s_xor_b64 s[0:1], exec, s[0:1]
	s_cbranch_execz .LBB169_51
; %bb.50:
	s_waitcnt lgkmcnt(0)
	v_add_f32_e32 v1, v1, v2
	v_cvt_f16_f32_e32 v2, v1
	v_mov_b32_e32 v1, 0
	v_lshl_add_u64 v[0:1], v[0:1], 1, s[2:3]
	global_store_short v[0:1], v2, off offset:112
.LBB169_51:
	s_endpgm
	.section	.rodata,"a",@progbits
	.p2align	6, 0x0
	.amdhsa_kernel _ZN2at6native12_GLOBAL__N_135GammaBetaBackwardCUDAKernelTemplateIN3c104HalfEfLj64ELj8ELj64ELb0ELb1ELb1EEEvllPKT_S7_PKT0_SA_PS5_SB_
		.amdhsa_group_segment_fixed_size 0
		.amdhsa_private_segment_fixed_size 0
		.amdhsa_kernarg_size 320
		.amdhsa_user_sgpr_count 2
		.amdhsa_user_sgpr_dispatch_ptr 0
		.amdhsa_user_sgpr_queue_ptr 0
		.amdhsa_user_sgpr_kernarg_segment_ptr 1
		.amdhsa_user_sgpr_dispatch_id 0
		.amdhsa_user_sgpr_kernarg_preload_length 0
		.amdhsa_user_sgpr_kernarg_preload_offset 0
		.amdhsa_user_sgpr_private_segment_size 0
		.amdhsa_uses_dynamic_stack 0
		.amdhsa_enable_private_segment 0
		.amdhsa_system_sgpr_workgroup_id_x 1
		.amdhsa_system_sgpr_workgroup_id_y 1
		.amdhsa_system_sgpr_workgroup_id_z 0
		.amdhsa_system_sgpr_workgroup_info 0
		.amdhsa_system_vgpr_workitem_id 1
		.amdhsa_next_free_vgpr 47
		.amdhsa_next_free_sgpr 26
		.amdhsa_accum_offset 48
		.amdhsa_reserve_vcc 1
		.amdhsa_float_round_mode_32 0
		.amdhsa_float_round_mode_16_64 0
		.amdhsa_float_denorm_mode_32 3
		.amdhsa_float_denorm_mode_16_64 3
		.amdhsa_dx10_clamp 1
		.amdhsa_ieee_mode 1
		.amdhsa_fp16_overflow 0
		.amdhsa_tg_split 0
		.amdhsa_exception_fp_ieee_invalid_op 0
		.amdhsa_exception_fp_denorm_src 0
		.amdhsa_exception_fp_ieee_div_zero 0
		.amdhsa_exception_fp_ieee_overflow 0
		.amdhsa_exception_fp_ieee_underflow 0
		.amdhsa_exception_fp_ieee_inexact 0
		.amdhsa_exception_int_div_zero 0
	.end_amdhsa_kernel
	.section	.text._ZN2at6native12_GLOBAL__N_135GammaBetaBackwardCUDAKernelTemplateIN3c104HalfEfLj64ELj8ELj64ELb0ELb1ELb1EEEvllPKT_S7_PKT0_SA_PS5_SB_,"axG",@progbits,_ZN2at6native12_GLOBAL__N_135GammaBetaBackwardCUDAKernelTemplateIN3c104HalfEfLj64ELj8ELj64ELb0ELb1ELb1EEEvllPKT_S7_PKT0_SA_PS5_SB_,comdat
.Lfunc_end169:
	.size	_ZN2at6native12_GLOBAL__N_135GammaBetaBackwardCUDAKernelTemplateIN3c104HalfEfLj64ELj8ELj64ELb0ELb1ELb1EEEvllPKT_S7_PKT0_SA_PS5_SB_, .Lfunc_end169-_ZN2at6native12_GLOBAL__N_135GammaBetaBackwardCUDAKernelTemplateIN3c104HalfEfLj64ELj8ELj64ELb0ELb1ELb1EEEvllPKT_S7_PKT0_SA_PS5_SB_
                                        ; -- End function
	.set _ZN2at6native12_GLOBAL__N_135GammaBetaBackwardCUDAKernelTemplateIN3c104HalfEfLj64ELj8ELj64ELb0ELb1ELb1EEEvllPKT_S7_PKT0_SA_PS5_SB_.num_vgpr, 47
	.set _ZN2at6native12_GLOBAL__N_135GammaBetaBackwardCUDAKernelTemplateIN3c104HalfEfLj64ELj8ELj64ELb0ELb1ELb1EEEvllPKT_S7_PKT0_SA_PS5_SB_.num_agpr, 0
	.set _ZN2at6native12_GLOBAL__N_135GammaBetaBackwardCUDAKernelTemplateIN3c104HalfEfLj64ELj8ELj64ELb0ELb1ELb1EEEvllPKT_S7_PKT0_SA_PS5_SB_.numbered_sgpr, 26
	.set _ZN2at6native12_GLOBAL__N_135GammaBetaBackwardCUDAKernelTemplateIN3c104HalfEfLj64ELj8ELj64ELb0ELb1ELb1EEEvllPKT_S7_PKT0_SA_PS5_SB_.num_named_barrier, 0
	.set _ZN2at6native12_GLOBAL__N_135GammaBetaBackwardCUDAKernelTemplateIN3c104HalfEfLj64ELj8ELj64ELb0ELb1ELb1EEEvllPKT_S7_PKT0_SA_PS5_SB_.private_seg_size, 0
	.set _ZN2at6native12_GLOBAL__N_135GammaBetaBackwardCUDAKernelTemplateIN3c104HalfEfLj64ELj8ELj64ELb0ELb1ELb1EEEvllPKT_S7_PKT0_SA_PS5_SB_.uses_vcc, 1
	.set _ZN2at6native12_GLOBAL__N_135GammaBetaBackwardCUDAKernelTemplateIN3c104HalfEfLj64ELj8ELj64ELb0ELb1ELb1EEEvllPKT_S7_PKT0_SA_PS5_SB_.uses_flat_scratch, 0
	.set _ZN2at6native12_GLOBAL__N_135GammaBetaBackwardCUDAKernelTemplateIN3c104HalfEfLj64ELj8ELj64ELb0ELb1ELb1EEEvllPKT_S7_PKT0_SA_PS5_SB_.has_dyn_sized_stack, 0
	.set _ZN2at6native12_GLOBAL__N_135GammaBetaBackwardCUDAKernelTemplateIN3c104HalfEfLj64ELj8ELj64ELb0ELb1ELb1EEEvllPKT_S7_PKT0_SA_PS5_SB_.has_recursion, 0
	.set _ZN2at6native12_GLOBAL__N_135GammaBetaBackwardCUDAKernelTemplateIN3c104HalfEfLj64ELj8ELj64ELb0ELb1ELb1EEEvllPKT_S7_PKT0_SA_PS5_SB_.has_indirect_call, 0
	.section	.AMDGPU.csdata,"",@progbits
; Kernel info:
; codeLenInByte = 2300
; TotalNumSgprs: 32
; NumVgprs: 47
; NumAgprs: 0
; TotalNumVgprs: 47
; ScratchSize: 0
; MemoryBound: 0
; FloatMode: 240
; IeeeMode: 1
; LDSByteSize: 0 bytes/workgroup (compile time only)
; SGPRBlocks: 3
; VGPRBlocks: 5
; NumSGPRsForWavesPerEU: 32
; NumVGPRsForWavesPerEU: 47
; AccumOffset: 48
; Occupancy: 8
; WaveLimiterHint : 0
; COMPUTE_PGM_RSRC2:SCRATCH_EN: 0
; COMPUTE_PGM_RSRC2:USER_SGPR: 2
; COMPUTE_PGM_RSRC2:TRAP_HANDLER: 0
; COMPUTE_PGM_RSRC2:TGID_X_EN: 1
; COMPUTE_PGM_RSRC2:TGID_Y_EN: 1
; COMPUTE_PGM_RSRC2:TGID_Z_EN: 0
; COMPUTE_PGM_RSRC2:TIDIG_COMP_CNT: 1
; COMPUTE_PGM_RSRC3_GFX90A:ACCUM_OFFSET: 11
; COMPUTE_PGM_RSRC3_GFX90A:TG_SPLIT: 0
	.section	.text._ZN2at6native12_GLOBAL__N_135GammaBetaBackwardCUDAKernelTemplateIN3c104HalfEfLj64ELj8ELj64ELb0ELb0ELb1EEEvllPKT_S7_PKT0_SA_PS5_SB_,"axG",@progbits,_ZN2at6native12_GLOBAL__N_135GammaBetaBackwardCUDAKernelTemplateIN3c104HalfEfLj64ELj8ELj64ELb0ELb0ELb1EEEvllPKT_S7_PKT0_SA_PS5_SB_,comdat
	.globl	_ZN2at6native12_GLOBAL__N_135GammaBetaBackwardCUDAKernelTemplateIN3c104HalfEfLj64ELj8ELj64ELb0ELb0ELb1EEEvllPKT_S7_PKT0_SA_PS5_SB_ ; -- Begin function _ZN2at6native12_GLOBAL__N_135GammaBetaBackwardCUDAKernelTemplateIN3c104HalfEfLj64ELj8ELj64ELb0ELb0ELb1EEEvllPKT_S7_PKT0_SA_PS5_SB_
	.p2align	8
	.type	_ZN2at6native12_GLOBAL__N_135GammaBetaBackwardCUDAKernelTemplateIN3c104HalfEfLj64ELj8ELj64ELb0ELb0ELb1EEEvllPKT_S7_PKT0_SA_PS5_SB_,@function
_ZN2at6native12_GLOBAL__N_135GammaBetaBackwardCUDAKernelTemplateIN3c104HalfEfLj64ELj8ELj64ELb0ELb0ELb1EEEvllPKT_S7_PKT0_SA_PS5_SB_: ; @_ZN2at6native12_GLOBAL__N_135GammaBetaBackwardCUDAKernelTemplateIN3c104HalfEfLj64ELj8ELj64ELb0ELb0ELb1EEEvllPKT_S7_PKT0_SA_PS5_SB_
; %bb.0:
	s_load_dwordx8 s[8:15], s[0:1], 0x0
	s_load_dwordx2 s[16:17], s[0:1], 0x28
	s_lshl_b32 s33, s2, 6
	s_mov_b32 s19, 0
	s_lshl_b32 s18, s3, 6
	s_or_b32 s4, s33, 63
	v_mov_b64_e32 v[4:5], s[18:19]
	v_mov_b32_e32 v2, s4
	v_mov_b32_e32 v3, 0
	s_waitcnt lgkmcnt(0)
	v_cmp_gt_i64_e64 s[4:5], s[8:9], v[4:5]
	v_cmp_le_i64_e32 vcc, s[10:11], v[2:3]
	s_nop 0
	v_cndmask_b32_e64 v1, 0, 1, s[4:5]
	v_cmp_ne_u32_e64 s[4:5], 1, v1
	s_cbranch_vccz .LBB170_49
; %bb.1:
	s_and_b64 vcc, exec, s[4:5]
	s_cbranch_vccnz .LBB170_50
; %bb.2:
	v_and_b32_e32 v1, 0x3ff, v0
	v_mov_b32_e32 v2, 0
	v_bfe_u32 v58, v0, 10, 10
	v_add_u32_e32 v4, s33, v1
	v_mov_b32_e32 v5, v2
	v_lshlrev_b32_e32 v20, 3, v58
	v_mov_b32_e32 v21, v2
	v_cmp_gt_i64_e64 s[6:7], s[10:11], v[4:5]
	v_lshlrev_b64 v[22:23], 1, v[4:5]
	v_lshl_add_u64 v[4:5], v[20:21], 0, s[18:19]
	v_mul_lo_u32 v3, s11, v4
	v_mul_lo_u32 v8, s10, v5
	v_mad_u64_u32 v[6:7], s[22:23], s10, v4, 0
	v_add3_u32 v7, v7, v8, v3
	v_lshlrev_b64 v[6:7], 1, v[6:7]
	v_lshl_add_u64 v[24:25], s[12:13], 0, v[6:7]
	v_lshl_add_u64 v[26:27], s[14:15], 0, v[6:7]
	v_lshl_add_u64 v[6:7], v[4:5], 0, 7
	v_mul_lo_u32 v9, s11, v6
	v_mul_lo_u32 v10, s10, v7
	v_mad_u64_u32 v[6:7], s[24:25], s10, v6, 0
	v_add3_u32 v7, v7, v10, v9
	v_lshlrev_b64 v[6:7], 1, v[6:7]
	v_lshl_add_u64 v[28:29], s[12:13], 0, v[6:7]
	v_lshl_add_u64 v[30:31], s[14:15], 0, v[6:7]
	;; [unrolled: 8-line block ×5, first 2 shown]
	v_lshl_add_u64 v[6:7], v[4:5], 0, 3
	v_mul_lo_u32 v9, s11, v6
	v_mul_lo_u32 v10, s10, v7
	v_mad_u64_u32 v[6:7], s[24:25], s10, v6, 0
	v_add3_u32 v7, v7, v10, v9
	s_load_dword s3, s[0:1], 0x44
	v_lshlrev_b64 v[6:7], 1, v[6:7]
	v_lshl_add_u64 v[44:45], s[12:13], 0, v[6:7]
	v_lshl_add_u64 v[46:47], s[14:15], 0, v[6:7]
	;; [unrolled: 1-line block ×3, first 2 shown]
	v_mul_lo_u32 v5, s11, v6
	v_mul_lo_u32 v9, s10, v7
	v_mad_u64_u32 v[6:7], s[24:25], s10, v6, 0
	v_add3_u32 v7, v7, v9, v5
	s_add_u32 s20, s0, 64
	v_lshlrev_b64 v[6:7], 1, v[6:7]
	s_addc_u32 s21, s1, 0
	s_waitcnt lgkmcnt(0)
	s_lshl_b32 s3, s3, 6
	v_lshl_add_u64 v[48:49], s[12:13], 0, v[6:7]
	v_lshl_add_u64 v[50:51], s[14:15], 0, v[6:7]
	v_mov_b64_e32 v[6:7], s[10:11]
	s_mul_i32 s22, s11, s3
	s_mul_hi_u32 s23, s10, s3
	v_mad_u64_u32 v[4:5], s[24:25], s10, v4, v[6:7]
	s_add_i32 s23, s23, s22
	s_mul_i32 s22, s10, s3
	v_add3_u32 v5, v3, v5, v8
	v_mbcnt_lo_u32_b32 v3, -1, 0
	s_lshl_b64 s[22:23], s[22:23], 1
	v_mbcnt_hi_u32_b32 v3, -1, v3
	v_lshlrev_b64 v[4:5], 1, v[4:5]
	s_add_u32 s24, s18, 63
	s_movk_i32 s26, 0xffc1
	s_movk_i32 s28, 0xffc2
	s_movk_i32 s30, 0xffc3
	s_movk_i32 s34, 0xffc4
	s_movk_i32 s36, 0xffc5
	s_movk_i32 s38, 0xffc6
	s_movk_i32 s40, 0xffc7
	s_movk_i32 s42, 0xffc8
	v_lshlrev_b32_e32 v3, 2, v3
	v_lshl_add_u64 v[52:53], s[12:13], 0, v[4:5]
	v_lshl_add_u64 v[54:55], s[14:15], 0, v[4:5]
	s_addc_u32 s25, 0, 0
	s_mov_b32 s27, -1
	s_mov_b32 s29, -1
	s_mov_b32 s31, -1
	s_mov_b32 s35, -1
	s_mov_b32 s37, -1
	s_mov_b32 s39, -1
	s_mov_b32 s41, -1
	s_mov_b32 s43, -1
	v_and_b32_e32 v59, 0x100, v3
	s_mov_b64 s[44:45], s[18:19]
	v_mov_b32_e32 v60, 0
.LBB170_3:                              ; =>This Inner Loop Header: Depth=1
	v_mov_b64_e32 v[4:5], s[8:9]
	v_cmp_ge_i64_e32 vcc, s[24:25], v[4:5]
	v_lshl_add_u64 v[56:57], v[20:21], 0, s[24:25]
	s_mov_b64 s[46:47], -1
	s_and_b64 vcc, exec, vcc
                                        ; implicit-def: $vgpr4_vgpr5_vgpr6_vgpr7_vgpr8_vgpr9_vgpr10_vgpr11
                                        ; implicit-def: $vgpr3
                                        ; implicit-def: $vgpr12_vgpr13_vgpr14_vgpr15_vgpr16_vgpr17_vgpr18_vgpr19
                                        ; implicit-def: $vgpr4
	s_cbranch_vccz .LBB170_25
; %bb.4:                                ;   in Loop: Header=BB170_3 Depth=1
	s_load_dword s46, s[20:21], 0xc
	v_mov_b32_e32 v61, 0
	s_waitcnt lgkmcnt(0)
	s_and_b32 s46, s46, 0xffff
	v_mad_u32_u24 v3, v58, s46, v1
	v_and_b32_e32 v4, 63, v3
	v_cmp_gt_u32_e32 vcc, 8, v4
	s_and_saveexec_b64 s[46:47], vcc
	s_cbranch_execz .LBB170_8
; %bb.5:                                ;   in Loop: Header=BB170_3 Depth=1
	v_mov_b32_e32 v5, v2
	v_lshl_add_u64 v[4:5], v[56:57], 0, v[4:5]
	v_lshl_add_u64 v[4:5], v[4:5], 0, s[26:27]
	v_cmp_gt_i64_e32 vcc, s[8:9], v[4:5]
	v_mov_b32_e32 v61, 0
	s_and_saveexec_b64 s[48:49], vcc
	s_cbranch_execz .LBB170_7
; %bb.6:                                ;   in Loop: Header=BB170_3 Depth=1
	v_lshl_add_u64 v[4:5], v[4:5], 2, s[16:17]
	global_load_dword v61, v[4:5], off
.LBB170_7:                              ;   in Loop: Header=BB170_3 Depth=1
	s_or_b64 exec, exec, s[48:49]
.LBB170_8:                              ;   in Loop: Header=BB170_3 Depth=1
	s_or_b64 exec, exec, s[46:47]
	v_lshl_add_u64 v[4:5], v[56:57], 0, s[26:27]
	v_mov_b32_e32 v8, v2
	v_mov_b32_e32 v9, v2
	v_cmp_gt_i64_e32 vcc, s[8:9], v[4:5]
	v_mov_b32_e32 v3, v2
	v_mov_b32_e32 v4, v2
	;; [unrolled: 1-line block ×5, first 2 shown]
	v_mov_b64_e32 v[18:19], v[8:9]
	v_mov_b64_e32 v[16:17], v[6:7]
	;; [unrolled: 1-line block ×5, first 2 shown]
	s_and_b64 s[48:49], s[6:7], vcc
	v_mov_b64_e32 v[8:9], v[6:7]
	v_mov_b64_e32 v[6:7], v[4:5]
	;; [unrolled: 1-line block ×3, first 2 shown]
	s_and_saveexec_b64 s[46:47], s[48:49]
	s_cbranch_execz .LBB170_10
; %bb.9:                                ;   in Loop: Header=BB170_3 Depth=1
	v_lshl_add_u64 v[4:5], v[24:25], 0, v[22:23]
	global_load_ushort v3, v[4:5], off
	v_lshl_add_u64 v[4:5], v[26:27], 0, v[22:23]
	global_load_ushort v12, v[4:5], off
	v_mov_b32_e32 v5, v2
	v_mov_b32_e32 v6, v2
	;; [unrolled: 1-line block ×14, first 2 shown]
	s_waitcnt vmcnt(1)
	v_cvt_f32_f16_e32 v4, v3
	s_waitcnt vmcnt(0)
	v_cvt_f32_f16_e32 v12, v12
.LBB170_10:                             ;   in Loop: Header=BB170_3 Depth=1
	s_or_b64 exec, exec, s[46:47]
	v_lshl_add_u64 v[62:63], v[56:57], 0, s[28:29]
	v_cmp_gt_i64_e32 vcc, s[8:9], v[62:63]
	s_and_b64 s[48:49], s[6:7], vcc
	s_and_saveexec_b64 s[46:47], s[48:49]
	s_cbranch_execz .LBB170_12
; %bb.11:                               ;   in Loop: Header=BB170_3 Depth=1
	v_lshl_add_u64 v[62:63], v[52:53], 0, v[22:23]
	global_load_ushort v3, v[62:63], off
	v_lshl_add_u64 v[62:63], v[54:55], 0, v[22:23]
	global_load_ushort v13, v[62:63], off
	s_waitcnt vmcnt(1)
	v_cvt_f32_f16_e32 v5, v3
	s_waitcnt vmcnt(0)
	v_cvt_f32_f16_e32 v13, v13
.LBB170_12:                             ;   in Loop: Header=BB170_3 Depth=1
	s_or_b64 exec, exec, s[46:47]
	v_lshl_add_u64 v[62:63], v[56:57], 0, s[30:31]
	v_cmp_gt_i64_e32 vcc, s[8:9], v[62:63]
	s_and_b64 s[48:49], s[6:7], vcc
	s_and_saveexec_b64 s[46:47], s[48:49]
	s_cbranch_execz .LBB170_14
; %bb.13:                               ;   in Loop: Header=BB170_3 Depth=1
	v_lshl_add_u64 v[62:63], v[48:49], 0, v[22:23]
	global_load_ushort v3, v[62:63], off
	v_lshl_add_u64 v[62:63], v[50:51], 0, v[22:23]
	global_load_ushort v14, v[62:63], off
	s_waitcnt vmcnt(1)
	v_cvt_f32_f16_e32 v6, v3
	s_waitcnt vmcnt(0)
	v_cvt_f32_f16_e32 v14, v14
.LBB170_14:                             ;   in Loop: Header=BB170_3 Depth=1
	;; [unrolled: 16-line block ×7, first 2 shown]
	s_or_b64 exec, exec, s[46:47]
	s_waitcnt vmcnt(0)
	ds_bpermute_b32 v3, v59, v61
	ds_bpermute_b32 v62, v59, v61 offset:4
	ds_bpermute_b32 v63, v59, v61 offset:8
	v_mul_f32_e32 v4, v12, v4
	v_pk_mul_f32 v[8:9], v[16:17], v[8:9]
	s_waitcnt lgkmcnt(2)
	v_fma_f32 v16, v4, v3, v60
	v_pk_mul_f32 v[6:7], v[14:15], v[6:7]
	v_mul_f32_e32 v3, v13, v5
	ds_bpermute_b32 v14, v59, v61 offset:12
	ds_bpermute_b32 v15, v59, v61 offset:16
	v_pk_mov_b32 v[12:13], v[2:3], v[6:7] op_sel:[1,0]
	v_pk_mov_b32 v[6:7], v[6:7], v[8:9] op_sel:[1,0]
	s_waitcnt lgkmcnt(2)
	v_pk_mul_f32 v[12:13], v[12:13], v[62:63]
	v_mul_f32_e32 v4, v18, v10
	v_add_f32_e32 v3, v16, v12
	v_add_f32_e32 v3, v3, v13
	ds_bpermute_b32 v12, v59, v61 offset:20
	ds_bpermute_b32 v13, v59, v61 offset:24
	s_waitcnt lgkmcnt(2)
	v_pk_mul_f32 v[6:7], v[6:7], v[14:15]
	s_mov_b64 s[46:47], 0
	v_add_f32_e32 v3, v3, v6
	v_add_f32_e32 v3, v3, v7
	v_pk_mov_b32 v[6:7], v[8:9], v[4:5] op_sel:[1,0]
	ds_bpermute_b32 v4, v59, v61 offset:28
	s_waitcnt lgkmcnt(1)
	v_pk_mul_f32 v[6:7], v[6:7], v[12:13]
	s_nop 0
	v_add_f32_e32 v3, v3, v6
	v_add_f32_e32 v3, v3, v7
.LBB170_25:                             ;   in Loop: Header=BB170_3 Depth=1
	s_and_b64 vcc, exec, s[46:47]
	s_cbranch_vccz .LBB170_40
; %bb.26:                               ;   in Loop: Header=BB170_3 Depth=1
	s_load_dword s46, s[20:21], 0x0
	v_mov_b32_e32 v61, 0
	s_waitcnt lgkmcnt(0)
	s_cmp_lt_u32 s2, s46
	s_cselect_b32 s46, 12, 18
	s_add_u32 s46, s20, s46
	s_addc_u32 s47, s21, 0
	global_load_ushort v3, v2, s[46:47]
	s_waitcnt vmcnt(0)
	v_mad_u32_u24 v3, v58, v3, v1
	v_and_b32_e32 v4, 63, v3
	v_cmp_gt_u32_e32 vcc, 8, v4
	s_and_saveexec_b64 s[46:47], vcc
	s_cbranch_execz .LBB170_30
; %bb.27:                               ;   in Loop: Header=BB170_3 Depth=1
	v_mov_b32_e32 v5, v2
	v_lshl_add_u64 v[4:5], v[56:57], 0, v[4:5]
	v_lshl_add_u64 v[4:5], v[4:5], 0, s[26:27]
	v_cmp_gt_i64_e32 vcc, s[8:9], v[4:5]
	v_mov_b32_e32 v61, 0
	s_and_saveexec_b64 s[48:49], vcc
	s_cbranch_execz .LBB170_29
; %bb.28:                               ;   in Loop: Header=BB170_3 Depth=1
	v_lshl_add_u64 v[4:5], v[4:5], 2, s[16:17]
	global_load_dword v61, v[4:5], off
.LBB170_29:                             ;   in Loop: Header=BB170_3 Depth=1
	s_or_b64 exec, exec, s[48:49]
.LBB170_30:                             ;   in Loop: Header=BB170_3 Depth=1
	s_or_b64 exec, exec, s[46:47]
	v_mov_b32_e32 v8, v2
	v_mov_b32_e32 v9, v2
	;; [unrolled: 1-line block ×7, first 2 shown]
	v_mov_b64_e32 v[18:19], v[8:9]
	v_mov_b64_e32 v[16:17], v[6:7]
	;; [unrolled: 1-line block ×8, first 2 shown]
	s_and_saveexec_b64 s[46:47], s[6:7]
	s_cbranch_execnz .LBB170_42
; %bb.31:                               ;   in Loop: Header=BB170_3 Depth=1
	s_or_b64 exec, exec, s[46:47]
	s_and_saveexec_b64 s[46:47], s[6:7]
	s_cbranch_execnz .LBB170_43
.LBB170_32:                             ;   in Loop: Header=BB170_3 Depth=1
	s_or_b64 exec, exec, s[46:47]
	s_and_saveexec_b64 s[46:47], s[6:7]
	s_cbranch_execnz .LBB170_44
.LBB170_33:                             ;   in Loop: Header=BB170_3 Depth=1
	s_or_b64 exec, exec, s[46:47]
	s_and_saveexec_b64 s[46:47], s[6:7]
	s_cbranch_execnz .LBB170_45
.LBB170_34:                             ;   in Loop: Header=BB170_3 Depth=1
	s_or_b64 exec, exec, s[46:47]
	s_and_saveexec_b64 s[46:47], s[6:7]
	s_cbranch_execnz .LBB170_46
.LBB170_35:                             ;   in Loop: Header=BB170_3 Depth=1
	s_or_b64 exec, exec, s[46:47]
	s_and_saveexec_b64 s[46:47], s[6:7]
	s_cbranch_execnz .LBB170_47
.LBB170_36:                             ;   in Loop: Header=BB170_3 Depth=1
	s_or_b64 exec, exec, s[46:47]
	s_and_saveexec_b64 s[46:47], s[6:7]
	s_cbranch_execnz .LBB170_48
.LBB170_37:                             ;   in Loop: Header=BB170_3 Depth=1
	s_or_b64 exec, exec, s[46:47]
	s_and_saveexec_b64 s[46:47], s[6:7]
	s_cbranch_execz .LBB170_39
.LBB170_38:                             ;   in Loop: Header=BB170_3 Depth=1
	v_lshl_add_u64 v[56:57], v[28:29], 0, v[22:23]
	global_load_ushort v3, v[56:57], off
	v_lshl_add_u64 v[56:57], v[30:31], 0, v[22:23]
	global_load_ushort v19, v[56:57], off
	s_waitcnt vmcnt(1)
	v_cvt_f32_f16_e32 v11, v3
	s_waitcnt vmcnt(0)
	v_cvt_f32_f16_e32 v19, v19
.LBB170_39:                             ;   in Loop: Header=BB170_3 Depth=1
	s_or_b64 exec, exec, s[46:47]
	s_waitcnt vmcnt(0)
	ds_bpermute_b32 v3, v59, v61
	ds_bpermute_b32 v56, v59, v61 offset:4
	ds_bpermute_b32 v57, v59, v61 offset:8
	v_mul_f32_e32 v4, v12, v4
	v_pk_mul_f32 v[6:7], v[14:15], v[6:7]
	s_waitcnt lgkmcnt(2)
	v_fmac_f32_e32 v60, v4, v3
	v_mul_f32_e32 v3, v13, v5
	v_pk_mov_b32 v[4:5], v[2:3], v[6:7] op_sel:[1,0]
	ds_bpermute_b32 v12, v59, v61 offset:12
	ds_bpermute_b32 v13, v59, v61 offset:16
	s_waitcnt lgkmcnt(2)
	v_pk_mul_f32 v[4:5], v[4:5], v[56:57]
	v_pk_mul_f32 v[8:9], v[16:17], v[8:9]
	v_add_f32_e32 v3, v60, v4
	v_add_f32_e32 v3, v3, v5
	v_pk_mov_b32 v[4:5], v[6:7], v[8:9] op_sel:[1,0]
	ds_bpermute_b32 v6, v59, v61 offset:20
	ds_bpermute_b32 v7, v59, v61 offset:24
	s_waitcnt lgkmcnt(2)
	v_pk_mul_f32 v[4:5], v[4:5], v[12:13]
	v_mul_f32_e32 v10, v18, v10
	v_add_f32_e32 v3, v3, v4
	ds_bpermute_b32 v4, v59, v61 offset:28
	v_pk_mov_b32 v[8:9], v[8:9], v[10:11] op_sel:[1,0]
	v_add_f32_e32 v3, v3, v5
	s_waitcnt lgkmcnt(1)
	v_pk_mul_f32 v[6:7], v[8:9], v[6:7]
	s_nop 0
	v_add_f32_e32 v3, v3, v6
	v_add_f32_e32 v3, v3, v7
.LBB170_40:                             ;   in Loop: Header=BB170_3 Depth=1
	v_mul_f32_e32 v5, v11, v19
	s_add_u32 s44, s44, s3
	s_waitcnt lgkmcnt(0)
	v_fmac_f32_e32 v3, v5, v4
	s_addc_u32 s45, s45, 0
	v_mov_b64_e32 v[4:5], s[8:9]
	s_add_u32 s24, s24, s3
	v_cmp_lt_i64_e32 vcc, s[44:45], v[4:5]
	v_lshl_add_u64 v[24:25], v[24:25], 0, s[22:23]
	v_lshl_add_u64 v[26:27], v[26:27], 0, s[22:23]
	;; [unrolled: 1-line block ×16, first 2 shown]
	s_addc_u32 s25, s25, 0
	s_cbranch_vccz .LBB170_50
; %bb.41:                               ;   in Loop: Header=BB170_3 Depth=1
	v_mov_b32_e32 v60, v3
	s_branch .LBB170_3
.LBB170_42:                             ;   in Loop: Header=BB170_3 Depth=1
	v_lshl_add_u64 v[4:5], v[24:25], 0, v[22:23]
	global_load_ushort v3, v[4:5], off
	v_lshl_add_u64 v[4:5], v[26:27], 0, v[22:23]
	global_load_ushort v12, v[4:5], off
	v_mov_b32_e32 v5, v2
	v_mov_b32_e32 v6, v2
	;; [unrolled: 1-line block ×14, first 2 shown]
	s_waitcnt vmcnt(1)
	v_cvt_f32_f16_e32 v4, v3
	s_waitcnt vmcnt(0)
	v_cvt_f32_f16_e32 v12, v12
	s_or_b64 exec, exec, s[46:47]
	s_and_saveexec_b64 s[46:47], s[6:7]
	s_cbranch_execz .LBB170_32
.LBB170_43:                             ;   in Loop: Header=BB170_3 Depth=1
	v_lshl_add_u64 v[56:57], v[52:53], 0, v[22:23]
	global_load_ushort v3, v[56:57], off
	v_lshl_add_u64 v[56:57], v[54:55], 0, v[22:23]
	global_load_ushort v13, v[56:57], off
	s_waitcnt vmcnt(1)
	v_cvt_f32_f16_e32 v5, v3
	s_waitcnt vmcnt(0)
	v_cvt_f32_f16_e32 v13, v13
	s_or_b64 exec, exec, s[46:47]
	s_and_saveexec_b64 s[46:47], s[6:7]
	s_cbranch_execz .LBB170_33
.LBB170_44:                             ;   in Loop: Header=BB170_3 Depth=1
	v_lshl_add_u64 v[56:57], v[48:49], 0, v[22:23]
	global_load_ushort v3, v[56:57], off
	v_lshl_add_u64 v[56:57], v[50:51], 0, v[22:23]
	global_load_ushort v14, v[56:57], off
	s_waitcnt vmcnt(1)
	v_cvt_f32_f16_e32 v6, v3
	s_waitcnt vmcnt(0)
	v_cvt_f32_f16_e32 v14, v14
	s_or_b64 exec, exec, s[46:47]
	s_and_saveexec_b64 s[46:47], s[6:7]
	s_cbranch_execz .LBB170_34
.LBB170_45:                             ;   in Loop: Header=BB170_3 Depth=1
	v_lshl_add_u64 v[56:57], v[44:45], 0, v[22:23]
	global_load_ushort v3, v[56:57], off
	v_lshl_add_u64 v[56:57], v[46:47], 0, v[22:23]
	global_load_ushort v15, v[56:57], off
	s_waitcnt vmcnt(1)
	v_cvt_f32_f16_e32 v7, v3
	s_waitcnt vmcnt(0)
	v_cvt_f32_f16_e32 v15, v15
	s_or_b64 exec, exec, s[46:47]
	s_and_saveexec_b64 s[46:47], s[6:7]
	s_cbranch_execz .LBB170_35
.LBB170_46:                             ;   in Loop: Header=BB170_3 Depth=1
	v_lshl_add_u64 v[56:57], v[40:41], 0, v[22:23]
	global_load_ushort v3, v[56:57], off
	v_lshl_add_u64 v[56:57], v[42:43], 0, v[22:23]
	global_load_ushort v16, v[56:57], off
	s_waitcnt vmcnt(1)
	v_cvt_f32_f16_e32 v8, v3
	s_waitcnt vmcnt(0)
	v_cvt_f32_f16_e32 v16, v16
	s_or_b64 exec, exec, s[46:47]
	s_and_saveexec_b64 s[46:47], s[6:7]
	s_cbranch_execz .LBB170_36
.LBB170_47:                             ;   in Loop: Header=BB170_3 Depth=1
	v_lshl_add_u64 v[56:57], v[36:37], 0, v[22:23]
	global_load_ushort v3, v[56:57], off
	v_lshl_add_u64 v[56:57], v[38:39], 0, v[22:23]
	global_load_ushort v17, v[56:57], off
	s_waitcnt vmcnt(1)
	v_cvt_f32_f16_e32 v9, v3
	s_waitcnt vmcnt(0)
	v_cvt_f32_f16_e32 v17, v17
	s_or_b64 exec, exec, s[46:47]
	s_and_saveexec_b64 s[46:47], s[6:7]
	s_cbranch_execz .LBB170_37
.LBB170_48:                             ;   in Loop: Header=BB170_3 Depth=1
	v_lshl_add_u64 v[56:57], v[32:33], 0, v[22:23]
	global_load_ushort v3, v[56:57], off
	v_lshl_add_u64 v[56:57], v[34:35], 0, v[22:23]
	global_load_ushort v18, v[56:57], off
	s_waitcnt vmcnt(1)
	v_cvt_f32_f16_e32 v10, v3
	s_waitcnt vmcnt(0)
	v_cvt_f32_f16_e32 v18, v18
	s_or_b64 exec, exec, s[46:47]
	s_and_saveexec_b64 s[46:47], s[6:7]
	s_cbranch_execnz .LBB170_38
	s_branch .LBB170_39
.LBB170_49:
                                        ; implicit-def: $vgpr3
	s_branch .LBB170_51
.LBB170_50:
	s_cbranch_execnz .LBB170_83
.LBB170_51:
	s_and_b64 vcc, exec, s[4:5]
	v_mov_b32_e32 v3, 0
	s_cbranch_vccnz .LBB170_83
; %bb.52:
	v_mov_b32_e32 v2, 0
	v_bfe_u32 v86, v0, 10, 10
	v_lshlrev_b32_e32 v6, 4, v86
	v_mov_b32_e32 v7, v2
	v_lshl_add_u64 v[6:7], s[18:19], 1, v[6:7]
	v_lshl_add_u64 v[8:9], v[6:7], 0, 2
	v_mov_b64_e32 v[10:11], s[12:13]
	v_lshl_add_u64 v[12:13], v[6:7], 0, 4
	v_lshl_add_u64 v[14:15], v[6:7], 0, 6
	;; [unrolled: 1-line block ×6, first 2 shown]
	v_mad_u64_u32 v[22:23], s[4:5], s10, v8, v[10:11]
	v_mad_u64_u32 v[24:25], s[4:5], s10, v12, v[10:11]
	;; [unrolled: 1-line block ×7, first 2 shown]
	v_mov_b64_e32 v[10:11], s[14:15]
	v_mul_lo_u32 v9, s10, v9
	v_mul_lo_u32 v38, s11, v8
	v_mad_u64_u32 v[36:37], s[4:5], s10, v8, v[10:11]
	v_add3_u32 v23, v38, v23, v9
	v_mul_lo_u32 v13, s10, v13
	v_mul_lo_u32 v40, s11, v12
	v_add3_u32 v37, v38, v37, v9
	v_mad_u64_u32 v[38:39], s[4:5], s10, v12, v[10:11]
	v_add3_u32 v25, v40, v25, v13
	v_mul_lo_u32 v15, s10, v15
	v_mul_lo_u32 v42, s11, v14
	v_add3_u32 v39, v40, v39, v13
	;; [unrolled: 5-line block ×3, first 2 shown]
	v_mad_u64_u32 v[42:43], s[4:5], s10, v16, v[10:11]
	v_lshlrev_b32_e32 v20, 3, v86
	v_mov_b32_e32 v21, v2
	v_add3_u32 v29, v44, v29, v17
	v_mul_lo_u32 v19, s10, v19
	v_mul_lo_u32 v48, s11, v18
	;; [unrolled: 1-line block ×4, first 2 shown]
	v_add3_u32 v43, v44, v43, v17
	v_mad_u64_u32 v[44:45], s[4:5], s10, v18, v[10:11]
	v_mad_u64_u32 v[46:47], s[4:5], s10, v46, v[10:11]
	v_lshl_add_u64 v[4:5], v[20:21], 0, s[18:19]
	v_add3_u32 v31, v48, v31, v19
	v_add3_u32 v33, v51, v33, v49
	v_mul_lo_u32 v7, s10, v7
	v_mul_lo_u32 v8, s11, v6
	v_add3_u32 v45, v48, v45, v19
	v_add3_u32 v47, v51, v47, v49
	v_mad_u64_u32 v[48:49], s[4:5], s10, v6, v[10:11]
	v_add3_u32 v35, v8, v35, v7
	v_add3_u32 v49, v8, v49, v7
	v_lshl_add_u64 v[6:7], v[4:5], 0, 7
	v_mul_lo_u32 v8, s11, v6
	v_mul_lo_u32 v9, s10, v7
	v_mad_u64_u32 v[6:7], s[4:5], s10, v6, 0
	v_add3_u32 v7, v7, v9, v8
	v_lshl_add_u64 v[8:9], v[4:5], 0, 6
	v_mul_lo_u32 v10, s11, v8
	v_mul_lo_u32 v11, s10, v9
	v_mad_u64_u32 v[8:9], s[4:5], s10, v8, 0
	;; [unrolled: 5-line block ×5, first 2 shown]
	v_add3_u32 v15, v15, v17, v16
	v_lshl_add_u64 v[16:17], v[4:5], 0, 2
	v_mul_lo_u32 v50, s10, v5
	v_mul_lo_u32 v5, s11, v16
	;; [unrolled: 1-line block ×3, first 2 shown]
	v_mad_u64_u32 v[16:17], s[4:5], s10, v16, 0
	v_add3_u32 v17, v17, v18, v5
	v_mov_b64_e32 v[18:19], s[10:11]
	v_mul_lo_u32 v3, s11, v4
	v_mad_u64_u32 v[18:19], s[4:5], s10, v4, v[18:19]
	v_mad_u64_u32 v[4:5], s[4:5], s10, v4, 0
	s_load_dword s3, s[0:1], 0x44
	v_add3_u32 v5, v5, v50, v3
	v_lshlrev_b64 v[4:5], 1, v[4:5]
	v_lshl_add_u64 v[52:53], s[12:13], 0, v[4:5]
	v_lshl_add_u64 v[54:55], s[14:15], 0, v[4:5]
	v_lshlrev_b64 v[4:5], 1, v[6:7]
	v_lshl_add_u64 v[56:57], s[12:13], 0, v[4:5]
	v_lshl_add_u64 v[58:59], s[14:15], 0, v[4:5]
	v_lshlrev_b64 v[4:5], 1, v[8:9]
	s_add_u32 s4, s0, 64
	v_lshl_add_u64 v[60:61], s[12:13], 0, v[4:5]
	v_lshl_add_u64 v[62:63], s[14:15], 0, v[4:5]
	v_lshlrev_b64 v[4:5], 1, v[10:11]
	s_addc_u32 s5, s1, 0
	s_waitcnt lgkmcnt(0)
	s_lshl_b32 s3, s3, 6
	v_lshl_add_u64 v[64:65], s[12:13], 0, v[4:5]
	v_lshl_add_u64 v[66:67], s[14:15], 0, v[4:5]
	v_lshlrev_b64 v[4:5], 1, v[12:13]
	s_mul_i32 s6, s11, s3
	s_mul_hi_u32 s7, s10, s3
	v_lshl_add_u64 v[68:69], s[12:13], 0, v[4:5]
	v_lshl_add_u64 v[70:71], s[14:15], 0, v[4:5]
	v_lshlrev_b64 v[4:5], 1, v[14:15]
	v_add3_u32 v19, v3, v19, v50
	s_add_i32 s7, s7, s6
	s_mul_i32 s6, s10, s3
	v_lshl_add_u64 v[72:73], s[12:13], 0, v[4:5]
	v_lshl_add_u64 v[74:75], s[14:15], 0, v[4:5]
	v_lshlrev_b64 v[4:5], 1, v[16:17]
	v_mbcnt_lo_u32_b32 v3, -1, 0
	v_and_b32_e32 v1, 0x3ff, v0
	s_lshl_b64 s[6:7], s[6:7], 1
	v_lshl_add_u64 v[76:77], s[12:13], 0, v[4:5]
	v_lshl_add_u64 v[78:79], s[14:15], 0, v[4:5]
	v_lshlrev_b64 v[4:5], 1, v[18:19]
	v_mbcnt_hi_u32_b32 v3, -1, v3
	v_add_u32_e32 v50, s33, v1
	v_mov_b32_e32 v51, v2
	s_add_u32 s20, s18, 63
	v_lshl_add_u64 v[80:81], s[12:13], 0, v[4:5]
	v_lshl_add_u64 v[82:83], s[14:15], 0, v[4:5]
	s_movk_i32 s12, 0xffc1
	s_movk_i32 s14, 0xffc2
	;; [unrolled: 1-line block ×8, first 2 shown]
	v_lshlrev_b32_e32 v3, 2, v3
	v_lshlrev_b64 v[50:51], 1, v[50:51]
	s_addc_u32 s21, 0, 0
	s_mov_b32 s13, -1
	s_mov_b32 s15, -1
	;; [unrolled: 1-line block ×8, first 2 shown]
	v_and_b32_e32 v87, 0x100, v3
	v_mov_b32_e32 v88, 0
.LBB170_53:                             ; =>This Inner Loop Header: Depth=1
	v_mov_b64_e32 v[4:5], s[8:9]
	v_cmp_ge_i64_e32 vcc, s[20:21], v[4:5]
	v_lshl_add_u64 v[84:85], v[20:21], 0, s[20:21]
	s_mov_b64 s[36:37], -1
                                        ; implicit-def: $vgpr3
	s_cbranch_vccz .LBB170_75
; %bb.54:                               ;   in Loop: Header=BB170_53 Depth=1
	s_load_dword s33, s[4:5], 0xc
	v_mov_b32_e32 v89, 0
	s_waitcnt lgkmcnt(0)
	s_and_b32 s33, s33, 0xffff
	v_mad_u32_u24 v3, v86, s33, v1
	v_and_b32_e32 v4, 63, v3
	v_cmp_gt_u32_e32 vcc, 8, v4
	s_and_saveexec_b64 s[36:37], vcc
	s_cbranch_execz .LBB170_58
; %bb.55:                               ;   in Loop: Header=BB170_53 Depth=1
	v_mov_b32_e32 v5, v2
	v_lshl_add_u64 v[4:5], v[84:85], 0, v[4:5]
	v_lshl_add_u64 v[4:5], v[4:5], 0, s[12:13]
	v_cmp_gt_i64_e32 vcc, s[8:9], v[4:5]
	v_mov_b32_e32 v89, 0
	s_and_saveexec_b64 s[38:39], vcc
	s_cbranch_execz .LBB170_57
; %bb.56:                               ;   in Loop: Header=BB170_53 Depth=1
	v_lshl_add_u64 v[4:5], v[4:5], 2, s[16:17]
	global_load_dword v89, v[4:5], off
.LBB170_57:                             ;   in Loop: Header=BB170_53 Depth=1
	s_or_b64 exec, exec, s[38:39]
.LBB170_58:                             ;   in Loop: Header=BB170_53 Depth=1
	s_or_b64 exec, exec, s[36:37]
	v_lshl_add_u64 v[4:5], v[84:85], 0, s[12:13]
	v_mov_b32_e32 v8, v2
	v_mov_b32_e32 v9, v2
	v_cmp_gt_i64_e32 vcc, s[8:9], v[4:5]
	v_mov_b32_e32 v3, v2
	v_mov_b32_e32 v4, v2
	;; [unrolled: 1-line block ×5, first 2 shown]
	v_mov_b64_e32 v[18:19], v[8:9]
	v_mov_b64_e32 v[16:17], v[6:7]
	;; [unrolled: 1-line block ×8, first 2 shown]
	s_and_saveexec_b64 s[36:37], vcc
	s_cbranch_execz .LBB170_60
; %bb.59:                               ;   in Loop: Header=BB170_53 Depth=1
	v_lshl_add_u64 v[4:5], v[52:53], 0, v[50:51]
	global_load_ushort v3, v[4:5], off
	v_lshl_add_u64 v[4:5], v[54:55], 0, v[50:51]
	global_load_ushort v12, v[4:5], off
	v_mov_b32_e32 v5, v2
	v_mov_b32_e32 v6, v2
	;; [unrolled: 1-line block ×14, first 2 shown]
	s_waitcnt vmcnt(1)
	v_cvt_f32_f16_e32 v4, v3
	s_waitcnt vmcnt(0)
	v_cvt_f32_f16_e32 v12, v12
.LBB170_60:                             ;   in Loop: Header=BB170_53 Depth=1
	s_or_b64 exec, exec, s[36:37]
	v_lshl_add_u64 v[90:91], v[84:85], 0, s[14:15]
	v_cmp_gt_i64_e32 vcc, s[8:9], v[90:91]
	s_and_saveexec_b64 s[36:37], vcc
	s_cbranch_execz .LBB170_62
; %bb.61:                               ;   in Loop: Header=BB170_53 Depth=1
	v_lshl_add_u64 v[90:91], v[80:81], 0, v[50:51]
	global_load_ushort v3, v[90:91], off
	v_lshl_add_u64 v[90:91], v[82:83], 0, v[50:51]
	global_load_ushort v13, v[90:91], off
	s_waitcnt vmcnt(1)
	v_cvt_f32_f16_e32 v5, v3
	s_waitcnt vmcnt(0)
	v_cvt_f32_f16_e32 v13, v13
.LBB170_62:                             ;   in Loop: Header=BB170_53 Depth=1
	s_or_b64 exec, exec, s[36:37]
	v_lshl_add_u64 v[90:91], v[84:85], 0, s[22:23]
	v_cmp_gt_i64_e32 vcc, s[8:9], v[90:91]
	s_and_saveexec_b64 s[36:37], vcc
	s_cbranch_execz .LBB170_64
; %bb.63:                               ;   in Loop: Header=BB170_53 Depth=1
	v_lshl_add_u64 v[90:91], v[76:77], 0, v[50:51]
	global_load_ushort v3, v[90:91], off
	v_lshl_add_u64 v[90:91], v[78:79], 0, v[50:51]
	global_load_ushort v14, v[90:91], off
	s_waitcnt vmcnt(1)
	v_cvt_f32_f16_e32 v6, v3
	s_waitcnt vmcnt(0)
	v_cvt_f32_f16_e32 v14, v14
.LBB170_64:                             ;   in Loop: Header=BB170_53 Depth=1
	s_or_b64 exec, exec, s[36:37]
	v_lshl_add_u64 v[90:91], v[84:85], 0, s[24:25]
	v_cmp_gt_i64_e32 vcc, s[8:9], v[90:91]
	s_and_saveexec_b64 s[36:37], vcc
	s_cbranch_execz .LBB170_66
; %bb.65:                               ;   in Loop: Header=BB170_53 Depth=1
	v_lshl_add_u64 v[90:91], v[72:73], 0, v[50:51]
	global_load_ushort v3, v[90:91], off
	v_lshl_add_u64 v[90:91], v[74:75], 0, v[50:51]
	global_load_ushort v15, v[90:91], off
	s_waitcnt vmcnt(1)
	v_cvt_f32_f16_e32 v7, v3
	s_waitcnt vmcnt(0)
	v_cvt_f32_f16_e32 v15, v15
.LBB170_66:                             ;   in Loop: Header=BB170_53 Depth=1
	s_or_b64 exec, exec, s[36:37]
	v_lshl_add_u64 v[90:91], v[84:85], 0, s[26:27]
	v_cmp_gt_i64_e32 vcc, s[8:9], v[90:91]
	s_and_saveexec_b64 s[36:37], vcc
	s_cbranch_execz .LBB170_68
; %bb.67:                               ;   in Loop: Header=BB170_53 Depth=1
	v_lshl_add_u64 v[90:91], v[68:69], 0, v[50:51]
	global_load_ushort v3, v[90:91], off
	v_lshl_add_u64 v[90:91], v[70:71], 0, v[50:51]
	global_load_ushort v16, v[90:91], off
	s_waitcnt vmcnt(1)
	v_cvt_f32_f16_e32 v8, v3
	s_waitcnt vmcnt(0)
	v_cvt_f32_f16_e32 v16, v16
.LBB170_68:                             ;   in Loop: Header=BB170_53 Depth=1
	s_or_b64 exec, exec, s[36:37]
	v_lshl_add_u64 v[90:91], v[84:85], 0, s[28:29]
	v_cmp_gt_i64_e32 vcc, s[8:9], v[90:91]
	s_and_saveexec_b64 s[36:37], vcc
	s_cbranch_execz .LBB170_70
; %bb.69:                               ;   in Loop: Header=BB170_53 Depth=1
	v_lshl_add_u64 v[90:91], v[64:65], 0, v[50:51]
	global_load_ushort v3, v[90:91], off
	v_lshl_add_u64 v[90:91], v[66:67], 0, v[50:51]
	global_load_ushort v17, v[90:91], off
	s_waitcnt vmcnt(1)
	v_cvt_f32_f16_e32 v9, v3
	s_waitcnt vmcnt(0)
	v_cvt_f32_f16_e32 v17, v17
.LBB170_70:                             ;   in Loop: Header=BB170_53 Depth=1
	s_or_b64 exec, exec, s[36:37]
	v_lshl_add_u64 v[90:91], v[84:85], 0, s[30:31]
	v_cmp_gt_i64_e32 vcc, s[8:9], v[90:91]
	s_and_saveexec_b64 s[36:37], vcc
	s_cbranch_execz .LBB170_72
; %bb.71:                               ;   in Loop: Header=BB170_53 Depth=1
	v_lshl_add_u64 v[90:91], v[60:61], 0, v[50:51]
	global_load_ushort v3, v[90:91], off
	v_lshl_add_u64 v[90:91], v[62:63], 0, v[50:51]
	global_load_ushort v18, v[90:91], off
	s_waitcnt vmcnt(1)
	v_cvt_f32_f16_e32 v10, v3
	s_waitcnt vmcnt(0)
	v_cvt_f32_f16_e32 v18, v18
.LBB170_72:                             ;   in Loop: Header=BB170_53 Depth=1
	s_or_b64 exec, exec, s[36:37]
	v_lshl_add_u64 v[90:91], v[84:85], 0, s[34:35]
	v_cmp_gt_i64_e32 vcc, s[8:9], v[90:91]
	s_and_saveexec_b64 s[36:37], vcc
	s_cbranch_execz .LBB170_74
; %bb.73:                               ;   in Loop: Header=BB170_53 Depth=1
	v_lshl_add_u64 v[90:91], v[56:57], 0, v[50:51]
	global_load_ushort v3, v[90:91], off
	v_lshl_add_u64 v[90:91], v[58:59], 0, v[50:51]
	global_load_ushort v19, v[90:91], off
	s_waitcnt vmcnt(1)
	v_cvt_f32_f16_e32 v11, v3
	s_waitcnt vmcnt(0)
	v_cvt_f32_f16_e32 v19, v19
.LBB170_74:                             ;   in Loop: Header=BB170_53 Depth=1
	s_or_b64 exec, exec, s[36:37]
	s_waitcnt vmcnt(0)
	ds_bpermute_b32 v90, v87, v89
	ds_bpermute_b32 v91, v87, v89 offset:4
	v_pk_mul_f32 v[6:7], v[14:15], v[6:7]
	ds_bpermute_b32 v14, v87, v89 offset:8
	ds_bpermute_b32 v15, v87, v89 offset:12
	v_pk_mul_f32 v[4:5], v[12:13], v[4:5]
	ds_bpermute_b32 v12, v87, v89 offset:24
	s_waitcnt lgkmcnt(3)
	v_pk_mul_f32 v[4:5], v[4:5], v[90:91]
	ds_bpermute_b32 v13, v87, v89 offset:28
	v_add_f32_e32 v3, v88, v4
	v_add_f32_e32 v3, v3, v5
	s_waitcnt lgkmcnt(2)
	v_pk_mul_f32 v[4:5], v[6:7], v[14:15]
	ds_bpermute_b32 v6, v87, v89 offset:16
	ds_bpermute_b32 v7, v87, v89 offset:20
	v_pk_mul_f32 v[8:9], v[16:17], v[8:9]
	v_add_f32_e32 v3, v3, v4
	v_add_f32_e32 v3, v3, v5
	v_pk_mul_f32 v[10:11], v[18:19], v[10:11]
	s_waitcnt lgkmcnt(0)
	v_pk_mul_f32 v[4:5], v[8:9], v[6:7]
	s_mov_b64 s[36:37], 0
	v_add_f32_e32 v3, v3, v4
	v_add_f32_e32 v3, v3, v5
	v_pk_mul_f32 v[4:5], v[10:11], v[12:13]
	s_nop 0
	v_add_f32_e32 v3, v3, v4
	v_add_f32_e32 v3, v3, v5
.LBB170_75:                             ;   in Loop: Header=BB170_53 Depth=1
	s_and_b64 vcc, exec, s[36:37]
	s_cbranch_vccz .LBB170_81
; %bb.76:                               ;   in Loop: Header=BB170_53 Depth=1
	s_load_dword s33, s[4:5], 0x0
	s_waitcnt lgkmcnt(0)
	s_cmp_lt_u32 s2, s33
	s_cselect_b32 s33, 12, 18
	s_add_u32 s36, s4, s33
	s_addc_u32 s37, s5, 0
	global_load_ushort v3, v2, s[36:37]
	s_waitcnt vmcnt(0)
	v_mad_u32_u24 v3, v86, v3, v1
	v_and_b32_e32 v4, 63, v3
	v_cmp_gt_u32_e32 vcc, 8, v4
	v_mov_b32_e32 v3, 0
	s_and_saveexec_b64 s[36:37], vcc
	s_cbranch_execz .LBB170_80
; %bb.77:                               ;   in Loop: Header=BB170_53 Depth=1
	v_mov_b32_e32 v5, v2
	v_lshl_add_u64 v[4:5], v[84:85], 0, v[4:5]
	v_lshl_add_u64 v[4:5], v[4:5], 0, s[12:13]
	v_cmp_gt_i64_e32 vcc, s[8:9], v[4:5]
	v_mov_b32_e32 v3, 0
	s_and_saveexec_b64 s[38:39], vcc
	s_cbranch_execz .LBB170_79
; %bb.78:                               ;   in Loop: Header=BB170_53 Depth=1
	v_lshl_add_u64 v[4:5], v[4:5], 2, s[16:17]
	global_load_dword v3, v[4:5], off
.LBB170_79:                             ;   in Loop: Header=BB170_53 Depth=1
	s_or_b64 exec, exec, s[38:39]
.LBB170_80:                             ;   in Loop: Header=BB170_53 Depth=1
	s_or_b64 exec, exec, s[36:37]
	v_lshl_add_u64 v[4:5], v[52:53], 0, v[50:51]
	global_load_ushort v12, v[4:5], off
	v_lshl_add_u64 v[4:5], v[54:55], 0, v[50:51]
	global_load_ushort v14, v[4:5], off
	;; [unrolled: 2-line block ×12, first 2 shown]
	v_lshl_add_u64 v[6:7], v[34:35], 0, v[50:51]
	v_lshl_add_u64 v[4:5], v[32:33], 0, v[50:51]
	global_load_ushort v93, v[6:7], off
	v_lshl_add_u64 v[6:7], v[48:49], 0, v[50:51]
	global_load_ushort v92, v[4:5], off
	;; [unrolled: 2-line block ×3, first 2 shown]
	global_load_ushort v96, v[4:5], off
	s_waitcnt vmcnt(16)
	ds_bpermute_b32 v4, v87, v3
	ds_bpermute_b32 v5, v87, v3 offset:4
	ds_bpermute_b32 v6, v87, v3 offset:8
	;; [unrolled: 1-line block ×7, first 2 shown]
	s_waitcnt vmcnt(15)
	v_cvt_f32_f16_e32 v12, v12
	s_waitcnt vmcnt(14)
	v_cvt_f32_f16_e32 v14, v14
	;; [unrolled: 2-line block ×6, first 2 shown]
	v_pk_mul_f32 v[12:13], v[12:13], v[14:15]
	s_waitcnt vmcnt(9)
	v_cvt_f32_f16_e32 v17, v17
	s_waitcnt lgkmcnt(6)
	v_pk_mul_f32 v[4:5], v[12:13], v[4:5]
	s_waitcnt vmcnt(8)
	v_cvt_f32_f16_e32 v19, v19
	v_add_f32_e32 v3, v88, v4
	s_waitcnt vmcnt(7)
	v_cvt_f32_f16_e32 v84, v84
	v_add_f32_e32 v3, v3, v5
	v_pk_mul_f32 v[14:15], v[16:17], v[18:19]
	s_waitcnt vmcnt(5)
	v_cvt_f32_f16_e32 v85, v85
	s_waitcnt lgkmcnt(4)
	v_pk_mul_f32 v[6:7], v[14:15], v[6:7]
	s_waitcnt vmcnt(4)
	v_cvt_f32_f16_e32 v91, v90
	v_cvt_f32_f16_e32 v90, v89
	v_add_f32_e32 v3, v3, v6
	s_waitcnt vmcnt(3)
	v_cvt_f32_f16_e32 v93, v93
	v_add_f32_e32 v3, v3, v7
	s_waitcnt vmcnt(2)
	v_cvt_f32_f16_e32 v92, v92
	s_waitcnt vmcnt(1)
	v_cvt_f32_f16_e32 v95, v94
	;; [unrolled: 2-line block ×3, first 2 shown]
	v_pk_mul_f32 v[16:17], v[84:85], v[90:91]
	v_pk_mul_f32 v[18:19], v[92:93], v[94:95]
	s_waitcnt lgkmcnt(2)
	v_pk_mul_f32 v[8:9], v[16:17], v[8:9]
	s_waitcnt lgkmcnt(0)
	v_pk_mul_f32 v[4:5], v[18:19], v[10:11]
	v_add_f32_e32 v3, v3, v8
	v_add_f32_e32 v3, v3, v9
	;; [unrolled: 1-line block ×4, first 2 shown]
.LBB170_81:                             ;   in Loop: Header=BB170_53 Depth=1
	s_add_u32 s18, s18, s3
	s_addc_u32 s19, s19, 0
	v_mov_b64_e32 v[4:5], s[8:9]
	s_add_u32 s20, s20, s3
	v_cmp_ge_i64_e32 vcc, s[18:19], v[4:5]
	v_lshl_add_u64 v[52:53], v[52:53], 0, s[6:7]
	v_lshl_add_u64 v[54:55], v[54:55], 0, s[6:7]
	s_addc_u32 s21, s21, 0
	v_lshl_add_u64 v[22:23], v[22:23], 0, s[6:7]
	v_lshl_add_u64 v[24:25], v[24:25], 0, s[6:7]
	;; [unrolled: 1-line block ×28, first 2 shown]
	s_cbranch_vccnz .LBB170_83
; %bb.82:                               ;   in Loop: Header=BB170_53 Depth=1
	v_mov_b32_e32 v88, v3
	s_branch .LBB170_53
.LBB170_83:
	v_and_b32_e32 v1, 0x3ff, v0
	v_bfe_u32 v2, v0, 10, 10
	s_movk_i32 s3, 0x41
	v_mad_u32_u24 v4, v2, s3, v1
	v_bfe_u32 v0, v0, 6, 4
	v_lshl_add_u32 v4, v4, 2, 0
	v_add_u32_e32 v0, v0, v2
	ds_write_b32 v4, v3
	v_mov_b32_e32 v3, 0
	v_cmp_gt_u32_e32 vcc, 64, v0
	ds_write_b32 v4, v3 offset:2080
	s_waitcnt lgkmcnt(0)
	s_barrier
	s_and_saveexec_b64 s[4:5], vcc
	s_cbranch_execz .LBB170_123
; %bb.84:
	s_load_dwordx2 s[4:5], s[0:1], 0x30
	v_and_b32_e32 v2, 63, v1
	v_cmp_gt_u32_e32 vcc, 8, v2
	v_mul_u32_u24_e32 v4, 0x41, v2
                                        ; implicit-def: $vgpr2
	s_and_saveexec_b64 s[0:1], vcc
; %bb.85:
	v_lshlrev_b32_e32 v2, 2, v0
	v_lshlrev_b32_e32 v3, 2, v4
	v_add3_u32 v2, 0, v2, v3
	ds_read_b32 v2, v2
; %bb.86:
	s_or_b64 exec, exec, s[0:1]
	v_mbcnt_lo_u32_b32 v3, -1, 0
	v_mbcnt_hi_u32_b32 v3, -1, v3
	v_and_b32_e32 v5, 64, v3
	v_add_u32_e32 v7, 64, v5
	v_xor_b32_e32 v5, 4, v3
	v_cmp_lt_i32_e64 s[0:1], v5, v7
	v_xor_b32_e32 v8, 2, v3
	v_xor_b32_e32 v9, 1, v3
	v_cndmask_b32_e64 v5, v3, v5, s[0:1]
	v_lshlrev_b32_e32 v5, 2, v5
	s_waitcnt lgkmcnt(0)
	ds_bpermute_b32 v6, v5, v2
	v_cmp_lt_i32_e64 s[0:1], v8, v7
	s_mov_b32 s3, 0
	s_lshl_b64 s[6:7], s[2:3], 6
	s_cmp_eq_u64 s[4:5], 0
	s_waitcnt lgkmcnt(0)
	v_add_f32_e32 v2, v2, v6
	v_cndmask_b32_e64 v6, v3, v8, s[0:1]
	v_lshlrev_b32_e32 v6, 2, v6
	ds_bpermute_b32 v8, v6, v2
	v_cmp_lt_i32_e64 s[0:1], v9, v7
	s_cselect_b64 s[8:9], -1, 0
	s_waitcnt lgkmcnt(0)
	v_add_f32_e32 v2, v2, v8
	v_cndmask_b32_e64 v3, v3, v9, s[0:1]
	v_lshlrev_b32_e32 v7, 2, v3
	ds_bpermute_b32 v3, v7, v2
	v_cmp_ne_u32_e64 s[0:1], 0, v1
	s_waitcnt lgkmcnt(0)
	v_add_f32_e32 v8, v2, v3
	v_or_b32_e32 v2, s6, v0
	v_mov_b32_e32 v3, s7
	v_cmp_le_i64_e64 s[2:3], s[10:11], v[2:3]
	s_or_b64 s[2:3], s[0:1], s[2:3]
	s_nor_b64 s[12:13], s[8:9], s[2:3]
	s_and_saveexec_b64 s[2:3], s[12:13]
	s_cbranch_execz .LBB170_88
; %bb.87:
	v_cvt_f16_f32_e32 v1, v8
	v_lshl_add_u64 v[2:3], v[2:3], 1, s[4:5]
	global_store_short v[2:3], v1, off
.LBB170_88:
	s_or_b64 exec, exec, s[2:3]
	v_cmp_gt_u32_e64 s[2:3], 56, v0
	s_and_b64 exec, exec, s[2:3]
	s_cbranch_execz .LBB170_123
; %bb.89:
	v_mov_b32_e32 v1, 0
	s_and_saveexec_b64 s[2:3], vcc
; %bb.90:
	v_lshlrev_b32_e32 v2, 2, v0
	v_lshlrev_b32_e32 v3, 2, v4
	v_add3_u32 v2, 0, v2, v3
	ds_read_b32 v8, v2 offset:32
; %bb.91:
	s_or_b64 exec, exec, s[2:3]
	s_waitcnt lgkmcnt(0)
	ds_bpermute_b32 v2, v5, v8
	s_waitcnt lgkmcnt(0)
	v_add_f32_e32 v3, v8, v2
	ds_bpermute_b32 v8, v6, v3
	v_add_u32_e32 v2, 8, v0
	s_waitcnt lgkmcnt(0)
	v_add_f32_e32 v8, v3, v8
	ds_bpermute_b32 v9, v7, v8
	v_mov_b32_e32 v3, v1
	v_lshl_add_u64 v[2:3], s[6:7], 0, v[2:3]
	v_cmp_le_i64_e64 s[2:3], s[10:11], v[2:3]
	s_or_b64 s[2:3], s[0:1], s[2:3]
	s_waitcnt lgkmcnt(0)
	v_add_f32_e32 v2, v8, v9
	s_nor_b64 s[12:13], s[8:9], s[2:3]
	s_and_saveexec_b64 s[2:3], s[12:13]
	s_cbranch_execz .LBB170_93
; %bb.92:
	v_cvt_f16_f32_e32 v3, v2
	v_lshl_add_u64 v[8:9], s[6:7], 0, v[0:1]
	v_lshl_add_u64 v[8:9], v[8:9], 1, s[4:5]
	global_store_short v[8:9], v3, off offset:16
.LBB170_93:
	s_or_b64 exec, exec, s[2:3]
	v_cmp_gt_u32_e64 s[2:3], 48, v0
	s_and_b64 exec, exec, s[2:3]
	s_cbranch_execz .LBB170_123
; %bb.94:
	s_and_saveexec_b64 s[2:3], vcc
; %bb.95:
	v_lshlrev_b32_e32 v2, 2, v0
	v_lshlrev_b32_e32 v3, 2, v4
	v_add3_u32 v2, 0, v2, v3
	ds_read_b32 v2, v2 offset:64
; %bb.96:
	s_or_b64 exec, exec, s[2:3]
	s_waitcnt lgkmcnt(0)
	ds_bpermute_b32 v3, v5, v2
	s_waitcnt lgkmcnt(0)
	v_add_f32_e32 v3, v2, v3
	ds_bpermute_b32 v8, v6, v3
	v_add_u32_e32 v2, 16, v0
	s_waitcnt lgkmcnt(0)
	v_add_f32_e32 v8, v3, v8
	ds_bpermute_b32 v9, v7, v8
	v_mov_b32_e32 v3, 0
	v_lshl_add_u64 v[2:3], s[6:7], 0, v[2:3]
	v_cmp_le_i64_e64 s[2:3], s[10:11], v[2:3]
	s_or_b64 s[2:3], s[0:1], s[2:3]
	s_waitcnt lgkmcnt(0)
	v_add_f32_e32 v2, v8, v9
	s_nor_b64 s[12:13], s[8:9], s[2:3]
	s_and_saveexec_b64 s[2:3], s[12:13]
	s_cbranch_execz .LBB170_98
; %bb.97:
	v_cvt_f16_f32_e32 v3, v2
	v_lshl_add_u64 v[8:9], s[6:7], 0, v[0:1]
	v_lshl_add_u64 v[8:9], v[8:9], 1, s[4:5]
	global_store_short v[8:9], v3, off offset:32
.LBB170_98:
	s_or_b64 exec, exec, s[2:3]
	v_cmp_gt_u32_e64 s[2:3], 40, v0
	s_and_b64 exec, exec, s[2:3]
	s_cbranch_execz .LBB170_123
; %bb.99:
	;; [unrolled: 37-line block ×3, first 2 shown]
	s_and_saveexec_b64 s[2:3], vcc
; %bb.105:
	v_lshlrev_b32_e32 v2, 2, v0
	v_lshlrev_b32_e32 v3, 2, v4
	v_add3_u32 v2, 0, v2, v3
	ds_read_b32 v2, v2 offset:128
; %bb.106:
	s_or_b64 exec, exec, s[2:3]
	s_waitcnt lgkmcnt(0)
	ds_bpermute_b32 v3, v5, v2
	v_add_u32_e32 v8, 32, v0
	s_waitcnt lgkmcnt(0)
	v_add_f32_e32 v2, v2, v3
	ds_bpermute_b32 v3, v6, v2
	s_waitcnt lgkmcnt(0)
	v_add_f32_e32 v9, v2, v3
	ds_bpermute_b32 v10, v7, v9
	v_mov_b32_e32 v3, s7
	v_or_b32_e32 v2, s6, v8
	v_cmp_le_i64_e64 s[2:3], s[10:11], v[2:3]
	s_or_b64 s[2:3], s[0:1], s[2:3]
	s_waitcnt lgkmcnt(0)
	v_add_f32_e32 v2, v9, v10
	s_nor_b64 s[12:13], s[8:9], s[2:3]
	s_and_saveexec_b64 s[2:3], s[12:13]
	s_cbranch_execz .LBB170_108
; %bb.107:
	v_cvt_f16_f32_e32 v3, v2
	v_lshl_add_u64 v[8:9], s[6:7], 0, v[0:1]
	v_lshl_add_u64 v[8:9], v[8:9], 1, s[4:5]
	global_store_short v[8:9], v3, off offset:64
.LBB170_108:
	s_or_b64 exec, exec, s[2:3]
	v_cmp_gt_u32_e64 s[2:3], 24, v0
	s_and_b64 exec, exec, s[2:3]
	s_cbranch_execz .LBB170_123
; %bb.109:
	s_and_saveexec_b64 s[2:3], vcc
; %bb.110:
	v_lshlrev_b32_e32 v2, 2, v0
	v_lshlrev_b32_e32 v3, 2, v4
	v_add3_u32 v2, 0, v2, v3
	ds_read_b32 v2, v2 offset:160
; %bb.111:
	s_or_b64 exec, exec, s[2:3]
	s_waitcnt lgkmcnt(0)
	ds_bpermute_b32 v3, v5, v2
	s_waitcnt lgkmcnt(0)
	v_add_f32_e32 v3, v2, v3
	ds_bpermute_b32 v8, v6, v3
	v_add_u32_e32 v2, 40, v0
	s_waitcnt lgkmcnt(0)
	v_add_f32_e32 v8, v3, v8
	ds_bpermute_b32 v9, v7, v8
	v_mov_b32_e32 v3, 0
	v_lshl_add_u64 v[2:3], s[6:7], 0, v[2:3]
	v_cmp_le_i64_e64 s[2:3], s[10:11], v[2:3]
	s_or_b64 s[2:3], s[0:1], s[2:3]
	s_waitcnt lgkmcnt(0)
	v_add_f32_e32 v2, v8, v9
	s_nor_b64 s[12:13], s[8:9], s[2:3]
	s_and_saveexec_b64 s[2:3], s[12:13]
	s_cbranch_execz .LBB170_113
; %bb.112:
	v_cvt_f16_f32_e32 v3, v2
	v_lshl_add_u64 v[8:9], s[6:7], 0, v[0:1]
	v_lshl_add_u64 v[8:9], v[8:9], 1, s[4:5]
	global_store_short v[8:9], v3, off offset:80
.LBB170_113:
	s_or_b64 exec, exec, s[2:3]
	v_cmp_gt_u32_e64 s[2:3], 16, v0
	s_and_b64 exec, exec, s[2:3]
	s_cbranch_execz .LBB170_123
; %bb.114:
	s_and_saveexec_b64 s[2:3], vcc
; %bb.115:
	v_lshlrev_b32_e32 v2, 2, v0
	v_lshlrev_b32_e32 v3, 2, v4
	v_add3_u32 v2, 0, v2, v3
	ds_read_b32 v2, v2 offset:192
; %bb.116:
	s_or_b64 exec, exec, s[2:3]
	s_waitcnt lgkmcnt(0)
	ds_bpermute_b32 v3, v5, v2
	v_add_u32_e32 v8, 48, v0
	s_waitcnt lgkmcnt(0)
	v_add_f32_e32 v2, v2, v3
	ds_bpermute_b32 v3, v6, v2
	s_waitcnt lgkmcnt(0)
	v_add_f32_e32 v9, v2, v3
	ds_bpermute_b32 v10, v7, v9
	v_mov_b32_e32 v3, s7
	v_or_b32_e32 v2, s6, v8
	v_cmp_le_i64_e64 s[2:3], s[10:11], v[2:3]
	s_or_b64 s[2:3], s[0:1], s[2:3]
	s_waitcnt lgkmcnt(0)
	v_add_f32_e32 v2, v9, v10
	s_nor_b64 s[12:13], s[8:9], s[2:3]
	s_and_saveexec_b64 s[2:3], s[12:13]
	s_cbranch_execz .LBB170_118
; %bb.117:
	v_cvt_f16_f32_e32 v3, v2
	v_lshl_add_u64 v[8:9], s[6:7], 0, v[0:1]
	v_lshl_add_u64 v[8:9], v[8:9], 1, s[4:5]
	global_store_short v[8:9], v3, off offset:96
.LBB170_118:
	s_or_b64 exec, exec, s[2:3]
	v_cmp_gt_u32_e64 s[2:3], 8, v0
	s_and_b64 exec, exec, s[2:3]
	s_cbranch_execz .LBB170_123
; %bb.119:
	s_and_saveexec_b64 s[2:3], vcc
; %bb.120:
	v_lshlrev_b32_e32 v2, 2, v0
	v_lshlrev_b32_e32 v3, 2, v4
	v_add3_u32 v2, 0, v2, v3
	ds_read_b32 v2, v2 offset:224
; %bb.121:
	s_or_b64 exec, exec, s[2:3]
	s_waitcnt lgkmcnt(0)
	ds_bpermute_b32 v3, v5, v2
	v_add_u32_e32 v4, 56, v0
	v_or_b32_e32 v4, s6, v4
	v_mov_b32_e32 v5, s7
	v_cmp_le_i64_e32 vcc, s[10:11], v[4:5]
	s_waitcnt lgkmcnt(0)
	v_add_f32_e32 v2, v2, v3
	ds_bpermute_b32 v3, v6, v2
	s_or_b64 s[0:1], s[0:1], vcc
	s_nor_b64 s[0:1], s[8:9], s[0:1]
	s_waitcnt lgkmcnt(0)
	v_add_f32_e32 v2, v2, v3
	ds_bpermute_b32 v3, v7, v2
	s_and_saveexec_b64 s[2:3], s[0:1]
	s_xor_b64 s[2:3], exec, s[2:3]
	s_cbranch_execz .LBB170_123
; %bb.122:
	s_waitcnt lgkmcnt(0)
	v_add_f32_e32 v2, v2, v3
	v_cvt_f16_f32_e32 v2, v2
	v_lshl_add_u64 v[0:1], s[6:7], 0, v[0:1]
	v_lshl_add_u64 v[0:1], v[0:1], 1, s[4:5]
	global_store_short v[0:1], v2, off offset:112
.LBB170_123:
	s_endpgm
	.section	.rodata,"a",@progbits
	.p2align	6, 0x0
	.amdhsa_kernel _ZN2at6native12_GLOBAL__N_135GammaBetaBackwardCUDAKernelTemplateIN3c104HalfEfLj64ELj8ELj64ELb0ELb0ELb1EEEvllPKT_S7_PKT0_SA_PS5_SB_
		.amdhsa_group_segment_fixed_size 0
		.amdhsa_private_segment_fixed_size 0
		.amdhsa_kernarg_size 320
		.amdhsa_user_sgpr_count 2
		.amdhsa_user_sgpr_dispatch_ptr 0
		.amdhsa_user_sgpr_queue_ptr 0
		.amdhsa_user_sgpr_kernarg_segment_ptr 1
		.amdhsa_user_sgpr_dispatch_id 0
		.amdhsa_user_sgpr_kernarg_preload_length 0
		.amdhsa_user_sgpr_kernarg_preload_offset 0
		.amdhsa_user_sgpr_private_segment_size 0
		.amdhsa_uses_dynamic_stack 0
		.amdhsa_enable_private_segment 0
		.amdhsa_system_sgpr_workgroup_id_x 1
		.amdhsa_system_sgpr_workgroup_id_y 1
		.amdhsa_system_sgpr_workgroup_id_z 0
		.amdhsa_system_sgpr_workgroup_info 0
		.amdhsa_system_vgpr_workitem_id 1
		.amdhsa_next_free_vgpr 97
		.amdhsa_next_free_sgpr 50
		.amdhsa_accum_offset 100
		.amdhsa_reserve_vcc 1
		.amdhsa_float_round_mode_32 0
		.amdhsa_float_round_mode_16_64 0
		.amdhsa_float_denorm_mode_32 3
		.amdhsa_float_denorm_mode_16_64 3
		.amdhsa_dx10_clamp 1
		.amdhsa_ieee_mode 1
		.amdhsa_fp16_overflow 0
		.amdhsa_tg_split 0
		.amdhsa_exception_fp_ieee_invalid_op 0
		.amdhsa_exception_fp_denorm_src 0
		.amdhsa_exception_fp_ieee_div_zero 0
		.amdhsa_exception_fp_ieee_overflow 0
		.amdhsa_exception_fp_ieee_underflow 0
		.amdhsa_exception_fp_ieee_inexact 0
		.amdhsa_exception_int_div_zero 0
	.end_amdhsa_kernel
	.section	.text._ZN2at6native12_GLOBAL__N_135GammaBetaBackwardCUDAKernelTemplateIN3c104HalfEfLj64ELj8ELj64ELb0ELb0ELb1EEEvllPKT_S7_PKT0_SA_PS5_SB_,"axG",@progbits,_ZN2at6native12_GLOBAL__N_135GammaBetaBackwardCUDAKernelTemplateIN3c104HalfEfLj64ELj8ELj64ELb0ELb0ELb1EEEvllPKT_S7_PKT0_SA_PS5_SB_,comdat
.Lfunc_end170:
	.size	_ZN2at6native12_GLOBAL__N_135GammaBetaBackwardCUDAKernelTemplateIN3c104HalfEfLj64ELj8ELj64ELb0ELb0ELb1EEEvllPKT_S7_PKT0_SA_PS5_SB_, .Lfunc_end170-_ZN2at6native12_GLOBAL__N_135GammaBetaBackwardCUDAKernelTemplateIN3c104HalfEfLj64ELj8ELj64ELb0ELb0ELb1EEEvllPKT_S7_PKT0_SA_PS5_SB_
                                        ; -- End function
	.set _ZN2at6native12_GLOBAL__N_135GammaBetaBackwardCUDAKernelTemplateIN3c104HalfEfLj64ELj8ELj64ELb0ELb0ELb1EEEvllPKT_S7_PKT0_SA_PS5_SB_.num_vgpr, 97
	.set _ZN2at6native12_GLOBAL__N_135GammaBetaBackwardCUDAKernelTemplateIN3c104HalfEfLj64ELj8ELj64ELb0ELb0ELb1EEEvllPKT_S7_PKT0_SA_PS5_SB_.num_agpr, 0
	.set _ZN2at6native12_GLOBAL__N_135GammaBetaBackwardCUDAKernelTemplateIN3c104HalfEfLj64ELj8ELj64ELb0ELb0ELb1EEEvllPKT_S7_PKT0_SA_PS5_SB_.numbered_sgpr, 50
	.set _ZN2at6native12_GLOBAL__N_135GammaBetaBackwardCUDAKernelTemplateIN3c104HalfEfLj64ELj8ELj64ELb0ELb0ELb1EEEvllPKT_S7_PKT0_SA_PS5_SB_.num_named_barrier, 0
	.set _ZN2at6native12_GLOBAL__N_135GammaBetaBackwardCUDAKernelTemplateIN3c104HalfEfLj64ELj8ELj64ELb0ELb0ELb1EEEvllPKT_S7_PKT0_SA_PS5_SB_.private_seg_size, 0
	.set _ZN2at6native12_GLOBAL__N_135GammaBetaBackwardCUDAKernelTemplateIN3c104HalfEfLj64ELj8ELj64ELb0ELb0ELb1EEEvllPKT_S7_PKT0_SA_PS5_SB_.uses_vcc, 1
	.set _ZN2at6native12_GLOBAL__N_135GammaBetaBackwardCUDAKernelTemplateIN3c104HalfEfLj64ELj8ELj64ELb0ELb0ELb1EEEvllPKT_S7_PKT0_SA_PS5_SB_.uses_flat_scratch, 0
	.set _ZN2at6native12_GLOBAL__N_135GammaBetaBackwardCUDAKernelTemplateIN3c104HalfEfLj64ELj8ELj64ELb0ELb0ELb1EEEvllPKT_S7_PKT0_SA_PS5_SB_.has_dyn_sized_stack, 0
	.set _ZN2at6native12_GLOBAL__N_135GammaBetaBackwardCUDAKernelTemplateIN3c104HalfEfLj64ELj8ELj64ELb0ELb0ELb1EEEvllPKT_S7_PKT0_SA_PS5_SB_.has_recursion, 0
	.set _ZN2at6native12_GLOBAL__N_135GammaBetaBackwardCUDAKernelTemplateIN3c104HalfEfLj64ELj8ELj64ELb0ELb0ELb1EEEvllPKT_S7_PKT0_SA_PS5_SB_.has_indirect_call, 0
	.section	.AMDGPU.csdata,"",@progbits
; Kernel info:
; codeLenInByte = 7704
; TotalNumSgprs: 56
; NumVgprs: 97
; NumAgprs: 0
; TotalNumVgprs: 97
; ScratchSize: 0
; MemoryBound: 0
; FloatMode: 240
; IeeeMode: 1
; LDSByteSize: 0 bytes/workgroup (compile time only)
; SGPRBlocks: 6
; VGPRBlocks: 12
; NumSGPRsForWavesPerEU: 56
; NumVGPRsForWavesPerEU: 97
; AccumOffset: 100
; Occupancy: 4
; WaveLimiterHint : 0
; COMPUTE_PGM_RSRC2:SCRATCH_EN: 0
; COMPUTE_PGM_RSRC2:USER_SGPR: 2
; COMPUTE_PGM_RSRC2:TRAP_HANDLER: 0
; COMPUTE_PGM_RSRC2:TGID_X_EN: 1
; COMPUTE_PGM_RSRC2:TGID_Y_EN: 1
; COMPUTE_PGM_RSRC2:TGID_Z_EN: 0
; COMPUTE_PGM_RSRC2:TIDIG_COMP_CNT: 1
; COMPUTE_PGM_RSRC3_GFX90A:ACCUM_OFFSET: 24
; COMPUTE_PGM_RSRC3_GFX90A:TG_SPLIT: 0
	.section	.text._ZN2at6native12_GLOBAL__N_135GammaBetaBackwardCUDAKernelTemplateIN3c104HalfEfLj64ELj16ELj128ELb0ELb1ELb1EEEvllPKT_S7_PKT0_SA_PS5_SB_,"axG",@progbits,_ZN2at6native12_GLOBAL__N_135GammaBetaBackwardCUDAKernelTemplateIN3c104HalfEfLj64ELj16ELj128ELb0ELb1ELb1EEEvllPKT_S7_PKT0_SA_PS5_SB_,comdat
	.globl	_ZN2at6native12_GLOBAL__N_135GammaBetaBackwardCUDAKernelTemplateIN3c104HalfEfLj64ELj16ELj128ELb0ELb1ELb1EEEvllPKT_S7_PKT0_SA_PS5_SB_ ; -- Begin function _ZN2at6native12_GLOBAL__N_135GammaBetaBackwardCUDAKernelTemplateIN3c104HalfEfLj64ELj16ELj128ELb0ELb1ELb1EEEvllPKT_S7_PKT0_SA_PS5_SB_
	.p2align	8
	.type	_ZN2at6native12_GLOBAL__N_135GammaBetaBackwardCUDAKernelTemplateIN3c104HalfEfLj64ELj16ELj128ELb0ELb1ELb1EEEvllPKT_S7_PKT0_SA_PS5_SB_,@function
_ZN2at6native12_GLOBAL__N_135GammaBetaBackwardCUDAKernelTemplateIN3c104HalfEfLj64ELj16ELj128ELb0ELb1ELb1EEEvllPKT_S7_PKT0_SA_PS5_SB_: ; @_ZN2at6native12_GLOBAL__N_135GammaBetaBackwardCUDAKernelTemplateIN3c104HalfEfLj64ELj16ELj128ELb0ELb1ELb1EEEvllPKT_S7_PKT0_SA_PS5_SB_
; %bb.0:
	s_load_dwordx4 s[4:7], s[0:1], 0x0
	s_lshl_b32 s14, s3, 7
	s_mov_b32 s15, 0
	v_mov_b64_e32 v[2:3], s[14:15]
	v_bfe_u32 v12, v0, 10, 10
	s_waitcnt lgkmcnt(0)
	v_cmp_gt_i64_e32 vcc, s[4:5], v[2:3]
	s_cbranch_vccnz .LBB171_2
; %bb.1:
	s_mov_b64 s[8:9], 0
	v_bfe_u32 v2, v0, 10, 10
	s_branch .LBB171_3
.LBB171_2:
	s_mov_b64 s[8:9], -1
                                        ; implicit-def: $vgpr2
.LBB171_3:
	s_load_dwordx2 s[12:13], s[0:1], 0x30
	v_and_b32_e32 v10, 0x3ff, v0
	v_mov_b32_e32 v1, 0
	s_andn2_b64 vcc, exec, s[8:9]
	v_mbcnt_lo_u32_b32 v11, -1, 0
	s_cbranch_vccnz .LBB171_11
; %bb.4:
	s_load_dword s3, s[0:1], 0x4c
	s_load_dword s16, s[0:1], 0x44
	s_load_dwordx2 s[18:19], s[0:1], 0x28
	s_load_dwordx4 s[8:11], s[0:1], 0x10
	v_lshlrev_b32_e32 v0, 3, v12
	s_waitcnt lgkmcnt(0)
	s_and_b32 s0, s3, 0xffff
	v_mad_u32_u24 v1, v12, s0, v10
	v_and_b32_e32 v2, 63, v1
	v_mov_b32_e32 v1, 0
	v_mov_b32_e32 v3, v1
	v_lshl_add_u64 v[8:9], v[0:1], 0, s[14:15]
	v_cmp_gt_u32_e64 s[0:1], 8, v2
	v_mbcnt_hi_u32_b32 v4, -1, v11
	s_lshl_b32 s16, s16, 7
	v_lshl_add_u64 v[2:3], v[8:9], 0, v[2:3]
	v_mul_lo_u32 v0, s7, v8
	v_mul_lo_u32 v21, s6, v9
	v_mad_u64_u32 v[8:9], s[20:21], s6, v8, 0
	v_lshl_add_u32 v6, s2, 6, v10
	v_mov_b32_e32 v7, v1
	v_lshlrev_b32_e32 v4, 2, v4
	s_mul_i32 s3, s7, s16
	s_mul_hi_u32 s20, s6, s16
	s_mov_b32 s17, 0
	v_and_b32_e32 v13, 0x100, v4
	v_add3_u32 v9, v9, v21, v0
	v_lshlrev_b64 v[6:7], 1, v[6:7]
	s_add_i32 s21, s20, s3
	s_mul_i32 s20, s6, s16
	v_or_b32_e32 v14, 4, v13
	v_or_b32_e32 v15, 8, v13
	;; [unrolled: 1-line block ×7, first 2 shown]
	v_lshl_add_u64 v[4:5], v[2:3], 2, s[18:19]
	s_lshl_b64 s[18:19], s[16:17], 2
	v_lshl_add_u64 v[6:7], v[8:9], 1, v[6:7]
	s_lshl_b64 s[20:21], s[20:21], 1
	s_lshl_b64 s[6:7], s[6:7], 1
	v_mov_b64_e32 v[8:9], s[4:5]
	s_branch .LBB171_7
.LBB171_5:                              ;   in Loop: Header=BB171_7 Depth=1
	s_or_b64 exec, exec, s[24:25]
.LBB171_6:                              ;   in Loop: Header=BB171_7 Depth=1
	s_or_b64 exec, exec, s[22:23]
	v_lshl_add_u64 v[22:23], s[8:9], 0, v[6:7]
	global_load_ushort v21, v[22:23], off
	v_lshl_add_u64 v[24:25], s[10:11], 0, v[6:7]
	v_lshl_add_u64 v[22:23], v[22:23], 0, s[6:7]
	global_load_ushort v31, v[24:25], off
	global_load_ushort v33, v[22:23], off
	v_lshl_add_u64 v[24:25], v[24:25], 0, s[6:7]
	v_lshl_add_u64 v[22:23], v[22:23], 0, s[6:7]
	global_load_ushort v34, v[24:25], off
	;; [unrolled: 4-line block ×7, first 2 shown]
	v_lshl_add_u64 v[22:23], v[24:25], 0, s[6:7]
	global_load_ushort v44, v[24:25], off
	global_load_ushort v46, v[22:23], off
	s_waitcnt vmcnt(16)
	ds_bpermute_b32 v22, v13, v0
	ds_bpermute_b32 v23, v14, v0
	;; [unrolled: 1-line block ×8, first 2 shown]
	s_add_u32 s14, s14, s16
	s_addc_u32 s15, s15, 0
	v_cmp_lt_i64_e32 vcc, s[14:15], v[8:9]
	v_lshl_add_u64 v[4:5], v[4:5], 0, s[18:19]
	v_lshl_add_u64 v[2:3], v[2:3], 0, s[16:17]
	;; [unrolled: 1-line block ×3, first 2 shown]
	s_and_b64 vcc, exec, vcc
	s_waitcnt vmcnt(15)
	v_cvt_f32_f16_e32 v30, v21
	s_waitcnt vmcnt(14)
	v_cvt_f32_f16_e32 v32, v31
	;; [unrolled: 2-line block ×7, first 2 shown]
	v_pk_mul_f32 v[30:31], v[30:31], v[32:33]
	s_waitcnt vmcnt(8)
	v_cvt_f32_f16_e32 v37, v38
	s_waitcnt vmcnt(7)
	v_cvt_f32_f16_e32 v38, v39
	s_waitcnt lgkmcnt(6)
	v_pk_mul_f32 v[22:23], v[30:31], v[22:23]
	s_waitcnt vmcnt(6)
	v_cvt_f32_f16_e32 v40, v40
	s_waitcnt vmcnt(5)
	v_cvt_f32_f16_e32 v39, v41
	v_add_f32_e32 v21, v1, v22
	v_pk_mul_f32 v[32:33], v[34:35], v[36:37]
	s_waitcnt vmcnt(4)
	v_cvt_f32_f16_e32 v41, v42
	s_waitcnt vmcnt(3)
	v_cvt_f32_f16_e32 v0, v43
	v_add_f32_e32 v21, v21, v23
	s_waitcnt lgkmcnt(4)
	v_pk_mul_f32 v[22:23], v[32:33], v[24:25]
	s_waitcnt vmcnt(2)
	v_cvt_f32_f16_e32 v1, v45
	v_add_f32_e32 v21, v21, v22
	s_waitcnt vmcnt(1)
	v_cvt_f32_f16_e32 v30, v44
	s_waitcnt vmcnt(0)
	v_cvt_f32_f16_e32 v31, v46
	v_pk_mul_f32 v[24:25], v[38:39], v[40:41]
	v_add_f32_e32 v21, v21, v23
	s_waitcnt lgkmcnt(2)
	v_pk_mul_f32 v[22:23], v[24:25], v[26:27]
	v_pk_mul_f32 v[0:1], v[0:1], v[30:31]
	v_add_f32_e32 v21, v21, v22
	v_add_f32_e32 v21, v21, v23
	s_waitcnt lgkmcnt(0)
	v_pk_mul_f32 v[0:1], v[0:1], v[28:29]
	s_nop 0
	v_add_f32_e32 v0, v21, v0
	v_add_f32_e32 v1, v0, v1
	s_cbranch_vccz .LBB171_10
.LBB171_7:                              ; =>This Inner Loop Header: Depth=1
	v_mov_b32_e32 v0, 0
	s_and_saveexec_b64 s[22:23], s[0:1]
	s_cbranch_execz .LBB171_6
; %bb.8:                                ;   in Loop: Header=BB171_7 Depth=1
	v_cmp_gt_i64_e32 vcc, s[4:5], v[2:3]
	v_mov_b32_e32 v0, 0
	s_and_saveexec_b64 s[24:25], vcc
	s_cbranch_execz .LBB171_5
; %bb.9:                                ;   in Loop: Header=BB171_7 Depth=1
	global_load_dword v0, v[4:5], off
	s_branch .LBB171_5
.LBB171_10:
	v_mov_b32_e32 v2, v12
.LBB171_11:
	s_movk_i32 s0, 0x41
	v_mad_u32_u24 v0, v2, s0, v10
	v_lshl_add_u32 v0, v0, 2, 0
	ds_write_b32 v0, v1
	v_mov_b32_e32 v1, 0
	ds_write_b32 v0, v1 offset:4160
	v_lshrrev_b32_e32 v0, 6, v10
	v_add_u32_e32 v0, v0, v2
	v_cmp_gt_u32_e32 vcc, 64, v0
	s_waitcnt lgkmcnt(0)
	s_barrier
	s_and_saveexec_b64 s[0:1], vcc
	s_cbranch_execz .LBB171_31
; %bb.12:
	v_and_b32_e32 v1, 63, v10
	v_cmp_gt_u32_e32 vcc, 16, v1
	v_mul_u32_u24_e32 v2, 0x41, v1
                                        ; implicit-def: $vgpr1
	s_and_saveexec_b64 s[0:1], vcc
; %bb.13:
	v_lshlrev_b32_e32 v1, 2, v0
	v_lshlrev_b32_e32 v3, 2, v2
	v_add3_u32 v1, 0, v1, v3
	ds_read_b32 v1, v1
; %bb.14:
	s_or_b64 exec, exec, s[0:1]
	v_mbcnt_hi_u32_b32 v6, -1, v11
	v_and_b32_e32 v3, 64, v6
	v_add_u32_e32 v7, 64, v3
	v_xor_b32_e32 v3, 8, v6
	v_cmp_lt_i32_e64 s[0:1], v3, v7
	v_xor_b32_e32 v5, 4, v6
	v_xor_b32_e32 v8, 2, v6
	v_cndmask_b32_e64 v3, v6, v3, s[0:1]
	v_lshlrev_b32_e32 v3, 2, v3
	s_waitcnt lgkmcnt(0)
	ds_bpermute_b32 v4, v3, v1
	v_cmp_lt_i32_e64 s[0:1], v5, v7
	s_cmp_lg_u64 s[12:13], 0
	s_mov_b32 s3, 0
	s_cselect_b64 s[6:7], -1, 0
	s_waitcnt lgkmcnt(0)
	v_add_f32_e32 v1, v1, v4
	v_cndmask_b32_e64 v4, v6, v5, s[0:1]
	v_lshlrev_b32_e32 v4, 2, v4
	ds_bpermute_b32 v5, v4, v1
	v_cmp_lt_i32_e64 s[0:1], v8, v7
	s_waitcnt lgkmcnt(0)
	v_add_f32_e32 v1, v1, v5
	v_cndmask_b32_e64 v5, v6, v8, s[0:1]
	v_lshlrev_b32_e32 v5, 2, v5
	ds_bpermute_b32 v8, v5, v1
	v_cmp_eq_u32_e64 s[0:1], 0, v10
	s_waitcnt lgkmcnt(0)
	v_add_f32_e32 v1, v1, v8
	v_xor_b32_e32 v8, 1, v6
	v_cmp_lt_i32_e64 s[4:5], v8, v7
	s_nop 1
	v_cndmask_b32_e64 v6, v6, v8, s[4:5]
	v_lshlrev_b32_e32 v6, 2, v6
	ds_bpermute_b32 v7, v6, v1
	s_and_b64 s[4:5], s[0:1], s[6:7]
	s_lshl_b64 s[0:1], s[2:3], 7
	s_add_u32 s2, s12, s0
	s_addc_u32 s3, s13, s1
	s_waitcnt lgkmcnt(0)
	v_add_f32_e32 v7, v1, v7
	s_and_saveexec_b64 s[0:1], s[4:5]
	s_cbranch_execz .LBB171_16
; %bb.15:
	v_cvt_f16_f32_e32 v10, v7
	v_mov_b32_e32 v1, 0
	v_lshl_add_u64 v[8:9], v[0:1], 1, s[2:3]
	global_store_short v[8:9], v10, off
.LBB171_16:
	s_or_b64 exec, exec, s[0:1]
	v_cmp_gt_u32_e64 s[0:1], 48, v0
	s_and_b64 exec, exec, s[0:1]
	s_cbranch_execz .LBB171_31
; %bb.17:
	s_and_saveexec_b64 s[0:1], vcc
; %bb.18:
	v_lshlrev_b32_e32 v1, 2, v0
	v_lshlrev_b32_e32 v7, 2, v2
	v_add3_u32 v1, 0, v1, v7
	ds_read_b32 v7, v1 offset:64
; %bb.19:
	s_or_b64 exec, exec, s[0:1]
	s_waitcnt lgkmcnt(0)
	ds_bpermute_b32 v1, v3, v7
	s_waitcnt lgkmcnt(0)
	v_add_f32_e32 v1, v7, v1
	ds_bpermute_b32 v7, v4, v1
	s_waitcnt lgkmcnt(0)
	v_add_f32_e32 v1, v1, v7
	;; [unrolled: 3-line block ×4, first 2 shown]
	s_and_saveexec_b64 s[0:1], s[4:5]
	s_cbranch_execz .LBB171_21
; %bb.20:
	v_cvt_f16_f32_e32 v10, v7
	v_mov_b32_e32 v1, 0
	v_lshl_add_u64 v[8:9], v[0:1], 1, s[2:3]
	global_store_short v[8:9], v10, off offset:32
.LBB171_21:
	s_or_b64 exec, exec, s[0:1]
	v_cmp_gt_u32_e64 s[0:1], 32, v0
	s_and_b64 exec, exec, s[0:1]
	s_cbranch_execz .LBB171_31
; %bb.22:
	s_and_saveexec_b64 s[0:1], vcc
; %bb.23:
	v_lshlrev_b32_e32 v1, 2, v0
	v_lshlrev_b32_e32 v7, 2, v2
	v_add3_u32 v1, 0, v1, v7
	ds_read_b32 v7, v1 offset:128
; %bb.24:
	s_or_b64 exec, exec, s[0:1]
	s_waitcnt lgkmcnt(0)
	ds_bpermute_b32 v1, v3, v7
	s_waitcnt lgkmcnt(0)
	v_add_f32_e32 v1, v7, v1
	ds_bpermute_b32 v7, v4, v1
	s_waitcnt lgkmcnt(0)
	v_add_f32_e32 v1, v1, v7
	;; [unrolled: 3-line block ×4, first 2 shown]
	s_and_saveexec_b64 s[0:1], s[4:5]
	s_cbranch_execz .LBB171_26
; %bb.25:
	v_cvt_f16_f32_e32 v10, v7
	v_mov_b32_e32 v1, 0
	v_lshl_add_u64 v[8:9], v[0:1], 1, s[2:3]
	global_store_short v[8:9], v10, off offset:64
.LBB171_26:
	s_or_b64 exec, exec, s[0:1]
	v_cmp_gt_u32_e64 s[0:1], 16, v0
	s_and_b64 exec, exec, s[0:1]
	s_cbranch_execz .LBB171_31
; %bb.27:
	s_and_saveexec_b64 s[0:1], vcc
; %bb.28:
	v_lshlrev_b32_e32 v1, 2, v0
	v_lshlrev_b32_e32 v2, 2, v2
	v_add3_u32 v1, 0, v1, v2
	ds_read_b32 v7, v1 offset:192
; %bb.29:
	s_or_b64 exec, exec, s[0:1]
	s_waitcnt lgkmcnt(0)
	ds_bpermute_b32 v1, v3, v7
	s_waitcnt lgkmcnt(0)
	v_add_f32_e32 v1, v7, v1
	ds_bpermute_b32 v2, v4, v1
	s_waitcnt lgkmcnt(0)
	v_add_f32_e32 v1, v1, v2
	;; [unrolled: 3-line block ×3, first 2 shown]
	ds_bpermute_b32 v2, v6, v1
	s_and_saveexec_b64 s[0:1], s[4:5]
	s_xor_b64 s[0:1], exec, s[0:1]
	s_cbranch_execz .LBB171_31
; %bb.30:
	s_waitcnt lgkmcnt(0)
	v_add_f32_e32 v1, v1, v2
	v_cvt_f16_f32_e32 v2, v1
	v_mov_b32_e32 v1, 0
	v_lshl_add_u64 v[0:1], v[0:1], 1, s[2:3]
	global_store_short v[0:1], v2, off offset:96
.LBB171_31:
	s_endpgm
	.section	.rodata,"a",@progbits
	.p2align	6, 0x0
	.amdhsa_kernel _ZN2at6native12_GLOBAL__N_135GammaBetaBackwardCUDAKernelTemplateIN3c104HalfEfLj64ELj16ELj128ELb0ELb1ELb1EEEvllPKT_S7_PKT0_SA_PS5_SB_
		.amdhsa_group_segment_fixed_size 0
		.amdhsa_private_segment_fixed_size 0
		.amdhsa_kernarg_size 320
		.amdhsa_user_sgpr_count 2
		.amdhsa_user_sgpr_dispatch_ptr 0
		.amdhsa_user_sgpr_queue_ptr 0
		.amdhsa_user_sgpr_kernarg_segment_ptr 1
		.amdhsa_user_sgpr_dispatch_id 0
		.amdhsa_user_sgpr_kernarg_preload_length 0
		.amdhsa_user_sgpr_kernarg_preload_offset 0
		.amdhsa_user_sgpr_private_segment_size 0
		.amdhsa_uses_dynamic_stack 0
		.amdhsa_enable_private_segment 0
		.amdhsa_system_sgpr_workgroup_id_x 1
		.amdhsa_system_sgpr_workgroup_id_y 1
		.amdhsa_system_sgpr_workgroup_id_z 0
		.amdhsa_system_sgpr_workgroup_info 0
		.amdhsa_system_vgpr_workitem_id 1
		.amdhsa_next_free_vgpr 47
		.amdhsa_next_free_sgpr 26
		.amdhsa_accum_offset 48
		.amdhsa_reserve_vcc 1
		.amdhsa_float_round_mode_32 0
		.amdhsa_float_round_mode_16_64 0
		.amdhsa_float_denorm_mode_32 3
		.amdhsa_float_denorm_mode_16_64 3
		.amdhsa_dx10_clamp 1
		.amdhsa_ieee_mode 1
		.amdhsa_fp16_overflow 0
		.amdhsa_tg_split 0
		.amdhsa_exception_fp_ieee_invalid_op 0
		.amdhsa_exception_fp_denorm_src 0
		.amdhsa_exception_fp_ieee_div_zero 0
		.amdhsa_exception_fp_ieee_overflow 0
		.amdhsa_exception_fp_ieee_underflow 0
		.amdhsa_exception_fp_ieee_inexact 0
		.amdhsa_exception_int_div_zero 0
	.end_amdhsa_kernel
	.section	.text._ZN2at6native12_GLOBAL__N_135GammaBetaBackwardCUDAKernelTemplateIN3c104HalfEfLj64ELj16ELj128ELb0ELb1ELb1EEEvllPKT_S7_PKT0_SA_PS5_SB_,"axG",@progbits,_ZN2at6native12_GLOBAL__N_135GammaBetaBackwardCUDAKernelTemplateIN3c104HalfEfLj64ELj16ELj128ELb0ELb1ELb1EEEvllPKT_S7_PKT0_SA_PS5_SB_,comdat
.Lfunc_end171:
	.size	_ZN2at6native12_GLOBAL__N_135GammaBetaBackwardCUDAKernelTemplateIN3c104HalfEfLj64ELj16ELj128ELb0ELb1ELb1EEEvllPKT_S7_PKT0_SA_PS5_SB_, .Lfunc_end171-_ZN2at6native12_GLOBAL__N_135GammaBetaBackwardCUDAKernelTemplateIN3c104HalfEfLj64ELj16ELj128ELb0ELb1ELb1EEEvllPKT_S7_PKT0_SA_PS5_SB_
                                        ; -- End function
	.set _ZN2at6native12_GLOBAL__N_135GammaBetaBackwardCUDAKernelTemplateIN3c104HalfEfLj64ELj16ELj128ELb0ELb1ELb1EEEvllPKT_S7_PKT0_SA_PS5_SB_.num_vgpr, 47
	.set _ZN2at6native12_GLOBAL__N_135GammaBetaBackwardCUDAKernelTemplateIN3c104HalfEfLj64ELj16ELj128ELb0ELb1ELb1EEEvllPKT_S7_PKT0_SA_PS5_SB_.num_agpr, 0
	.set _ZN2at6native12_GLOBAL__N_135GammaBetaBackwardCUDAKernelTemplateIN3c104HalfEfLj64ELj16ELj128ELb0ELb1ELb1EEEvllPKT_S7_PKT0_SA_PS5_SB_.numbered_sgpr, 26
	.set _ZN2at6native12_GLOBAL__N_135GammaBetaBackwardCUDAKernelTemplateIN3c104HalfEfLj64ELj16ELj128ELb0ELb1ELb1EEEvllPKT_S7_PKT0_SA_PS5_SB_.num_named_barrier, 0
	.set _ZN2at6native12_GLOBAL__N_135GammaBetaBackwardCUDAKernelTemplateIN3c104HalfEfLj64ELj16ELj128ELb0ELb1ELb1EEEvllPKT_S7_PKT0_SA_PS5_SB_.private_seg_size, 0
	.set _ZN2at6native12_GLOBAL__N_135GammaBetaBackwardCUDAKernelTemplateIN3c104HalfEfLj64ELj16ELj128ELb0ELb1ELb1EEEvllPKT_S7_PKT0_SA_PS5_SB_.uses_vcc, 1
	.set _ZN2at6native12_GLOBAL__N_135GammaBetaBackwardCUDAKernelTemplateIN3c104HalfEfLj64ELj16ELj128ELb0ELb1ELb1EEEvllPKT_S7_PKT0_SA_PS5_SB_.uses_flat_scratch, 0
	.set _ZN2at6native12_GLOBAL__N_135GammaBetaBackwardCUDAKernelTemplateIN3c104HalfEfLj64ELj16ELj128ELb0ELb1ELb1EEEvllPKT_S7_PKT0_SA_PS5_SB_.has_dyn_sized_stack, 0
	.set _ZN2at6native12_GLOBAL__N_135GammaBetaBackwardCUDAKernelTemplateIN3c104HalfEfLj64ELj16ELj128ELb0ELb1ELb1EEEvllPKT_S7_PKT0_SA_PS5_SB_.has_recursion, 0
	.set _ZN2at6native12_GLOBAL__N_135GammaBetaBackwardCUDAKernelTemplateIN3c104HalfEfLj64ELj16ELj128ELb0ELb1ELb1EEEvllPKT_S7_PKT0_SA_PS5_SB_.has_indirect_call, 0
	.section	.AMDGPU.csdata,"",@progbits
; Kernel info:
; codeLenInByte = 1844
; TotalNumSgprs: 32
; NumVgprs: 47
; NumAgprs: 0
; TotalNumVgprs: 47
; ScratchSize: 0
; MemoryBound: 0
; FloatMode: 240
; IeeeMode: 1
; LDSByteSize: 0 bytes/workgroup (compile time only)
; SGPRBlocks: 3
; VGPRBlocks: 5
; NumSGPRsForWavesPerEU: 32
; NumVGPRsForWavesPerEU: 47
; AccumOffset: 48
; Occupancy: 8
; WaveLimiterHint : 0
; COMPUTE_PGM_RSRC2:SCRATCH_EN: 0
; COMPUTE_PGM_RSRC2:USER_SGPR: 2
; COMPUTE_PGM_RSRC2:TRAP_HANDLER: 0
; COMPUTE_PGM_RSRC2:TGID_X_EN: 1
; COMPUTE_PGM_RSRC2:TGID_Y_EN: 1
; COMPUTE_PGM_RSRC2:TGID_Z_EN: 0
; COMPUTE_PGM_RSRC2:TIDIG_COMP_CNT: 1
; COMPUTE_PGM_RSRC3_GFX90A:ACCUM_OFFSET: 11
; COMPUTE_PGM_RSRC3_GFX90A:TG_SPLIT: 0
	.section	.text._ZN2at6native12_GLOBAL__N_135GammaBetaBackwardCUDAKernelTemplateIN3c104HalfEfLj64ELj16ELj128ELb0ELb0ELb1EEEvllPKT_S7_PKT0_SA_PS5_SB_,"axG",@progbits,_ZN2at6native12_GLOBAL__N_135GammaBetaBackwardCUDAKernelTemplateIN3c104HalfEfLj64ELj16ELj128ELb0ELb0ELb1EEEvllPKT_S7_PKT0_SA_PS5_SB_,comdat
	.globl	_ZN2at6native12_GLOBAL__N_135GammaBetaBackwardCUDAKernelTemplateIN3c104HalfEfLj64ELj16ELj128ELb0ELb0ELb1EEEvllPKT_S7_PKT0_SA_PS5_SB_ ; -- Begin function _ZN2at6native12_GLOBAL__N_135GammaBetaBackwardCUDAKernelTemplateIN3c104HalfEfLj64ELj16ELj128ELb0ELb0ELb1EEEvllPKT_S7_PKT0_SA_PS5_SB_
	.p2align	8
	.type	_ZN2at6native12_GLOBAL__N_135GammaBetaBackwardCUDAKernelTemplateIN3c104HalfEfLj64ELj16ELj128ELb0ELb0ELb1EEEvllPKT_S7_PKT0_SA_PS5_SB_,@function
_ZN2at6native12_GLOBAL__N_135GammaBetaBackwardCUDAKernelTemplateIN3c104HalfEfLj64ELj16ELj128ELb0ELb0ELb1EEEvllPKT_S7_PKT0_SA_PS5_SB_: ; @_ZN2at6native12_GLOBAL__N_135GammaBetaBackwardCUDAKernelTemplateIN3c104HalfEfLj64ELj16ELj128ELb0ELb0ELb1EEEvllPKT_S7_PKT0_SA_PS5_SB_
; %bb.0:
	s_load_dwordx8 s[8:15], s[0:1], 0x0
	s_load_dwordx2 s[16:17], s[0:1], 0x28
	s_lshl_b32 s33, s2, 6
	s_mov_b32 s19, 0
	s_lshl_b32 s18, s3, 7
	s_or_b32 s4, s33, 63
	v_mov_b64_e32 v[4:5], s[18:19]
	v_mov_b32_e32 v2, s4
	v_mov_b32_e32 v3, 0
	s_waitcnt lgkmcnt(0)
	v_cmp_gt_i64_e64 s[4:5], s[8:9], v[4:5]
	v_cmp_le_i64_e32 vcc, s[10:11], v[2:3]
	s_nop 0
	v_cndmask_b32_e64 v1, 0, 1, s[4:5]
	v_cmp_ne_u32_e64 s[4:5], 1, v1
	s_cbranch_vccz .LBB172_49
; %bb.1:
	s_and_b64 vcc, exec, s[4:5]
	s_cbranch_vccnz .LBB172_50
; %bb.2:
	v_and_b32_e32 v1, 0x3ff, v0
	v_mov_b32_e32 v2, 0
	v_bfe_u32 v58, v0, 10, 10
	v_add_u32_e32 v4, s33, v1
	v_mov_b32_e32 v5, v2
	v_lshlrev_b32_e32 v20, 3, v58
	v_mov_b32_e32 v21, v2
	v_cmp_gt_i64_e64 s[6:7], s[10:11], v[4:5]
	v_lshlrev_b64 v[22:23], 1, v[4:5]
	v_lshl_add_u64 v[4:5], v[20:21], 0, s[18:19]
	v_mul_lo_u32 v3, s11, v4
	v_mul_lo_u32 v8, s10, v5
	v_mad_u64_u32 v[6:7], s[22:23], s10, v4, 0
	v_add3_u32 v7, v7, v8, v3
	v_lshlrev_b64 v[6:7], 1, v[6:7]
	v_lshl_add_u64 v[24:25], s[12:13], 0, v[6:7]
	v_lshl_add_u64 v[26:27], s[14:15], 0, v[6:7]
	v_lshl_add_u64 v[6:7], v[4:5], 0, 7
	v_mul_lo_u32 v9, s11, v6
	v_mul_lo_u32 v10, s10, v7
	v_mad_u64_u32 v[6:7], s[24:25], s10, v6, 0
	v_add3_u32 v7, v7, v10, v9
	v_lshlrev_b64 v[6:7], 1, v[6:7]
	v_lshl_add_u64 v[28:29], s[12:13], 0, v[6:7]
	v_lshl_add_u64 v[30:31], s[14:15], 0, v[6:7]
	;; [unrolled: 8-line block ×5, first 2 shown]
	v_lshl_add_u64 v[6:7], v[4:5], 0, 3
	v_mul_lo_u32 v9, s11, v6
	v_mul_lo_u32 v10, s10, v7
	v_mad_u64_u32 v[6:7], s[24:25], s10, v6, 0
	v_add3_u32 v7, v7, v10, v9
	s_load_dword s3, s[0:1], 0x44
	v_lshlrev_b64 v[6:7], 1, v[6:7]
	v_lshl_add_u64 v[44:45], s[12:13], 0, v[6:7]
	v_lshl_add_u64 v[46:47], s[14:15], 0, v[6:7]
	;; [unrolled: 1-line block ×3, first 2 shown]
	v_mul_lo_u32 v5, s11, v6
	v_mul_lo_u32 v9, s10, v7
	v_mad_u64_u32 v[6:7], s[24:25], s10, v6, 0
	v_add3_u32 v7, v7, v9, v5
	s_add_u32 s20, s0, 64
	v_lshlrev_b64 v[6:7], 1, v[6:7]
	s_addc_u32 s21, s1, 0
	s_waitcnt lgkmcnt(0)
	s_lshl_b32 s3, s3, 7
	v_lshl_add_u64 v[48:49], s[12:13], 0, v[6:7]
	v_lshl_add_u64 v[50:51], s[14:15], 0, v[6:7]
	v_mov_b64_e32 v[6:7], s[10:11]
	s_mul_i32 s22, s11, s3
	s_mul_hi_u32 s23, s10, s3
	v_mad_u64_u32 v[4:5], s[24:25], s10, v4, v[6:7]
	s_add_i32 s23, s23, s22
	s_mul_i32 s22, s10, s3
	v_add3_u32 v5, v3, v5, v8
	v_mbcnt_lo_u32_b32 v3, -1, 0
	s_lshl_b64 s[22:23], s[22:23], 1
	v_mbcnt_hi_u32_b32 v3, -1, v3
	v_lshlrev_b64 v[4:5], 1, v[4:5]
	s_add_u32 s24, s18, 0x7f
	s_movk_i32 s26, 0xff81
	s_movk_i32 s28, 0xff82
	;; [unrolled: 1-line block ×8, first 2 shown]
	v_lshlrev_b32_e32 v3, 2, v3
	v_lshl_add_u64 v[52:53], s[12:13], 0, v[4:5]
	v_lshl_add_u64 v[54:55], s[14:15], 0, v[4:5]
	s_addc_u32 s25, 0, 0
	s_mov_b32 s27, -1
	s_mov_b32 s29, -1
	;; [unrolled: 1-line block ×8, first 2 shown]
	v_and_b32_e32 v59, 0x100, v3
	s_mov_b64 s[44:45], s[18:19]
	v_mov_b32_e32 v60, 0
.LBB172_3:                              ; =>This Inner Loop Header: Depth=1
	v_mov_b64_e32 v[4:5], s[8:9]
	v_cmp_ge_i64_e32 vcc, s[24:25], v[4:5]
	v_lshl_add_u64 v[56:57], v[20:21], 0, s[24:25]
	s_mov_b64 s[46:47], -1
	s_and_b64 vcc, exec, vcc
                                        ; implicit-def: $vgpr4_vgpr5_vgpr6_vgpr7_vgpr8_vgpr9_vgpr10_vgpr11
                                        ; implicit-def: $vgpr3
                                        ; implicit-def: $vgpr12_vgpr13_vgpr14_vgpr15_vgpr16_vgpr17_vgpr18_vgpr19
                                        ; implicit-def: $vgpr4
	s_cbranch_vccz .LBB172_25
; %bb.4:                                ;   in Loop: Header=BB172_3 Depth=1
	s_load_dword s46, s[20:21], 0xc
	v_mov_b32_e32 v61, 0
	s_waitcnt lgkmcnt(0)
	s_and_b32 s46, s46, 0xffff
	v_mad_u32_u24 v3, v58, s46, v1
	v_and_b32_e32 v4, 63, v3
	v_cmp_gt_u32_e32 vcc, 8, v4
	s_and_saveexec_b64 s[46:47], vcc
	s_cbranch_execz .LBB172_8
; %bb.5:                                ;   in Loop: Header=BB172_3 Depth=1
	v_mov_b32_e32 v5, v2
	v_lshl_add_u64 v[4:5], v[56:57], 0, v[4:5]
	v_lshl_add_u64 v[4:5], v[4:5], 0, s[26:27]
	v_cmp_gt_i64_e32 vcc, s[8:9], v[4:5]
	v_mov_b32_e32 v61, 0
	s_and_saveexec_b64 s[48:49], vcc
	s_cbranch_execz .LBB172_7
; %bb.6:                                ;   in Loop: Header=BB172_3 Depth=1
	v_lshl_add_u64 v[4:5], v[4:5], 2, s[16:17]
	global_load_dword v61, v[4:5], off
.LBB172_7:                              ;   in Loop: Header=BB172_3 Depth=1
	s_or_b64 exec, exec, s[48:49]
.LBB172_8:                              ;   in Loop: Header=BB172_3 Depth=1
	s_or_b64 exec, exec, s[46:47]
	v_lshl_add_u64 v[4:5], v[56:57], 0, s[26:27]
	v_mov_b32_e32 v8, v2
	v_mov_b32_e32 v9, v2
	v_cmp_gt_i64_e32 vcc, s[8:9], v[4:5]
	v_mov_b32_e32 v3, v2
	v_mov_b32_e32 v4, v2
	;; [unrolled: 1-line block ×5, first 2 shown]
	v_mov_b64_e32 v[18:19], v[8:9]
	v_mov_b64_e32 v[16:17], v[6:7]
	;; [unrolled: 1-line block ×5, first 2 shown]
	s_and_b64 s[48:49], s[6:7], vcc
	v_mov_b64_e32 v[8:9], v[6:7]
	v_mov_b64_e32 v[6:7], v[4:5]
	;; [unrolled: 1-line block ×3, first 2 shown]
	s_and_saveexec_b64 s[46:47], s[48:49]
	s_cbranch_execz .LBB172_10
; %bb.9:                                ;   in Loop: Header=BB172_3 Depth=1
	v_lshl_add_u64 v[4:5], v[24:25], 0, v[22:23]
	global_load_ushort v3, v[4:5], off
	v_lshl_add_u64 v[4:5], v[26:27], 0, v[22:23]
	global_load_ushort v12, v[4:5], off
	v_mov_b32_e32 v5, v2
	v_mov_b32_e32 v6, v2
	;; [unrolled: 1-line block ×14, first 2 shown]
	s_waitcnt vmcnt(1)
	v_cvt_f32_f16_e32 v4, v3
	s_waitcnt vmcnt(0)
	v_cvt_f32_f16_e32 v12, v12
.LBB172_10:                             ;   in Loop: Header=BB172_3 Depth=1
	s_or_b64 exec, exec, s[46:47]
	v_lshl_add_u64 v[62:63], v[56:57], 0, s[28:29]
	v_cmp_gt_i64_e32 vcc, s[8:9], v[62:63]
	s_and_b64 s[48:49], s[6:7], vcc
	s_and_saveexec_b64 s[46:47], s[48:49]
	s_cbranch_execz .LBB172_12
; %bb.11:                               ;   in Loop: Header=BB172_3 Depth=1
	v_lshl_add_u64 v[62:63], v[52:53], 0, v[22:23]
	global_load_ushort v3, v[62:63], off
	v_lshl_add_u64 v[62:63], v[54:55], 0, v[22:23]
	global_load_ushort v13, v[62:63], off
	s_waitcnt vmcnt(1)
	v_cvt_f32_f16_e32 v5, v3
	s_waitcnt vmcnt(0)
	v_cvt_f32_f16_e32 v13, v13
.LBB172_12:                             ;   in Loop: Header=BB172_3 Depth=1
	s_or_b64 exec, exec, s[46:47]
	v_lshl_add_u64 v[62:63], v[56:57], 0, s[30:31]
	v_cmp_gt_i64_e32 vcc, s[8:9], v[62:63]
	s_and_b64 s[48:49], s[6:7], vcc
	s_and_saveexec_b64 s[46:47], s[48:49]
	s_cbranch_execz .LBB172_14
; %bb.13:                               ;   in Loop: Header=BB172_3 Depth=1
	v_lshl_add_u64 v[62:63], v[48:49], 0, v[22:23]
	global_load_ushort v3, v[62:63], off
	v_lshl_add_u64 v[62:63], v[50:51], 0, v[22:23]
	global_load_ushort v14, v[62:63], off
	s_waitcnt vmcnt(1)
	v_cvt_f32_f16_e32 v6, v3
	s_waitcnt vmcnt(0)
	v_cvt_f32_f16_e32 v14, v14
.LBB172_14:                             ;   in Loop: Header=BB172_3 Depth=1
	;; [unrolled: 16-line block ×7, first 2 shown]
	s_or_b64 exec, exec, s[46:47]
	s_waitcnt vmcnt(0)
	ds_bpermute_b32 v3, v59, v61
	ds_bpermute_b32 v62, v59, v61 offset:4
	ds_bpermute_b32 v63, v59, v61 offset:8
	v_mul_f32_e32 v4, v12, v4
	v_pk_mul_f32 v[8:9], v[16:17], v[8:9]
	s_waitcnt lgkmcnt(2)
	v_fma_f32 v16, v4, v3, v60
	v_pk_mul_f32 v[6:7], v[14:15], v[6:7]
	v_mul_f32_e32 v3, v13, v5
	ds_bpermute_b32 v14, v59, v61 offset:12
	ds_bpermute_b32 v15, v59, v61 offset:16
	v_pk_mov_b32 v[12:13], v[2:3], v[6:7] op_sel:[1,0]
	v_pk_mov_b32 v[6:7], v[6:7], v[8:9] op_sel:[1,0]
	s_waitcnt lgkmcnt(2)
	v_pk_mul_f32 v[12:13], v[12:13], v[62:63]
	v_mul_f32_e32 v4, v18, v10
	v_add_f32_e32 v3, v16, v12
	v_add_f32_e32 v3, v3, v13
	ds_bpermute_b32 v12, v59, v61 offset:20
	ds_bpermute_b32 v13, v59, v61 offset:24
	s_waitcnt lgkmcnt(2)
	v_pk_mul_f32 v[6:7], v[6:7], v[14:15]
	s_mov_b64 s[46:47], 0
	v_add_f32_e32 v3, v3, v6
	v_add_f32_e32 v3, v3, v7
	v_pk_mov_b32 v[6:7], v[8:9], v[4:5] op_sel:[1,0]
	ds_bpermute_b32 v4, v59, v61 offset:28
	s_waitcnt lgkmcnt(1)
	v_pk_mul_f32 v[6:7], v[6:7], v[12:13]
	s_nop 0
	v_add_f32_e32 v3, v3, v6
	v_add_f32_e32 v3, v3, v7
.LBB172_25:                             ;   in Loop: Header=BB172_3 Depth=1
	s_and_b64 vcc, exec, s[46:47]
	s_cbranch_vccz .LBB172_40
; %bb.26:                               ;   in Loop: Header=BB172_3 Depth=1
	s_load_dword s46, s[20:21], 0x0
	v_mov_b32_e32 v61, 0
	s_waitcnt lgkmcnt(0)
	s_cmp_lt_u32 s2, s46
	s_cselect_b32 s46, 12, 18
	s_add_u32 s46, s20, s46
	s_addc_u32 s47, s21, 0
	global_load_ushort v3, v2, s[46:47]
	s_waitcnt vmcnt(0)
	v_mad_u32_u24 v3, v58, v3, v1
	v_and_b32_e32 v4, 63, v3
	v_cmp_gt_u32_e32 vcc, 8, v4
	s_and_saveexec_b64 s[46:47], vcc
	s_cbranch_execz .LBB172_30
; %bb.27:                               ;   in Loop: Header=BB172_3 Depth=1
	v_mov_b32_e32 v5, v2
	v_lshl_add_u64 v[4:5], v[56:57], 0, v[4:5]
	v_lshl_add_u64 v[4:5], v[4:5], 0, s[26:27]
	v_cmp_gt_i64_e32 vcc, s[8:9], v[4:5]
	v_mov_b32_e32 v61, 0
	s_and_saveexec_b64 s[48:49], vcc
	s_cbranch_execz .LBB172_29
; %bb.28:                               ;   in Loop: Header=BB172_3 Depth=1
	v_lshl_add_u64 v[4:5], v[4:5], 2, s[16:17]
	global_load_dword v61, v[4:5], off
.LBB172_29:                             ;   in Loop: Header=BB172_3 Depth=1
	s_or_b64 exec, exec, s[48:49]
.LBB172_30:                             ;   in Loop: Header=BB172_3 Depth=1
	s_or_b64 exec, exec, s[46:47]
	v_mov_b32_e32 v8, v2
	v_mov_b32_e32 v9, v2
	;; [unrolled: 1-line block ×7, first 2 shown]
	v_mov_b64_e32 v[18:19], v[8:9]
	v_mov_b64_e32 v[16:17], v[6:7]
	;; [unrolled: 1-line block ×8, first 2 shown]
	s_and_saveexec_b64 s[46:47], s[6:7]
	s_cbranch_execnz .LBB172_42
; %bb.31:                               ;   in Loop: Header=BB172_3 Depth=1
	s_or_b64 exec, exec, s[46:47]
	s_and_saveexec_b64 s[46:47], s[6:7]
	s_cbranch_execnz .LBB172_43
.LBB172_32:                             ;   in Loop: Header=BB172_3 Depth=1
	s_or_b64 exec, exec, s[46:47]
	s_and_saveexec_b64 s[46:47], s[6:7]
	s_cbranch_execnz .LBB172_44
.LBB172_33:                             ;   in Loop: Header=BB172_3 Depth=1
	s_or_b64 exec, exec, s[46:47]
	s_and_saveexec_b64 s[46:47], s[6:7]
	s_cbranch_execnz .LBB172_45
.LBB172_34:                             ;   in Loop: Header=BB172_3 Depth=1
	s_or_b64 exec, exec, s[46:47]
	s_and_saveexec_b64 s[46:47], s[6:7]
	s_cbranch_execnz .LBB172_46
.LBB172_35:                             ;   in Loop: Header=BB172_3 Depth=1
	s_or_b64 exec, exec, s[46:47]
	s_and_saveexec_b64 s[46:47], s[6:7]
	s_cbranch_execnz .LBB172_47
.LBB172_36:                             ;   in Loop: Header=BB172_3 Depth=1
	s_or_b64 exec, exec, s[46:47]
	s_and_saveexec_b64 s[46:47], s[6:7]
	s_cbranch_execnz .LBB172_48
.LBB172_37:                             ;   in Loop: Header=BB172_3 Depth=1
	s_or_b64 exec, exec, s[46:47]
	s_and_saveexec_b64 s[46:47], s[6:7]
	s_cbranch_execz .LBB172_39
.LBB172_38:                             ;   in Loop: Header=BB172_3 Depth=1
	v_lshl_add_u64 v[56:57], v[28:29], 0, v[22:23]
	global_load_ushort v3, v[56:57], off
	v_lshl_add_u64 v[56:57], v[30:31], 0, v[22:23]
	global_load_ushort v19, v[56:57], off
	s_waitcnt vmcnt(1)
	v_cvt_f32_f16_e32 v11, v3
	s_waitcnt vmcnt(0)
	v_cvt_f32_f16_e32 v19, v19
.LBB172_39:                             ;   in Loop: Header=BB172_3 Depth=1
	s_or_b64 exec, exec, s[46:47]
	s_waitcnt vmcnt(0)
	ds_bpermute_b32 v3, v59, v61
	ds_bpermute_b32 v56, v59, v61 offset:4
	ds_bpermute_b32 v57, v59, v61 offset:8
	v_mul_f32_e32 v4, v12, v4
	v_pk_mul_f32 v[6:7], v[14:15], v[6:7]
	s_waitcnt lgkmcnt(2)
	v_fmac_f32_e32 v60, v4, v3
	v_mul_f32_e32 v3, v13, v5
	v_pk_mov_b32 v[4:5], v[2:3], v[6:7] op_sel:[1,0]
	ds_bpermute_b32 v12, v59, v61 offset:12
	ds_bpermute_b32 v13, v59, v61 offset:16
	s_waitcnt lgkmcnt(2)
	v_pk_mul_f32 v[4:5], v[4:5], v[56:57]
	v_pk_mul_f32 v[8:9], v[16:17], v[8:9]
	v_add_f32_e32 v3, v60, v4
	v_add_f32_e32 v3, v3, v5
	v_pk_mov_b32 v[4:5], v[6:7], v[8:9] op_sel:[1,0]
	ds_bpermute_b32 v6, v59, v61 offset:20
	ds_bpermute_b32 v7, v59, v61 offset:24
	s_waitcnt lgkmcnt(2)
	v_pk_mul_f32 v[4:5], v[4:5], v[12:13]
	v_mul_f32_e32 v10, v18, v10
	v_add_f32_e32 v3, v3, v4
	ds_bpermute_b32 v4, v59, v61 offset:28
	v_pk_mov_b32 v[8:9], v[8:9], v[10:11] op_sel:[1,0]
	v_add_f32_e32 v3, v3, v5
	s_waitcnt lgkmcnt(1)
	v_pk_mul_f32 v[6:7], v[8:9], v[6:7]
	s_nop 0
	v_add_f32_e32 v3, v3, v6
	v_add_f32_e32 v3, v3, v7
.LBB172_40:                             ;   in Loop: Header=BB172_3 Depth=1
	v_mul_f32_e32 v5, v11, v19
	s_add_u32 s44, s44, s3
	s_waitcnt lgkmcnt(0)
	v_fmac_f32_e32 v3, v5, v4
	s_addc_u32 s45, s45, 0
	v_mov_b64_e32 v[4:5], s[8:9]
	s_add_u32 s24, s24, s3
	v_cmp_lt_i64_e32 vcc, s[44:45], v[4:5]
	v_lshl_add_u64 v[24:25], v[24:25], 0, s[22:23]
	v_lshl_add_u64 v[26:27], v[26:27], 0, s[22:23]
	;; [unrolled: 1-line block ×16, first 2 shown]
	s_addc_u32 s25, s25, 0
	s_cbranch_vccz .LBB172_50
; %bb.41:                               ;   in Loop: Header=BB172_3 Depth=1
	v_mov_b32_e32 v60, v3
	s_branch .LBB172_3
.LBB172_42:                             ;   in Loop: Header=BB172_3 Depth=1
	v_lshl_add_u64 v[4:5], v[24:25], 0, v[22:23]
	global_load_ushort v3, v[4:5], off
	v_lshl_add_u64 v[4:5], v[26:27], 0, v[22:23]
	global_load_ushort v12, v[4:5], off
	v_mov_b32_e32 v5, v2
	v_mov_b32_e32 v6, v2
	;; [unrolled: 1-line block ×14, first 2 shown]
	s_waitcnt vmcnt(1)
	v_cvt_f32_f16_e32 v4, v3
	s_waitcnt vmcnt(0)
	v_cvt_f32_f16_e32 v12, v12
	s_or_b64 exec, exec, s[46:47]
	s_and_saveexec_b64 s[46:47], s[6:7]
	s_cbranch_execz .LBB172_32
.LBB172_43:                             ;   in Loop: Header=BB172_3 Depth=1
	v_lshl_add_u64 v[56:57], v[52:53], 0, v[22:23]
	global_load_ushort v3, v[56:57], off
	v_lshl_add_u64 v[56:57], v[54:55], 0, v[22:23]
	global_load_ushort v13, v[56:57], off
	s_waitcnt vmcnt(1)
	v_cvt_f32_f16_e32 v5, v3
	s_waitcnt vmcnt(0)
	v_cvt_f32_f16_e32 v13, v13
	s_or_b64 exec, exec, s[46:47]
	s_and_saveexec_b64 s[46:47], s[6:7]
	s_cbranch_execz .LBB172_33
.LBB172_44:                             ;   in Loop: Header=BB172_3 Depth=1
	v_lshl_add_u64 v[56:57], v[48:49], 0, v[22:23]
	global_load_ushort v3, v[56:57], off
	v_lshl_add_u64 v[56:57], v[50:51], 0, v[22:23]
	global_load_ushort v14, v[56:57], off
	s_waitcnt vmcnt(1)
	v_cvt_f32_f16_e32 v6, v3
	s_waitcnt vmcnt(0)
	v_cvt_f32_f16_e32 v14, v14
	s_or_b64 exec, exec, s[46:47]
	s_and_saveexec_b64 s[46:47], s[6:7]
	s_cbranch_execz .LBB172_34
.LBB172_45:                             ;   in Loop: Header=BB172_3 Depth=1
	v_lshl_add_u64 v[56:57], v[44:45], 0, v[22:23]
	global_load_ushort v3, v[56:57], off
	v_lshl_add_u64 v[56:57], v[46:47], 0, v[22:23]
	global_load_ushort v15, v[56:57], off
	s_waitcnt vmcnt(1)
	v_cvt_f32_f16_e32 v7, v3
	s_waitcnt vmcnt(0)
	v_cvt_f32_f16_e32 v15, v15
	s_or_b64 exec, exec, s[46:47]
	s_and_saveexec_b64 s[46:47], s[6:7]
	s_cbranch_execz .LBB172_35
.LBB172_46:                             ;   in Loop: Header=BB172_3 Depth=1
	v_lshl_add_u64 v[56:57], v[40:41], 0, v[22:23]
	global_load_ushort v3, v[56:57], off
	v_lshl_add_u64 v[56:57], v[42:43], 0, v[22:23]
	global_load_ushort v16, v[56:57], off
	s_waitcnt vmcnt(1)
	v_cvt_f32_f16_e32 v8, v3
	s_waitcnt vmcnt(0)
	v_cvt_f32_f16_e32 v16, v16
	s_or_b64 exec, exec, s[46:47]
	s_and_saveexec_b64 s[46:47], s[6:7]
	s_cbranch_execz .LBB172_36
.LBB172_47:                             ;   in Loop: Header=BB172_3 Depth=1
	v_lshl_add_u64 v[56:57], v[36:37], 0, v[22:23]
	global_load_ushort v3, v[56:57], off
	v_lshl_add_u64 v[56:57], v[38:39], 0, v[22:23]
	global_load_ushort v17, v[56:57], off
	s_waitcnt vmcnt(1)
	v_cvt_f32_f16_e32 v9, v3
	s_waitcnt vmcnt(0)
	v_cvt_f32_f16_e32 v17, v17
	s_or_b64 exec, exec, s[46:47]
	s_and_saveexec_b64 s[46:47], s[6:7]
	s_cbranch_execz .LBB172_37
.LBB172_48:                             ;   in Loop: Header=BB172_3 Depth=1
	v_lshl_add_u64 v[56:57], v[32:33], 0, v[22:23]
	global_load_ushort v3, v[56:57], off
	v_lshl_add_u64 v[56:57], v[34:35], 0, v[22:23]
	global_load_ushort v18, v[56:57], off
	s_waitcnt vmcnt(1)
	v_cvt_f32_f16_e32 v10, v3
	s_waitcnt vmcnt(0)
	v_cvt_f32_f16_e32 v18, v18
	s_or_b64 exec, exec, s[46:47]
	s_and_saveexec_b64 s[46:47], s[6:7]
	s_cbranch_execnz .LBB172_38
	s_branch .LBB172_39
.LBB172_49:
                                        ; implicit-def: $vgpr3
	s_branch .LBB172_51
.LBB172_50:
	s_cbranch_execnz .LBB172_83
.LBB172_51:
	s_and_b64 vcc, exec, s[4:5]
	v_mov_b32_e32 v3, 0
	s_cbranch_vccnz .LBB172_83
; %bb.52:
	v_mov_b32_e32 v2, 0
	v_bfe_u32 v86, v0, 10, 10
	v_lshlrev_b32_e32 v6, 4, v86
	v_mov_b32_e32 v7, v2
	v_lshl_add_u64 v[6:7], s[18:19], 1, v[6:7]
	v_lshl_add_u64 v[8:9], v[6:7], 0, 2
	v_mov_b64_e32 v[10:11], s[12:13]
	v_lshl_add_u64 v[12:13], v[6:7], 0, 4
	v_lshl_add_u64 v[14:15], v[6:7], 0, 6
	;; [unrolled: 1-line block ×6, first 2 shown]
	v_mad_u64_u32 v[22:23], s[4:5], s10, v8, v[10:11]
	v_mad_u64_u32 v[24:25], s[4:5], s10, v12, v[10:11]
	;; [unrolled: 1-line block ×7, first 2 shown]
	v_mov_b64_e32 v[10:11], s[14:15]
	v_mul_lo_u32 v9, s10, v9
	v_mul_lo_u32 v38, s11, v8
	v_mad_u64_u32 v[36:37], s[4:5], s10, v8, v[10:11]
	v_add3_u32 v23, v38, v23, v9
	v_mul_lo_u32 v13, s10, v13
	v_mul_lo_u32 v40, s11, v12
	v_add3_u32 v37, v38, v37, v9
	v_mad_u64_u32 v[38:39], s[4:5], s10, v12, v[10:11]
	v_add3_u32 v25, v40, v25, v13
	v_mul_lo_u32 v15, s10, v15
	v_mul_lo_u32 v42, s11, v14
	v_add3_u32 v39, v40, v39, v13
	;; [unrolled: 5-line block ×3, first 2 shown]
	v_mad_u64_u32 v[42:43], s[4:5], s10, v16, v[10:11]
	v_lshlrev_b32_e32 v20, 3, v86
	v_mov_b32_e32 v21, v2
	v_add3_u32 v29, v44, v29, v17
	v_mul_lo_u32 v19, s10, v19
	v_mul_lo_u32 v48, s11, v18
	;; [unrolled: 1-line block ×4, first 2 shown]
	v_add3_u32 v43, v44, v43, v17
	v_mad_u64_u32 v[44:45], s[4:5], s10, v18, v[10:11]
	v_mad_u64_u32 v[46:47], s[4:5], s10, v46, v[10:11]
	v_lshl_add_u64 v[4:5], v[20:21], 0, s[18:19]
	v_add3_u32 v31, v48, v31, v19
	v_add3_u32 v33, v51, v33, v49
	v_mul_lo_u32 v7, s10, v7
	v_mul_lo_u32 v8, s11, v6
	v_add3_u32 v45, v48, v45, v19
	v_add3_u32 v47, v51, v47, v49
	v_mad_u64_u32 v[48:49], s[4:5], s10, v6, v[10:11]
	v_add3_u32 v35, v8, v35, v7
	v_add3_u32 v49, v8, v49, v7
	v_lshl_add_u64 v[6:7], v[4:5], 0, 7
	v_mul_lo_u32 v8, s11, v6
	v_mul_lo_u32 v9, s10, v7
	v_mad_u64_u32 v[6:7], s[4:5], s10, v6, 0
	v_add3_u32 v7, v7, v9, v8
	v_lshl_add_u64 v[8:9], v[4:5], 0, 6
	v_mul_lo_u32 v10, s11, v8
	v_mul_lo_u32 v11, s10, v9
	v_mad_u64_u32 v[8:9], s[4:5], s10, v8, 0
	;; [unrolled: 5-line block ×5, first 2 shown]
	v_add3_u32 v15, v15, v17, v16
	v_lshl_add_u64 v[16:17], v[4:5], 0, 2
	v_mul_lo_u32 v50, s10, v5
	v_mul_lo_u32 v5, s11, v16
	v_mul_lo_u32 v18, s10, v17
	v_mad_u64_u32 v[16:17], s[4:5], s10, v16, 0
	v_add3_u32 v17, v17, v18, v5
	v_mov_b64_e32 v[18:19], s[10:11]
	v_mul_lo_u32 v3, s11, v4
	v_mad_u64_u32 v[18:19], s[4:5], s10, v4, v[18:19]
	v_mad_u64_u32 v[4:5], s[4:5], s10, v4, 0
	s_load_dword s3, s[0:1], 0x44
	v_add3_u32 v5, v5, v50, v3
	v_lshlrev_b64 v[4:5], 1, v[4:5]
	v_lshl_add_u64 v[52:53], s[12:13], 0, v[4:5]
	v_lshl_add_u64 v[54:55], s[14:15], 0, v[4:5]
	v_lshlrev_b64 v[4:5], 1, v[6:7]
	v_lshl_add_u64 v[56:57], s[12:13], 0, v[4:5]
	v_lshl_add_u64 v[58:59], s[14:15], 0, v[4:5]
	v_lshlrev_b64 v[4:5], 1, v[8:9]
	s_add_u32 s4, s0, 64
	v_lshl_add_u64 v[60:61], s[12:13], 0, v[4:5]
	v_lshl_add_u64 v[62:63], s[14:15], 0, v[4:5]
	v_lshlrev_b64 v[4:5], 1, v[10:11]
	s_addc_u32 s5, s1, 0
	s_waitcnt lgkmcnt(0)
	s_lshl_b32 s3, s3, 7
	v_lshl_add_u64 v[64:65], s[12:13], 0, v[4:5]
	v_lshl_add_u64 v[66:67], s[14:15], 0, v[4:5]
	v_lshlrev_b64 v[4:5], 1, v[12:13]
	s_mul_i32 s6, s11, s3
	s_mul_hi_u32 s7, s10, s3
	v_lshl_add_u64 v[68:69], s[12:13], 0, v[4:5]
	v_lshl_add_u64 v[70:71], s[14:15], 0, v[4:5]
	v_lshlrev_b64 v[4:5], 1, v[14:15]
	v_add3_u32 v19, v3, v19, v50
	s_add_i32 s7, s7, s6
	s_mul_i32 s6, s10, s3
	v_lshl_add_u64 v[72:73], s[12:13], 0, v[4:5]
	v_lshl_add_u64 v[74:75], s[14:15], 0, v[4:5]
	v_lshlrev_b64 v[4:5], 1, v[16:17]
	v_mbcnt_lo_u32_b32 v3, -1, 0
	v_and_b32_e32 v1, 0x3ff, v0
	s_lshl_b64 s[6:7], s[6:7], 1
	v_lshl_add_u64 v[76:77], s[12:13], 0, v[4:5]
	v_lshl_add_u64 v[78:79], s[14:15], 0, v[4:5]
	v_lshlrev_b64 v[4:5], 1, v[18:19]
	v_mbcnt_hi_u32_b32 v3, -1, v3
	v_add_u32_e32 v50, s33, v1
	v_mov_b32_e32 v51, v2
	s_add_u32 s20, s18, 0x7f
	v_lshl_add_u64 v[80:81], s[12:13], 0, v[4:5]
	v_lshl_add_u64 v[82:83], s[14:15], 0, v[4:5]
	s_movk_i32 s12, 0xff81
	s_movk_i32 s14, 0xff82
	;; [unrolled: 1-line block ×8, first 2 shown]
	v_lshlrev_b32_e32 v3, 2, v3
	v_lshlrev_b64 v[50:51], 1, v[50:51]
	s_addc_u32 s21, 0, 0
	s_mov_b32 s13, -1
	s_mov_b32 s15, -1
	;; [unrolled: 1-line block ×8, first 2 shown]
	v_and_b32_e32 v87, 0x100, v3
	v_mov_b32_e32 v88, 0
.LBB172_53:                             ; =>This Inner Loop Header: Depth=1
	v_mov_b64_e32 v[4:5], s[8:9]
	v_cmp_ge_i64_e32 vcc, s[20:21], v[4:5]
	v_lshl_add_u64 v[84:85], v[20:21], 0, s[20:21]
	s_mov_b64 s[36:37], -1
                                        ; implicit-def: $vgpr3
	s_cbranch_vccz .LBB172_75
; %bb.54:                               ;   in Loop: Header=BB172_53 Depth=1
	s_load_dword s33, s[4:5], 0xc
	v_mov_b32_e32 v89, 0
	s_waitcnt lgkmcnt(0)
	s_and_b32 s33, s33, 0xffff
	v_mad_u32_u24 v3, v86, s33, v1
	v_and_b32_e32 v4, 63, v3
	v_cmp_gt_u32_e32 vcc, 8, v4
	s_and_saveexec_b64 s[36:37], vcc
	s_cbranch_execz .LBB172_58
; %bb.55:                               ;   in Loop: Header=BB172_53 Depth=1
	v_mov_b32_e32 v5, v2
	v_lshl_add_u64 v[4:5], v[84:85], 0, v[4:5]
	v_lshl_add_u64 v[4:5], v[4:5], 0, s[12:13]
	v_cmp_gt_i64_e32 vcc, s[8:9], v[4:5]
	v_mov_b32_e32 v89, 0
	s_and_saveexec_b64 s[38:39], vcc
	s_cbranch_execz .LBB172_57
; %bb.56:                               ;   in Loop: Header=BB172_53 Depth=1
	v_lshl_add_u64 v[4:5], v[4:5], 2, s[16:17]
	global_load_dword v89, v[4:5], off
.LBB172_57:                             ;   in Loop: Header=BB172_53 Depth=1
	s_or_b64 exec, exec, s[38:39]
.LBB172_58:                             ;   in Loop: Header=BB172_53 Depth=1
	s_or_b64 exec, exec, s[36:37]
	v_lshl_add_u64 v[4:5], v[84:85], 0, s[12:13]
	v_mov_b32_e32 v8, v2
	v_mov_b32_e32 v9, v2
	v_cmp_gt_i64_e32 vcc, s[8:9], v[4:5]
	v_mov_b32_e32 v3, v2
	v_mov_b32_e32 v4, v2
	v_mov_b32_e32 v5, v2
	v_mov_b32_e32 v6, v2
	v_mov_b32_e32 v7, v2
	v_mov_b64_e32 v[18:19], v[8:9]
	v_mov_b64_e32 v[16:17], v[6:7]
	;; [unrolled: 1-line block ×8, first 2 shown]
	s_and_saveexec_b64 s[36:37], vcc
	s_cbranch_execz .LBB172_60
; %bb.59:                               ;   in Loop: Header=BB172_53 Depth=1
	v_lshl_add_u64 v[4:5], v[52:53], 0, v[50:51]
	global_load_ushort v3, v[4:5], off
	v_lshl_add_u64 v[4:5], v[54:55], 0, v[50:51]
	global_load_ushort v12, v[4:5], off
	v_mov_b32_e32 v5, v2
	v_mov_b32_e32 v6, v2
	;; [unrolled: 1-line block ×14, first 2 shown]
	s_waitcnt vmcnt(1)
	v_cvt_f32_f16_e32 v4, v3
	s_waitcnt vmcnt(0)
	v_cvt_f32_f16_e32 v12, v12
.LBB172_60:                             ;   in Loop: Header=BB172_53 Depth=1
	s_or_b64 exec, exec, s[36:37]
	v_lshl_add_u64 v[90:91], v[84:85], 0, s[14:15]
	v_cmp_gt_i64_e32 vcc, s[8:9], v[90:91]
	s_and_saveexec_b64 s[36:37], vcc
	s_cbranch_execz .LBB172_62
; %bb.61:                               ;   in Loop: Header=BB172_53 Depth=1
	v_lshl_add_u64 v[90:91], v[80:81], 0, v[50:51]
	global_load_ushort v3, v[90:91], off
	v_lshl_add_u64 v[90:91], v[82:83], 0, v[50:51]
	global_load_ushort v13, v[90:91], off
	s_waitcnt vmcnt(1)
	v_cvt_f32_f16_e32 v5, v3
	s_waitcnt vmcnt(0)
	v_cvt_f32_f16_e32 v13, v13
.LBB172_62:                             ;   in Loop: Header=BB172_53 Depth=1
	s_or_b64 exec, exec, s[36:37]
	v_lshl_add_u64 v[90:91], v[84:85], 0, s[22:23]
	v_cmp_gt_i64_e32 vcc, s[8:9], v[90:91]
	s_and_saveexec_b64 s[36:37], vcc
	s_cbranch_execz .LBB172_64
; %bb.63:                               ;   in Loop: Header=BB172_53 Depth=1
	v_lshl_add_u64 v[90:91], v[76:77], 0, v[50:51]
	global_load_ushort v3, v[90:91], off
	v_lshl_add_u64 v[90:91], v[78:79], 0, v[50:51]
	global_load_ushort v14, v[90:91], off
	s_waitcnt vmcnt(1)
	v_cvt_f32_f16_e32 v6, v3
	s_waitcnt vmcnt(0)
	v_cvt_f32_f16_e32 v14, v14
.LBB172_64:                             ;   in Loop: Header=BB172_53 Depth=1
	;; [unrolled: 15-line block ×7, first 2 shown]
	s_or_b64 exec, exec, s[36:37]
	s_waitcnt vmcnt(0)
	ds_bpermute_b32 v90, v87, v89
	ds_bpermute_b32 v91, v87, v89 offset:4
	v_pk_mul_f32 v[6:7], v[14:15], v[6:7]
	ds_bpermute_b32 v14, v87, v89 offset:8
	ds_bpermute_b32 v15, v87, v89 offset:12
	v_pk_mul_f32 v[4:5], v[12:13], v[4:5]
	ds_bpermute_b32 v12, v87, v89 offset:24
	s_waitcnt lgkmcnt(3)
	v_pk_mul_f32 v[4:5], v[4:5], v[90:91]
	ds_bpermute_b32 v13, v87, v89 offset:28
	v_add_f32_e32 v3, v88, v4
	v_add_f32_e32 v3, v3, v5
	s_waitcnt lgkmcnt(2)
	v_pk_mul_f32 v[4:5], v[6:7], v[14:15]
	ds_bpermute_b32 v6, v87, v89 offset:16
	ds_bpermute_b32 v7, v87, v89 offset:20
	v_pk_mul_f32 v[8:9], v[16:17], v[8:9]
	v_add_f32_e32 v3, v3, v4
	v_add_f32_e32 v3, v3, v5
	v_pk_mul_f32 v[10:11], v[18:19], v[10:11]
	s_waitcnt lgkmcnt(0)
	v_pk_mul_f32 v[4:5], v[8:9], v[6:7]
	s_mov_b64 s[36:37], 0
	v_add_f32_e32 v3, v3, v4
	v_add_f32_e32 v3, v3, v5
	v_pk_mul_f32 v[4:5], v[10:11], v[12:13]
	s_nop 0
	v_add_f32_e32 v3, v3, v4
	v_add_f32_e32 v3, v3, v5
.LBB172_75:                             ;   in Loop: Header=BB172_53 Depth=1
	s_and_b64 vcc, exec, s[36:37]
	s_cbranch_vccz .LBB172_81
; %bb.76:                               ;   in Loop: Header=BB172_53 Depth=1
	s_load_dword s33, s[4:5], 0x0
	s_waitcnt lgkmcnt(0)
	s_cmp_lt_u32 s2, s33
	s_cselect_b32 s33, 12, 18
	s_add_u32 s36, s4, s33
	s_addc_u32 s37, s5, 0
	global_load_ushort v3, v2, s[36:37]
	s_waitcnt vmcnt(0)
	v_mad_u32_u24 v3, v86, v3, v1
	v_and_b32_e32 v4, 63, v3
	v_cmp_gt_u32_e32 vcc, 8, v4
	v_mov_b32_e32 v3, 0
	s_and_saveexec_b64 s[36:37], vcc
	s_cbranch_execz .LBB172_80
; %bb.77:                               ;   in Loop: Header=BB172_53 Depth=1
	v_mov_b32_e32 v5, v2
	v_lshl_add_u64 v[4:5], v[84:85], 0, v[4:5]
	v_lshl_add_u64 v[4:5], v[4:5], 0, s[12:13]
	v_cmp_gt_i64_e32 vcc, s[8:9], v[4:5]
	v_mov_b32_e32 v3, 0
	s_and_saveexec_b64 s[38:39], vcc
	s_cbranch_execz .LBB172_79
; %bb.78:                               ;   in Loop: Header=BB172_53 Depth=1
	v_lshl_add_u64 v[4:5], v[4:5], 2, s[16:17]
	global_load_dword v3, v[4:5], off
.LBB172_79:                             ;   in Loop: Header=BB172_53 Depth=1
	s_or_b64 exec, exec, s[38:39]
.LBB172_80:                             ;   in Loop: Header=BB172_53 Depth=1
	s_or_b64 exec, exec, s[36:37]
	v_lshl_add_u64 v[4:5], v[52:53], 0, v[50:51]
	global_load_ushort v12, v[4:5], off
	v_lshl_add_u64 v[4:5], v[54:55], 0, v[50:51]
	global_load_ushort v14, v[4:5], off
	;; [unrolled: 2-line block ×12, first 2 shown]
	v_lshl_add_u64 v[6:7], v[34:35], 0, v[50:51]
	v_lshl_add_u64 v[4:5], v[32:33], 0, v[50:51]
	global_load_ushort v93, v[6:7], off
	v_lshl_add_u64 v[6:7], v[48:49], 0, v[50:51]
	global_load_ushort v92, v[4:5], off
	;; [unrolled: 2-line block ×3, first 2 shown]
	global_load_ushort v96, v[4:5], off
	s_waitcnt vmcnt(16)
	ds_bpermute_b32 v4, v87, v3
	ds_bpermute_b32 v5, v87, v3 offset:4
	ds_bpermute_b32 v6, v87, v3 offset:8
	;; [unrolled: 1-line block ×7, first 2 shown]
	s_waitcnt vmcnt(15)
	v_cvt_f32_f16_e32 v12, v12
	s_waitcnt vmcnt(14)
	v_cvt_f32_f16_e32 v14, v14
	;; [unrolled: 2-line block ×6, first 2 shown]
	v_pk_mul_f32 v[12:13], v[12:13], v[14:15]
	s_waitcnt vmcnt(9)
	v_cvt_f32_f16_e32 v17, v17
	s_waitcnt lgkmcnt(6)
	v_pk_mul_f32 v[4:5], v[12:13], v[4:5]
	s_waitcnt vmcnt(8)
	v_cvt_f32_f16_e32 v19, v19
	v_add_f32_e32 v3, v88, v4
	s_waitcnt vmcnt(7)
	v_cvt_f32_f16_e32 v84, v84
	v_add_f32_e32 v3, v3, v5
	v_pk_mul_f32 v[14:15], v[16:17], v[18:19]
	s_waitcnt vmcnt(5)
	v_cvt_f32_f16_e32 v85, v85
	s_waitcnt lgkmcnt(4)
	v_pk_mul_f32 v[6:7], v[14:15], v[6:7]
	s_waitcnt vmcnt(4)
	v_cvt_f32_f16_e32 v91, v90
	v_cvt_f32_f16_e32 v90, v89
	v_add_f32_e32 v3, v3, v6
	s_waitcnt vmcnt(3)
	v_cvt_f32_f16_e32 v93, v93
	v_add_f32_e32 v3, v3, v7
	s_waitcnt vmcnt(2)
	v_cvt_f32_f16_e32 v92, v92
	s_waitcnt vmcnt(1)
	v_cvt_f32_f16_e32 v95, v94
	s_waitcnt vmcnt(0)
	v_cvt_f32_f16_e32 v94, v96
	v_pk_mul_f32 v[16:17], v[84:85], v[90:91]
	v_pk_mul_f32 v[18:19], v[92:93], v[94:95]
	s_waitcnt lgkmcnt(2)
	v_pk_mul_f32 v[8:9], v[16:17], v[8:9]
	s_waitcnt lgkmcnt(0)
	v_pk_mul_f32 v[4:5], v[18:19], v[10:11]
	v_add_f32_e32 v3, v3, v8
	v_add_f32_e32 v3, v3, v9
	;; [unrolled: 1-line block ×4, first 2 shown]
.LBB172_81:                             ;   in Loop: Header=BB172_53 Depth=1
	s_add_u32 s18, s18, s3
	s_addc_u32 s19, s19, 0
	v_mov_b64_e32 v[4:5], s[8:9]
	s_add_u32 s20, s20, s3
	v_cmp_ge_i64_e32 vcc, s[18:19], v[4:5]
	v_lshl_add_u64 v[52:53], v[52:53], 0, s[6:7]
	v_lshl_add_u64 v[54:55], v[54:55], 0, s[6:7]
	s_addc_u32 s21, s21, 0
	v_lshl_add_u64 v[22:23], v[22:23], 0, s[6:7]
	v_lshl_add_u64 v[24:25], v[24:25], 0, s[6:7]
	;; [unrolled: 1-line block ×28, first 2 shown]
	s_cbranch_vccnz .LBB172_83
; %bb.82:                               ;   in Loop: Header=BB172_53 Depth=1
	v_mov_b32_e32 v88, v3
	s_branch .LBB172_53
.LBB172_83:
	v_and_b32_e32 v1, 0x3ff, v0
	v_bfe_u32 v2, v0, 10, 10
	s_movk_i32 s3, 0x41
	v_mad_u32_u24 v4, v2, s3, v1
	v_bfe_u32 v0, v0, 6, 4
	v_lshl_add_u32 v4, v4, 2, 0
	v_add_u32_e32 v0, v0, v2
	ds_write_b32 v4, v3
	v_mov_b32_e32 v3, 0
	v_cmp_gt_u32_e32 vcc, 64, v0
	ds_write_b32 v4, v3 offset:4160
	s_waitcnt lgkmcnt(0)
	s_barrier
	s_and_saveexec_b64 s[4:5], vcc
	s_cbranch_execz .LBB172_103
; %bb.84:
	s_load_dwordx2 s[4:5], s[0:1], 0x30
	v_and_b32_e32 v2, 63, v1
	v_cmp_gt_u32_e32 vcc, 16, v2
	v_mul_u32_u24_e32 v4, 0x41, v2
                                        ; implicit-def: $vgpr2
	s_and_saveexec_b64 s[0:1], vcc
; %bb.85:
	v_lshlrev_b32_e32 v2, 2, v0
	v_lshlrev_b32_e32 v3, 2, v4
	v_add3_u32 v2, 0, v2, v3
	ds_read_b32 v2, v2
; %bb.86:
	s_or_b64 exec, exec, s[0:1]
	v_mbcnt_lo_u32_b32 v3, -1, 0
	v_mbcnt_hi_u32_b32 v3, -1, v3
	v_and_b32_e32 v5, 64, v3
	v_add_u32_e32 v8, 64, v5
	v_xor_b32_e32 v5, 8, v3
	v_cmp_lt_i32_e64 s[0:1], v5, v8
	v_xor_b32_e32 v7, 4, v3
	v_xor_b32_e32 v9, 2, v3
	v_cndmask_b32_e64 v5, v3, v5, s[0:1]
	v_lshlrev_b32_e32 v5, 2, v5
	s_waitcnt lgkmcnt(0)
	ds_bpermute_b32 v6, v5, v2
	v_cmp_lt_i32_e64 s[0:1], v7, v8
	v_xor_b32_e32 v10, 1, v3
	s_mov_b32 s3, 0
	s_lshl_b64 s[6:7], s[2:3], 6
	s_waitcnt lgkmcnt(0)
	v_add_f32_e32 v2, v2, v6
	v_cndmask_b32_e64 v6, v3, v7, s[0:1]
	v_lshlrev_b32_e32 v6, 2, v6
	ds_bpermute_b32 v7, v6, v2
	v_cmp_lt_i32_e64 s[0:1], v9, v8
	s_cmp_eq_u64 s[4:5], 0
	s_cselect_b64 s[8:9], -1, 0
	s_waitcnt lgkmcnt(0)
	v_add_f32_e32 v2, v2, v7
	v_cndmask_b32_e64 v7, v3, v9, s[0:1]
	v_lshlrev_b32_e32 v7, 2, v7
	ds_bpermute_b32 v9, v7, v2
	v_cmp_lt_i32_e64 s[0:1], v10, v8
	s_waitcnt lgkmcnt(0)
	v_add_f32_e32 v2, v2, v9
	v_cndmask_b32_e64 v3, v3, v10, s[0:1]
	v_lshlrev_b32_e32 v8, 2, v3
	ds_bpermute_b32 v3, v8, v2
	v_cmp_ne_u32_e64 s[0:1], 0, v1
	s_waitcnt lgkmcnt(0)
	v_add_f32_e32 v9, v2, v3
	v_or_b32_e32 v2, s6, v0
	v_mov_b32_e32 v3, s7
	v_cmp_le_i64_e64 s[2:3], s[10:11], v[2:3]
	s_or_b64 s[2:3], s[0:1], s[2:3]
	s_nor_b64 s[12:13], s[8:9], s[2:3]
	s_and_saveexec_b64 s[2:3], s[12:13]
	s_cbranch_execz .LBB172_88
; %bb.87:
	v_cvt_f16_f32_e32 v1, v9
	v_lshl_add_u64 v[2:3], v[2:3], 1, s[4:5]
	global_store_short v[2:3], v1, off
.LBB172_88:
	s_or_b64 exec, exec, s[2:3]
	v_cmp_gt_u32_e64 s[2:3], 48, v0
	s_and_b64 exec, exec, s[2:3]
	s_cbranch_execz .LBB172_103
; %bb.89:
	v_mov_b32_e32 v1, 0
	s_and_saveexec_b64 s[2:3], vcc
; %bb.90:
	v_lshlrev_b32_e32 v2, 2, v0
	v_lshlrev_b32_e32 v3, 2, v4
	v_add3_u32 v2, 0, v2, v3
	ds_read_b32 v9, v2 offset:64
; %bb.91:
	s_or_b64 exec, exec, s[2:3]
	s_waitcnt lgkmcnt(0)
	ds_bpermute_b32 v2, v5, v9
	s_waitcnt lgkmcnt(0)
	v_add_f32_e32 v2, v9, v2
	ds_bpermute_b32 v3, v6, v2
	s_waitcnt lgkmcnt(0)
	v_add_f32_e32 v3, v2, v3
	ds_bpermute_b32 v9, v7, v3
	v_add_u32_e32 v2, 16, v0
	s_waitcnt lgkmcnt(0)
	v_add_f32_e32 v9, v3, v9
	ds_bpermute_b32 v10, v8, v9
	v_mov_b32_e32 v3, v1
	v_lshl_add_u64 v[2:3], s[6:7], 0, v[2:3]
	v_cmp_le_i64_e64 s[2:3], s[10:11], v[2:3]
	s_or_b64 s[2:3], s[0:1], s[2:3]
	s_waitcnt lgkmcnt(0)
	v_add_f32_e32 v2, v9, v10
	s_nor_b64 s[12:13], s[8:9], s[2:3]
	s_and_saveexec_b64 s[2:3], s[12:13]
	s_cbranch_execz .LBB172_93
; %bb.92:
	v_cvt_f16_f32_e32 v3, v2
	v_lshl_add_u64 v[10:11], s[6:7], 0, v[0:1]
	v_lshl_add_u64 v[10:11], v[10:11], 1, s[4:5]
	global_store_short v[10:11], v3, off offset:32
.LBB172_93:
	s_or_b64 exec, exec, s[2:3]
	v_cmp_gt_u32_e64 s[2:3], 32, v0
	s_and_b64 exec, exec, s[2:3]
	s_cbranch_execz .LBB172_103
; %bb.94:
	s_and_saveexec_b64 s[2:3], vcc
; %bb.95:
	v_lshlrev_b32_e32 v2, 2, v0
	v_lshlrev_b32_e32 v3, 2, v4
	v_add3_u32 v2, 0, v2, v3
	ds_read_b32 v2, v2 offset:128
; %bb.96:
	s_or_b64 exec, exec, s[2:3]
	s_waitcnt lgkmcnt(0)
	ds_bpermute_b32 v3, v5, v2
	v_add_u32_e32 v9, 32, v0
	s_waitcnt lgkmcnt(0)
	v_add_f32_e32 v2, v2, v3
	ds_bpermute_b32 v3, v6, v2
	s_waitcnt lgkmcnt(0)
	v_add_f32_e32 v2, v2, v3
	ds_bpermute_b32 v3, v7, v2
	;; [unrolled: 3-line block ×3, first 2 shown]
	v_mov_b32_e32 v3, s7
	v_or_b32_e32 v2, s6, v9
	v_cmp_le_i64_e64 s[2:3], s[10:11], v[2:3]
	s_or_b64 s[2:3], s[0:1], s[2:3]
	s_waitcnt lgkmcnt(0)
	v_add_f32_e32 v2, v10, v11
	s_nor_b64 s[12:13], s[8:9], s[2:3]
	s_and_saveexec_b64 s[2:3], s[12:13]
	s_cbranch_execz .LBB172_98
; %bb.97:
	v_cvt_f16_f32_e32 v3, v2
	v_lshl_add_u64 v[10:11], s[6:7], 0, v[0:1]
	v_lshl_add_u64 v[10:11], v[10:11], 1, s[4:5]
	global_store_short v[10:11], v3, off offset:64
.LBB172_98:
	s_or_b64 exec, exec, s[2:3]
	v_cmp_gt_u32_e64 s[2:3], 16, v0
	s_and_b64 exec, exec, s[2:3]
	s_cbranch_execz .LBB172_103
; %bb.99:
	s_and_saveexec_b64 s[2:3], vcc
; %bb.100:
	v_lshlrev_b32_e32 v2, 2, v0
	v_lshlrev_b32_e32 v3, 2, v4
	v_add3_u32 v2, 0, v2, v3
	ds_read_b32 v2, v2 offset:192
; %bb.101:
	s_or_b64 exec, exec, s[2:3]
	s_waitcnt lgkmcnt(0)
	ds_bpermute_b32 v3, v5, v2
	v_add_u32_e32 v4, 48, v0
	v_or_b32_e32 v4, s6, v4
	v_mov_b32_e32 v5, s7
	v_cmp_le_i64_e32 vcc, s[10:11], v[4:5]
	s_waitcnt lgkmcnt(0)
	v_add_f32_e32 v2, v2, v3
	ds_bpermute_b32 v3, v6, v2
	s_or_b64 s[0:1], s[0:1], vcc
	s_nor_b64 s[0:1], s[8:9], s[0:1]
	s_waitcnt lgkmcnt(0)
	v_add_f32_e32 v2, v2, v3
	ds_bpermute_b32 v3, v7, v2
	s_waitcnt lgkmcnt(0)
	v_add_f32_e32 v2, v2, v3
	ds_bpermute_b32 v3, v8, v2
	s_and_saveexec_b64 s[2:3], s[0:1]
	s_xor_b64 s[2:3], exec, s[2:3]
	s_cbranch_execz .LBB172_103
; %bb.102:
	s_waitcnt lgkmcnt(0)
	v_add_f32_e32 v2, v2, v3
	v_cvt_f16_f32_e32 v2, v2
	v_lshl_add_u64 v[0:1], s[6:7], 0, v[0:1]
	v_lshl_add_u64 v[0:1], v[0:1], 1, s[4:5]
	global_store_short v[0:1], v2, off offset:96
.LBB172_103:
	s_endpgm
	.section	.rodata,"a",@progbits
	.p2align	6, 0x0
	.amdhsa_kernel _ZN2at6native12_GLOBAL__N_135GammaBetaBackwardCUDAKernelTemplateIN3c104HalfEfLj64ELj16ELj128ELb0ELb0ELb1EEEvllPKT_S7_PKT0_SA_PS5_SB_
		.amdhsa_group_segment_fixed_size 0
		.amdhsa_private_segment_fixed_size 0
		.amdhsa_kernarg_size 320
		.amdhsa_user_sgpr_count 2
		.amdhsa_user_sgpr_dispatch_ptr 0
		.amdhsa_user_sgpr_queue_ptr 0
		.amdhsa_user_sgpr_kernarg_segment_ptr 1
		.amdhsa_user_sgpr_dispatch_id 0
		.amdhsa_user_sgpr_kernarg_preload_length 0
		.amdhsa_user_sgpr_kernarg_preload_offset 0
		.amdhsa_user_sgpr_private_segment_size 0
		.amdhsa_uses_dynamic_stack 0
		.amdhsa_enable_private_segment 0
		.amdhsa_system_sgpr_workgroup_id_x 1
		.amdhsa_system_sgpr_workgroup_id_y 1
		.amdhsa_system_sgpr_workgroup_id_z 0
		.amdhsa_system_sgpr_workgroup_info 0
		.amdhsa_system_vgpr_workitem_id 1
		.amdhsa_next_free_vgpr 97
		.amdhsa_next_free_sgpr 50
		.amdhsa_accum_offset 100
		.amdhsa_reserve_vcc 1
		.amdhsa_float_round_mode_32 0
		.amdhsa_float_round_mode_16_64 0
		.amdhsa_float_denorm_mode_32 3
		.amdhsa_float_denorm_mode_16_64 3
		.amdhsa_dx10_clamp 1
		.amdhsa_ieee_mode 1
		.amdhsa_fp16_overflow 0
		.amdhsa_tg_split 0
		.amdhsa_exception_fp_ieee_invalid_op 0
		.amdhsa_exception_fp_denorm_src 0
		.amdhsa_exception_fp_ieee_div_zero 0
		.amdhsa_exception_fp_ieee_overflow 0
		.amdhsa_exception_fp_ieee_underflow 0
		.amdhsa_exception_fp_ieee_inexact 0
		.amdhsa_exception_int_div_zero 0
	.end_amdhsa_kernel
	.section	.text._ZN2at6native12_GLOBAL__N_135GammaBetaBackwardCUDAKernelTemplateIN3c104HalfEfLj64ELj16ELj128ELb0ELb0ELb1EEEvllPKT_S7_PKT0_SA_PS5_SB_,"axG",@progbits,_ZN2at6native12_GLOBAL__N_135GammaBetaBackwardCUDAKernelTemplateIN3c104HalfEfLj64ELj16ELj128ELb0ELb0ELb1EEEvllPKT_S7_PKT0_SA_PS5_SB_,comdat
.Lfunc_end172:
	.size	_ZN2at6native12_GLOBAL__N_135GammaBetaBackwardCUDAKernelTemplateIN3c104HalfEfLj64ELj16ELj128ELb0ELb0ELb1EEEvllPKT_S7_PKT0_SA_PS5_SB_, .Lfunc_end172-_ZN2at6native12_GLOBAL__N_135GammaBetaBackwardCUDAKernelTemplateIN3c104HalfEfLj64ELj16ELj128ELb0ELb0ELb1EEEvllPKT_S7_PKT0_SA_PS5_SB_
                                        ; -- End function
	.set _ZN2at6native12_GLOBAL__N_135GammaBetaBackwardCUDAKernelTemplateIN3c104HalfEfLj64ELj16ELj128ELb0ELb0ELb1EEEvllPKT_S7_PKT0_SA_PS5_SB_.num_vgpr, 97
	.set _ZN2at6native12_GLOBAL__N_135GammaBetaBackwardCUDAKernelTemplateIN3c104HalfEfLj64ELj16ELj128ELb0ELb0ELb1EEEvllPKT_S7_PKT0_SA_PS5_SB_.num_agpr, 0
	.set _ZN2at6native12_GLOBAL__N_135GammaBetaBackwardCUDAKernelTemplateIN3c104HalfEfLj64ELj16ELj128ELb0ELb0ELb1EEEvllPKT_S7_PKT0_SA_PS5_SB_.numbered_sgpr, 50
	.set _ZN2at6native12_GLOBAL__N_135GammaBetaBackwardCUDAKernelTemplateIN3c104HalfEfLj64ELj16ELj128ELb0ELb0ELb1EEEvllPKT_S7_PKT0_SA_PS5_SB_.num_named_barrier, 0
	.set _ZN2at6native12_GLOBAL__N_135GammaBetaBackwardCUDAKernelTemplateIN3c104HalfEfLj64ELj16ELj128ELb0ELb0ELb1EEEvllPKT_S7_PKT0_SA_PS5_SB_.private_seg_size, 0
	.set _ZN2at6native12_GLOBAL__N_135GammaBetaBackwardCUDAKernelTemplateIN3c104HalfEfLj64ELj16ELj128ELb0ELb0ELb1EEEvllPKT_S7_PKT0_SA_PS5_SB_.uses_vcc, 1
	.set _ZN2at6native12_GLOBAL__N_135GammaBetaBackwardCUDAKernelTemplateIN3c104HalfEfLj64ELj16ELj128ELb0ELb0ELb1EEEvllPKT_S7_PKT0_SA_PS5_SB_.uses_flat_scratch, 0
	.set _ZN2at6native12_GLOBAL__N_135GammaBetaBackwardCUDAKernelTemplateIN3c104HalfEfLj64ELj16ELj128ELb0ELb0ELb1EEEvllPKT_S7_PKT0_SA_PS5_SB_.has_dyn_sized_stack, 0
	.set _ZN2at6native12_GLOBAL__N_135GammaBetaBackwardCUDAKernelTemplateIN3c104HalfEfLj64ELj16ELj128ELb0ELb0ELb1EEEvllPKT_S7_PKT0_SA_PS5_SB_.has_recursion, 0
	.set _ZN2at6native12_GLOBAL__N_135GammaBetaBackwardCUDAKernelTemplateIN3c104HalfEfLj64ELj16ELj128ELb0ELb0ELb1EEEvllPKT_S7_PKT0_SA_PS5_SB_.has_indirect_call, 0
	.section	.AMDGPU.csdata,"",@progbits
; Kernel info:
; codeLenInByte = 7116
; TotalNumSgprs: 56
; NumVgprs: 97
; NumAgprs: 0
; TotalNumVgprs: 97
; ScratchSize: 0
; MemoryBound: 0
; FloatMode: 240
; IeeeMode: 1
; LDSByteSize: 0 bytes/workgroup (compile time only)
; SGPRBlocks: 6
; VGPRBlocks: 12
; NumSGPRsForWavesPerEU: 56
; NumVGPRsForWavesPerEU: 97
; AccumOffset: 100
; Occupancy: 4
; WaveLimiterHint : 0
; COMPUTE_PGM_RSRC2:SCRATCH_EN: 0
; COMPUTE_PGM_RSRC2:USER_SGPR: 2
; COMPUTE_PGM_RSRC2:TRAP_HANDLER: 0
; COMPUTE_PGM_RSRC2:TGID_X_EN: 1
; COMPUTE_PGM_RSRC2:TGID_Y_EN: 1
; COMPUTE_PGM_RSRC2:TGID_Z_EN: 0
; COMPUTE_PGM_RSRC2:TIDIG_COMP_CNT: 1
; COMPUTE_PGM_RSRC3_GFX90A:ACCUM_OFFSET: 24
; COMPUTE_PGM_RSRC3_GFX90A:TG_SPLIT: 0
	.section	.text._ZN2at6native12_GLOBAL__N_135GammaBetaBackwardCUDAKernelTemplateIN3c104HalfEfLj64ELj16ELj256ELb0ELb1ELb1EEEvllPKT_S7_PKT0_SA_PS5_SB_,"axG",@progbits,_ZN2at6native12_GLOBAL__N_135GammaBetaBackwardCUDAKernelTemplateIN3c104HalfEfLj64ELj16ELj256ELb0ELb1ELb1EEEvllPKT_S7_PKT0_SA_PS5_SB_,comdat
	.globl	_ZN2at6native12_GLOBAL__N_135GammaBetaBackwardCUDAKernelTemplateIN3c104HalfEfLj64ELj16ELj256ELb0ELb1ELb1EEEvllPKT_S7_PKT0_SA_PS5_SB_ ; -- Begin function _ZN2at6native12_GLOBAL__N_135GammaBetaBackwardCUDAKernelTemplateIN3c104HalfEfLj64ELj16ELj256ELb0ELb1ELb1EEEvllPKT_S7_PKT0_SA_PS5_SB_
	.p2align	8
	.type	_ZN2at6native12_GLOBAL__N_135GammaBetaBackwardCUDAKernelTemplateIN3c104HalfEfLj64ELj16ELj256ELb0ELb1ELb1EEEvllPKT_S7_PKT0_SA_PS5_SB_,@function
_ZN2at6native12_GLOBAL__N_135GammaBetaBackwardCUDAKernelTemplateIN3c104HalfEfLj64ELj16ELj256ELb0ELb1ELb1EEEvllPKT_S7_PKT0_SA_PS5_SB_: ; @_ZN2at6native12_GLOBAL__N_135GammaBetaBackwardCUDAKernelTemplateIN3c104HalfEfLj64ELj16ELj256ELb0ELb1ELb1EEEvllPKT_S7_PKT0_SA_PS5_SB_
; %bb.0:
	s_load_dwordx4 s[4:7], s[0:1], 0x0
	s_lshl_b32 s14, s3, 8
	s_mov_b32 s15, 0
	v_mov_b64_e32 v[2:3], s[14:15]
	v_bfe_u32 v12, v0, 10, 10
	s_waitcnt lgkmcnt(0)
	v_cmp_gt_i64_e32 vcc, s[4:5], v[2:3]
	s_cbranch_vccnz .LBB173_2
; %bb.1:
	s_mov_b64 s[8:9], 0
	v_bfe_u32 v1, v0, 10, 10
	s_branch .LBB173_3
.LBB173_2:
	s_mov_b64 s[8:9], -1
                                        ; implicit-def: $vgpr1
.LBB173_3:
	s_load_dwordx2 s[12:13], s[0:1], 0x30
	v_and_b32_e32 v10, 0x3ff, v0
	v_mov_b32_e32 v9, 0
	s_andn2_b64 vcc, exec, s[8:9]
	v_mbcnt_lo_u32_b32 v11, -1, 0
	s_cbranch_vccnz .LBB173_11
; %bb.4:
	s_load_dword s3, s[0:1], 0x4c
	s_load_dword s16, s[0:1], 0x44
	s_load_dwordx2 s[18:19], s[0:1], 0x28
	s_load_dwordx4 s[8:11], s[0:1], 0x10
	v_lshlrev_b32_e32 v8, 4, v12
	s_waitcnt lgkmcnt(0)
	s_and_b32 s0, s3, 0xffff
	v_mad_u32_u24 v0, v12, s0, v10
	v_mov_b32_e32 v9, 0
	v_and_b32_e32 v0, 63, v0
	v_mov_b32_e32 v1, v9
	v_lshl_add_u64 v[6:7], v[8:9], 0, s[14:15]
	v_cmp_gt_u32_e64 s[0:1], 16, v0
	v_mbcnt_hi_u32_b32 v2, -1, v11
	s_lshl_b32 s16, s16, 8
	v_lshl_add_u64 v[0:1], v[6:7], 0, v[0:1]
	v_mul_lo_u32 v8, s7, v6
	v_mul_lo_u32 v29, s6, v7
	v_mad_u64_u32 v[6:7], s[20:21], s6, v6, 0
	v_lshl_add_u32 v4, s2, 6, v10
	v_mov_b32_e32 v5, v9
	v_lshlrev_b32_e32 v2, 2, v2
	s_mul_i32 s3, s7, s16
	s_mul_hi_u32 s20, s6, s16
	s_mov_b32 s17, 0
	v_and_b32_e32 v13, 0x100, v2
	v_add3_u32 v7, v7, v29, v8
	v_lshlrev_b64 v[4:5], 1, v[4:5]
	s_add_i32 s21, s20, s3
	s_mul_i32 s20, s6, s16
	v_or_b32_e32 v14, 4, v13
	v_or_b32_e32 v15, 8, v13
	;; [unrolled: 1-line block ×15, first 2 shown]
	v_lshl_add_u64 v[2:3], v[0:1], 2, s[18:19]
	s_lshl_b64 s[18:19], s[16:17], 2
	v_lshl_add_u64 v[4:5], v[6:7], 1, v[4:5]
	s_lshl_b64 s[20:21], s[20:21], 1
	s_lshl_b64 s[6:7], s[6:7], 1
	v_mov_b64_e32 v[6:7], s[4:5]
	s_branch .LBB173_7
.LBB173_5:                              ;   in Loop: Header=BB173_7 Depth=1
	s_or_b64 exec, exec, s[24:25]
.LBB173_6:                              ;   in Loop: Header=BB173_7 Depth=1
	s_or_b64 exec, exec, s[22:23]
	v_lshl_add_u64 v[30:31], s[8:9], 0, v[4:5]
	v_lshl_add_u64 v[32:33], s[10:11], 0, v[4:5]
	global_load_ushort v29, v[30:31], off
	global_load_ushort v34, v[32:33], off
	v_lshl_add_u64 v[30:31], v[30:31], 0, s[6:7]
	v_lshl_add_u64 v[32:33], v[32:33], 0, s[6:7]
	global_load_ushort v35, v[30:31], off
	global_load_ushort v36, v[32:33], off
	;; [unrolled: 4-line block ×14, first 2 shown]
	v_lshl_add_u64 v[30:31], v[30:31], 0, s[6:7]
	v_lshl_add_u64 v[32:33], v[32:33], 0, s[6:7]
	global_load_ushort v61, v[30:31], off
	v_lshl_add_u64 v[30:31], v[30:31], 0, s[6:7]
	global_load_ushort v62, v[30:31], off
	global_load_ushort v63, v[32:33], off
	v_lshl_add_u64 v[30:31], v[32:33], 0, s[6:7]
	global_load_ushort v64, v[30:31], off
	s_waitcnt vmcnt(32)
	ds_bpermute_b32 v31, v13, v8
	s_add_u32 s14, s14, s16
	s_addc_u32 s15, s15, 0
	v_cmp_lt_i64_e32 vcc, s[14:15], v[6:7]
	v_lshl_add_u64 v[2:3], v[2:3], 0, s[18:19]
	v_lshl_add_u64 v[0:1], v[0:1], 0, s[16:17]
	;; [unrolled: 1-line block ×3, first 2 shown]
	s_and_b64 vcc, exec, vcc
	s_waitcnt vmcnt(31)
	v_cvt_f32_f16_e32 v29, v29
	s_waitcnt vmcnt(30)
	v_cvt_f32_f16_e32 v30, v34
	;; [unrolled: 2-line block ×4, first 2 shown]
	v_mul_f32_e32 v29, v29, v30
	ds_bpermute_b32 v30, v14, v8
	s_waitcnt lgkmcnt(1)
	v_fmac_f32_e32 v9, v29, v31
	ds_bpermute_b32 v29, v15, v8
	s_waitcnt vmcnt(27)
	v_cvt_f32_f16_e32 v37, v37
	s_waitcnt vmcnt(26)
	v_cvt_f32_f16_e32 v38, v38
	ds_bpermute_b32 v36, v16, v8
	s_waitcnt vmcnt(25)
	v_cvt_f32_f16_e32 v39, v39
	s_waitcnt vmcnt(24)
	v_cvt_f32_f16_e32 v40, v40
	v_mul_f32_e32 v31, v32, v33
	s_waitcnt vmcnt(23)
	v_cvt_f32_f16_e32 v32, v41
	s_waitcnt vmcnt(21)
	v_cvt_f32_f16_e32 v33, v43
	v_cvt_f32_f16_e32 v34, v42
	s_waitcnt vmcnt(20)
	v_cvt_f32_f16_e32 v35, v44
	s_waitcnt lgkmcnt(2)
	v_fmac_f32_e32 v9, v31, v30
	ds_bpermute_b32 v30, v17, v8
	ds_bpermute_b32 v31, v18, v8
	v_mul_f32_e32 v37, v37, v38
	s_waitcnt lgkmcnt(3)
	v_fmac_f32_e32 v9, v37, v29
	v_mul_f32_e32 v29, v39, v40
	s_waitcnt lgkmcnt(2)
	v_fmac_f32_e32 v9, v29, v36
	v_pk_mul_f32 v[32:33], v[32:33], v[34:35]
	ds_bpermute_b32 v34, v19, v8
	ds_bpermute_b32 v35, v20, v8
	s_waitcnt vmcnt(19)
	v_cvt_f32_f16_e32 v36, v45
	s_waitcnt vmcnt(17)
	v_cvt_f32_f16_e32 v37, v47
	v_cvt_f32_f16_e32 v38, v46
	s_waitcnt vmcnt(16)
	v_cvt_f32_f16_e32 v39, v48
	s_waitcnt lgkmcnt(2)
	v_pk_mul_f32 v[30:31], v[32:33], v[30:31]
	s_waitcnt vmcnt(15)
	v_cvt_f32_f16_e32 v32, v49
	v_add_f32_e32 v9, v9, v30
	v_add_f32_e32 v9, v9, v31
	v_pk_mul_f32 v[30:31], v[36:37], v[38:39]
	s_waitcnt vmcnt(13)
	v_cvt_f32_f16_e32 v33, v51
	s_waitcnt lgkmcnt(0)
	v_pk_mul_f32 v[30:31], v[30:31], v[34:35]
	v_cvt_f32_f16_e32 v34, v50
	v_add_f32_e32 v9, v9, v30
	s_waitcnt vmcnt(12)
	v_cvt_f32_f16_e32 v35, v52
	v_add_f32_e32 v9, v9, v31
	ds_bpermute_b32 v30, v21, v8
	ds_bpermute_b32 v31, v22, v8
	v_pk_mul_f32 v[32:33], v[32:33], v[34:35]
	ds_bpermute_b32 v34, v23, v8
	ds_bpermute_b32 v35, v24, v8
	s_waitcnt vmcnt(11)
	v_cvt_f32_f16_e32 v36, v53
	s_waitcnt vmcnt(9)
	v_cvt_f32_f16_e32 v37, v55
	v_cvt_f32_f16_e32 v38, v54
	s_waitcnt vmcnt(8)
	v_cvt_f32_f16_e32 v39, v56
	s_waitcnt lgkmcnt(2)
	v_pk_mul_f32 v[30:31], v[32:33], v[30:31]
	s_waitcnt vmcnt(7)
	v_cvt_f32_f16_e32 v32, v57
	v_add_f32_e32 v9, v9, v30
	v_add_f32_e32 v9, v9, v31
	v_pk_mul_f32 v[30:31], v[36:37], v[38:39]
	s_waitcnt vmcnt(5)
	v_cvt_f32_f16_e32 v33, v59
	s_waitcnt lgkmcnt(0)
	v_pk_mul_f32 v[30:31], v[30:31], v[34:35]
	v_cvt_f32_f16_e32 v34, v58
	s_waitcnt vmcnt(4)
	v_cvt_f32_f16_e32 v35, v60
	v_add_f32_e32 v9, v9, v30
	v_add_f32_e32 v29, v9, v31
	ds_bpermute_b32 v30, v25, v8
	ds_bpermute_b32 v31, v26, v8
	v_pk_mul_f32 v[32:33], v[32:33], v[34:35]
	ds_bpermute_b32 v34, v27, v8
	ds_bpermute_b32 v35, v28, v8
	s_waitcnt vmcnt(3)
	v_cvt_f32_f16_e32 v8, v61
	s_waitcnt vmcnt(2)
	v_cvt_f32_f16_e32 v9, v62
	;; [unrolled: 2-line block ×4, first 2 shown]
	s_waitcnt lgkmcnt(2)
	v_pk_mul_f32 v[30:31], v[32:33], v[30:31]
	v_pk_mul_f32 v[8:9], v[8:9], v[36:37]
	v_add_f32_e32 v29, v29, v30
	v_add_f32_e32 v29, v29, v31
	s_waitcnt lgkmcnt(0)
	v_pk_mul_f32 v[8:9], v[8:9], v[34:35]
	s_nop 0
	v_add_f32_e32 v8, v29, v8
	v_add_f32_e32 v9, v8, v9
	s_cbranch_vccz .LBB173_10
.LBB173_7:                              ; =>This Inner Loop Header: Depth=1
	v_mov_b32_e32 v8, 0
	s_and_saveexec_b64 s[22:23], s[0:1]
	s_cbranch_execz .LBB173_6
; %bb.8:                                ;   in Loop: Header=BB173_7 Depth=1
	v_cmp_gt_i64_e32 vcc, s[4:5], v[0:1]
	v_mov_b32_e32 v8, 0
	s_and_saveexec_b64 s[24:25], vcc
	s_cbranch_execz .LBB173_5
; %bb.9:                                ;   in Loop: Header=BB173_7 Depth=1
	global_load_dword v8, v[2:3], off
	s_branch .LBB173_5
.LBB173_10:
	v_mov_b32_e32 v1, v12
.LBB173_11:
	s_movk_i32 s0, 0x41
	v_mad_u32_u24 v0, v1, s0, v10
	v_lshl_add_u32 v0, v0, 2, 0
	v_mov_b32_e32 v2, 0
	ds_write_b32 v0, v9
	ds_write_b32 v0, v2 offset:4160
	v_lshrrev_b32_e32 v0, 6, v10
	v_add_u32_e32 v0, v0, v1
	v_cmp_gt_u32_e32 vcc, 64, v0
	s_waitcnt lgkmcnt(0)
	s_barrier
	s_and_saveexec_b64 s[0:1], vcc
	s_cbranch_execz .LBB173_31
; %bb.12:
	v_and_b32_e32 v1, 63, v10
	v_cmp_gt_u32_e32 vcc, 16, v1
	v_mul_u32_u24_e32 v2, 0x41, v1
                                        ; implicit-def: $vgpr1
	s_and_saveexec_b64 s[0:1], vcc
; %bb.13:
	v_lshlrev_b32_e32 v1, 2, v0
	v_lshlrev_b32_e32 v3, 2, v2
	v_add3_u32 v1, 0, v1, v3
	ds_read_b32 v1, v1
; %bb.14:
	s_or_b64 exec, exec, s[0:1]
	v_mbcnt_hi_u32_b32 v6, -1, v11
	v_and_b32_e32 v3, 64, v6
	v_add_u32_e32 v7, 64, v3
	v_xor_b32_e32 v3, 8, v6
	v_cmp_lt_i32_e64 s[0:1], v3, v7
	v_xor_b32_e32 v5, 4, v6
	v_xor_b32_e32 v8, 2, v6
	v_cndmask_b32_e64 v3, v6, v3, s[0:1]
	v_lshlrev_b32_e32 v3, 2, v3
	s_waitcnt lgkmcnt(0)
	ds_bpermute_b32 v4, v3, v1
	v_cmp_lt_i32_e64 s[0:1], v5, v7
	s_cmp_lg_u64 s[12:13], 0
	s_mov_b32 s3, 0
	s_cselect_b64 s[6:7], -1, 0
	s_waitcnt lgkmcnt(0)
	v_add_f32_e32 v1, v1, v4
	v_cndmask_b32_e64 v4, v6, v5, s[0:1]
	v_lshlrev_b32_e32 v4, 2, v4
	ds_bpermute_b32 v5, v4, v1
	v_cmp_lt_i32_e64 s[0:1], v8, v7
	s_waitcnt lgkmcnt(0)
	v_add_f32_e32 v1, v1, v5
	v_cndmask_b32_e64 v5, v6, v8, s[0:1]
	v_lshlrev_b32_e32 v5, 2, v5
	ds_bpermute_b32 v8, v5, v1
	v_cmp_eq_u32_e64 s[0:1], 0, v10
	s_waitcnt lgkmcnt(0)
	v_add_f32_e32 v1, v1, v8
	v_xor_b32_e32 v8, 1, v6
	v_cmp_lt_i32_e64 s[4:5], v8, v7
	s_nop 1
	v_cndmask_b32_e64 v6, v6, v8, s[4:5]
	v_lshlrev_b32_e32 v6, 2, v6
	ds_bpermute_b32 v7, v6, v1
	s_and_b64 s[4:5], s[0:1], s[6:7]
	s_lshl_b64 s[0:1], s[2:3], 7
	s_add_u32 s2, s12, s0
	s_addc_u32 s3, s13, s1
	s_waitcnt lgkmcnt(0)
	v_add_f32_e32 v7, v1, v7
	s_and_saveexec_b64 s[0:1], s[4:5]
	s_cbranch_execz .LBB173_16
; %bb.15:
	v_cvt_f16_f32_e32 v10, v7
	v_mov_b32_e32 v1, 0
	v_lshl_add_u64 v[8:9], v[0:1], 1, s[2:3]
	global_store_short v[8:9], v10, off
.LBB173_16:
	s_or_b64 exec, exec, s[0:1]
	v_cmp_gt_u32_e64 s[0:1], 48, v0
	s_and_b64 exec, exec, s[0:1]
	s_cbranch_execz .LBB173_31
; %bb.17:
	s_and_saveexec_b64 s[0:1], vcc
; %bb.18:
	v_lshlrev_b32_e32 v1, 2, v0
	v_lshlrev_b32_e32 v7, 2, v2
	v_add3_u32 v1, 0, v1, v7
	ds_read_b32 v7, v1 offset:64
; %bb.19:
	s_or_b64 exec, exec, s[0:1]
	s_waitcnt lgkmcnt(0)
	ds_bpermute_b32 v1, v3, v7
	s_waitcnt lgkmcnt(0)
	v_add_f32_e32 v1, v7, v1
	ds_bpermute_b32 v7, v4, v1
	s_waitcnt lgkmcnt(0)
	v_add_f32_e32 v1, v1, v7
	ds_bpermute_b32 v7, v5, v1
	s_waitcnt lgkmcnt(0)
	v_add_f32_e32 v1, v1, v7
	ds_bpermute_b32 v7, v6, v1
	s_waitcnt lgkmcnt(0)
	v_add_f32_e32 v7, v1, v7
	s_and_saveexec_b64 s[0:1], s[4:5]
	s_cbranch_execz .LBB173_21
; %bb.20:
	v_cvt_f16_f32_e32 v10, v7
	v_mov_b32_e32 v1, 0
	v_lshl_add_u64 v[8:9], v[0:1], 1, s[2:3]
	global_store_short v[8:9], v10, off offset:32
.LBB173_21:
	s_or_b64 exec, exec, s[0:1]
	v_cmp_gt_u32_e64 s[0:1], 32, v0
	s_and_b64 exec, exec, s[0:1]
	s_cbranch_execz .LBB173_31
; %bb.22:
	s_and_saveexec_b64 s[0:1], vcc
; %bb.23:
	v_lshlrev_b32_e32 v1, 2, v0
	v_lshlrev_b32_e32 v7, 2, v2
	v_add3_u32 v1, 0, v1, v7
	ds_read_b32 v7, v1 offset:128
; %bb.24:
	s_or_b64 exec, exec, s[0:1]
	s_waitcnt lgkmcnt(0)
	ds_bpermute_b32 v1, v3, v7
	s_waitcnt lgkmcnt(0)
	v_add_f32_e32 v1, v7, v1
	ds_bpermute_b32 v7, v4, v1
	s_waitcnt lgkmcnt(0)
	v_add_f32_e32 v1, v1, v7
	;; [unrolled: 3-line block ×4, first 2 shown]
	s_and_saveexec_b64 s[0:1], s[4:5]
	s_cbranch_execz .LBB173_26
; %bb.25:
	v_cvt_f16_f32_e32 v10, v7
	v_mov_b32_e32 v1, 0
	v_lshl_add_u64 v[8:9], v[0:1], 1, s[2:3]
	global_store_short v[8:9], v10, off offset:64
.LBB173_26:
	s_or_b64 exec, exec, s[0:1]
	v_cmp_gt_u32_e64 s[0:1], 16, v0
	s_and_b64 exec, exec, s[0:1]
	s_cbranch_execz .LBB173_31
; %bb.27:
	s_and_saveexec_b64 s[0:1], vcc
; %bb.28:
	v_lshlrev_b32_e32 v1, 2, v0
	v_lshlrev_b32_e32 v2, 2, v2
	v_add3_u32 v1, 0, v1, v2
	ds_read_b32 v7, v1 offset:192
; %bb.29:
	s_or_b64 exec, exec, s[0:1]
	s_waitcnt lgkmcnt(0)
	ds_bpermute_b32 v1, v3, v7
	s_waitcnt lgkmcnt(0)
	v_add_f32_e32 v1, v7, v1
	ds_bpermute_b32 v2, v4, v1
	s_waitcnt lgkmcnt(0)
	v_add_f32_e32 v1, v1, v2
	;; [unrolled: 3-line block ×3, first 2 shown]
	ds_bpermute_b32 v2, v6, v1
	s_and_saveexec_b64 s[0:1], s[4:5]
	s_xor_b64 s[0:1], exec, s[0:1]
	s_cbranch_execz .LBB173_31
; %bb.30:
	s_waitcnt lgkmcnt(0)
	v_add_f32_e32 v1, v1, v2
	v_cvt_f16_f32_e32 v2, v1
	v_mov_b32_e32 v1, 0
	v_lshl_add_u64 v[0:1], v[0:1], 1, s[2:3]
	global_store_short v[0:1], v2, off offset:96
.LBB173_31:
	s_endpgm
	.section	.rodata,"a",@progbits
	.p2align	6, 0x0
	.amdhsa_kernel _ZN2at6native12_GLOBAL__N_135GammaBetaBackwardCUDAKernelTemplateIN3c104HalfEfLj64ELj16ELj256ELb0ELb1ELb1EEEvllPKT_S7_PKT0_SA_PS5_SB_
		.amdhsa_group_segment_fixed_size 0
		.amdhsa_private_segment_fixed_size 0
		.amdhsa_kernarg_size 320
		.amdhsa_user_sgpr_count 2
		.amdhsa_user_sgpr_dispatch_ptr 0
		.amdhsa_user_sgpr_queue_ptr 0
		.amdhsa_user_sgpr_kernarg_segment_ptr 1
		.amdhsa_user_sgpr_dispatch_id 0
		.amdhsa_user_sgpr_kernarg_preload_length 0
		.amdhsa_user_sgpr_kernarg_preload_offset 0
		.amdhsa_user_sgpr_private_segment_size 0
		.amdhsa_uses_dynamic_stack 0
		.amdhsa_enable_private_segment 0
		.amdhsa_system_sgpr_workgroup_id_x 1
		.amdhsa_system_sgpr_workgroup_id_y 1
		.amdhsa_system_sgpr_workgroup_id_z 0
		.amdhsa_system_sgpr_workgroup_info 0
		.amdhsa_system_vgpr_workitem_id 1
		.amdhsa_next_free_vgpr 65
		.amdhsa_next_free_sgpr 26
		.amdhsa_accum_offset 68
		.amdhsa_reserve_vcc 1
		.amdhsa_float_round_mode_32 0
		.amdhsa_float_round_mode_16_64 0
		.amdhsa_float_denorm_mode_32 3
		.amdhsa_float_denorm_mode_16_64 3
		.amdhsa_dx10_clamp 1
		.amdhsa_ieee_mode 1
		.amdhsa_fp16_overflow 0
		.amdhsa_tg_split 0
		.amdhsa_exception_fp_ieee_invalid_op 0
		.amdhsa_exception_fp_denorm_src 0
		.amdhsa_exception_fp_ieee_div_zero 0
		.amdhsa_exception_fp_ieee_overflow 0
		.amdhsa_exception_fp_ieee_underflow 0
		.amdhsa_exception_fp_ieee_inexact 0
		.amdhsa_exception_int_div_zero 0
	.end_amdhsa_kernel
	.section	.text._ZN2at6native12_GLOBAL__N_135GammaBetaBackwardCUDAKernelTemplateIN3c104HalfEfLj64ELj16ELj256ELb0ELb1ELb1EEEvllPKT_S7_PKT0_SA_PS5_SB_,"axG",@progbits,_ZN2at6native12_GLOBAL__N_135GammaBetaBackwardCUDAKernelTemplateIN3c104HalfEfLj64ELj16ELj256ELb0ELb1ELb1EEEvllPKT_S7_PKT0_SA_PS5_SB_,comdat
.Lfunc_end173:
	.size	_ZN2at6native12_GLOBAL__N_135GammaBetaBackwardCUDAKernelTemplateIN3c104HalfEfLj64ELj16ELj256ELb0ELb1ELb1EEEvllPKT_S7_PKT0_SA_PS5_SB_, .Lfunc_end173-_ZN2at6native12_GLOBAL__N_135GammaBetaBackwardCUDAKernelTemplateIN3c104HalfEfLj64ELj16ELj256ELb0ELb1ELb1EEEvllPKT_S7_PKT0_SA_PS5_SB_
                                        ; -- End function
	.set _ZN2at6native12_GLOBAL__N_135GammaBetaBackwardCUDAKernelTemplateIN3c104HalfEfLj64ELj16ELj256ELb0ELb1ELb1EEEvllPKT_S7_PKT0_SA_PS5_SB_.num_vgpr, 65
	.set _ZN2at6native12_GLOBAL__N_135GammaBetaBackwardCUDAKernelTemplateIN3c104HalfEfLj64ELj16ELj256ELb0ELb1ELb1EEEvllPKT_S7_PKT0_SA_PS5_SB_.num_agpr, 0
	.set _ZN2at6native12_GLOBAL__N_135GammaBetaBackwardCUDAKernelTemplateIN3c104HalfEfLj64ELj16ELj256ELb0ELb1ELb1EEEvllPKT_S7_PKT0_SA_PS5_SB_.numbered_sgpr, 26
	.set _ZN2at6native12_GLOBAL__N_135GammaBetaBackwardCUDAKernelTemplateIN3c104HalfEfLj64ELj16ELj256ELb0ELb1ELb1EEEvllPKT_S7_PKT0_SA_PS5_SB_.num_named_barrier, 0
	.set _ZN2at6native12_GLOBAL__N_135GammaBetaBackwardCUDAKernelTemplateIN3c104HalfEfLj64ELj16ELj256ELb0ELb1ELb1EEEvllPKT_S7_PKT0_SA_PS5_SB_.private_seg_size, 0
	.set _ZN2at6native12_GLOBAL__N_135GammaBetaBackwardCUDAKernelTemplateIN3c104HalfEfLj64ELj16ELj256ELb0ELb1ELb1EEEvllPKT_S7_PKT0_SA_PS5_SB_.uses_vcc, 1
	.set _ZN2at6native12_GLOBAL__N_135GammaBetaBackwardCUDAKernelTemplateIN3c104HalfEfLj64ELj16ELj256ELb0ELb1ELb1EEEvllPKT_S7_PKT0_SA_PS5_SB_.uses_flat_scratch, 0
	.set _ZN2at6native12_GLOBAL__N_135GammaBetaBackwardCUDAKernelTemplateIN3c104HalfEfLj64ELj16ELj256ELb0ELb1ELb1EEEvllPKT_S7_PKT0_SA_PS5_SB_.has_dyn_sized_stack, 0
	.set _ZN2at6native12_GLOBAL__N_135GammaBetaBackwardCUDAKernelTemplateIN3c104HalfEfLj64ELj16ELj256ELb0ELb1ELb1EEEvllPKT_S7_PKT0_SA_PS5_SB_.has_recursion, 0
	.set _ZN2at6native12_GLOBAL__N_135GammaBetaBackwardCUDAKernelTemplateIN3c104HalfEfLj64ELj16ELj256ELb0ELb1ELb1EEEvllPKT_S7_PKT0_SA_PS5_SB_.has_indirect_call, 0
	.section	.AMDGPU.csdata,"",@progbits
; Kernel info:
; codeLenInByte = 2408
; TotalNumSgprs: 32
; NumVgprs: 65
; NumAgprs: 0
; TotalNumVgprs: 65
; ScratchSize: 0
; MemoryBound: 0
; FloatMode: 240
; IeeeMode: 1
; LDSByteSize: 0 bytes/workgroup (compile time only)
; SGPRBlocks: 3
; VGPRBlocks: 8
; NumSGPRsForWavesPerEU: 32
; NumVGPRsForWavesPerEU: 65
; AccumOffset: 68
; Occupancy: 7
; WaveLimiterHint : 0
; COMPUTE_PGM_RSRC2:SCRATCH_EN: 0
; COMPUTE_PGM_RSRC2:USER_SGPR: 2
; COMPUTE_PGM_RSRC2:TRAP_HANDLER: 0
; COMPUTE_PGM_RSRC2:TGID_X_EN: 1
; COMPUTE_PGM_RSRC2:TGID_Y_EN: 1
; COMPUTE_PGM_RSRC2:TGID_Z_EN: 0
; COMPUTE_PGM_RSRC2:TIDIG_COMP_CNT: 1
; COMPUTE_PGM_RSRC3_GFX90A:ACCUM_OFFSET: 16
; COMPUTE_PGM_RSRC3_GFX90A:TG_SPLIT: 0
	.section	.text._ZN2at6native12_GLOBAL__N_135GammaBetaBackwardCUDAKernelTemplateIN3c104HalfEfLj64ELj16ELj256ELb0ELb0ELb1EEEvllPKT_S7_PKT0_SA_PS5_SB_,"axG",@progbits,_ZN2at6native12_GLOBAL__N_135GammaBetaBackwardCUDAKernelTemplateIN3c104HalfEfLj64ELj16ELj256ELb0ELb0ELb1EEEvllPKT_S7_PKT0_SA_PS5_SB_,comdat
	.globl	_ZN2at6native12_GLOBAL__N_135GammaBetaBackwardCUDAKernelTemplateIN3c104HalfEfLj64ELj16ELj256ELb0ELb0ELb1EEEvllPKT_S7_PKT0_SA_PS5_SB_ ; -- Begin function _ZN2at6native12_GLOBAL__N_135GammaBetaBackwardCUDAKernelTemplateIN3c104HalfEfLj64ELj16ELj256ELb0ELb0ELb1EEEvllPKT_S7_PKT0_SA_PS5_SB_
	.p2align	8
	.type	_ZN2at6native12_GLOBAL__N_135GammaBetaBackwardCUDAKernelTemplateIN3c104HalfEfLj64ELj16ELj256ELb0ELb0ELb1EEEvllPKT_S7_PKT0_SA_PS5_SB_,@function
_ZN2at6native12_GLOBAL__N_135GammaBetaBackwardCUDAKernelTemplateIN3c104HalfEfLj64ELj16ELj256ELb0ELb0ELb1EEEvllPKT_S7_PKT0_SA_PS5_SB_: ; @_ZN2at6native12_GLOBAL__N_135GammaBetaBackwardCUDAKernelTemplateIN3c104HalfEfLj64ELj16ELj256ELb0ELb0ELb1EEEvllPKT_S7_PKT0_SA_PS5_SB_
; %bb.0:
	s_load_dwordx8 s[8:15], s[0:1], 0x0
	s_load_dwordx2 s[16:17], s[0:1], 0x28
	s_lshl_b32 s33, s2, 6
	s_mov_b32 s19, 0
	s_lshl_b32 s18, s3, 8
	v_mov_b32_e32 v73, v0
	s_or_b32 s4, s33, 63
	v_mov_b64_e32 v[0:1], s[18:19]
	v_mov_b32_e32 v2, s4
	v_mov_b32_e32 v3, 0
	s_waitcnt lgkmcnt(0)
	v_cmp_gt_i64_e64 s[4:5], s[8:9], v[0:1]
	v_cmp_le_i64_e32 vcc, s[10:11], v[2:3]
	s_nop 0
	v_cndmask_b32_e64 v0, 0, 1, s[4:5]
	v_cmp_ne_u32_e64 s[4:5], 1, v0
	s_cbranch_vccz .LBB174_81
; %bb.1:
	s_and_b64 vcc, exec, s[4:5]
	s_cbranch_vccnz .LBB174_83
; %bb.2:
	v_mov_b32_e32 v2, 0
	v_bfe_u32 v105, v73, 10, 10
	v_and_b32_e32 v104, 0x3ff, v73
	v_lshlrev_b32_e32 v36, 4, v105
	v_mov_b32_e32 v37, v2
	v_add_u32_e32 v0, s33, v104
	v_mov_b32_e32 v1, v2
	v_lshl_add_u64 v[4:5], v[36:37], 0, s[18:19]
	v_cmp_gt_i64_e64 s[6:7], s[10:11], v[0:1]
	v_lshlrev_b64 v[38:39], 1, v[0:1]
	v_mul_lo_u32 v3, s11, v4
	v_mul_lo_u32 v8, s10, v5
	v_mad_u64_u32 v[0:1], s[22:23], s10, v4, 0
	v_add3_u32 v1, v1, v8, v3
	v_lshlrev_b64 v[0:1], 1, v[0:1]
	v_lshl_add_u64 v[40:41], s[12:13], 0, v[0:1]
	v_lshl_add_u64 v[42:43], s[14:15], 0, v[0:1]
	v_lshl_add_u64 v[0:1], v[4:5], 0, 15
	v_mul_lo_u32 v6, s11, v0
	v_mul_lo_u32 v7, s10, v1
	v_mad_u64_u32 v[0:1], s[24:25], s10, v0, 0
	v_add3_u32 v1, v1, v7, v6
	v_lshlrev_b64 v[0:1], 1, v[0:1]
	v_lshl_add_u64 v[44:45], s[12:13], 0, v[0:1]
	v_lshl_add_u64 v[46:47], s[14:15], 0, v[0:1]
	v_lshl_add_u64 v[0:1], v[4:5], 0, 14
	;; [unrolled: 8-line block ×8, first 2 shown]
	v_mul_lo_u32 v9, s11, v6
	v_mul_lo_u32 v10, s10, v7
	v_mad_u64_u32 v[6:7], s[24:25], s10, v6, 0
	v_add3_u32 v7, v7, v10, v9
	v_lshlrev_b64 v[6:7], 1, v[6:7]
	v_mov_b32_e32 v112, v73
	v_lshl_add_u64 v[70:71], s[12:13], 0, v[6:7]
	v_lshl_add_u64 v[72:73], s[14:15], 0, v[6:7]
	v_lshl_add_u64 v[6:7], v[4:5], 0, 7
	v_mul_lo_u32 v9, s11, v6
	v_mul_lo_u32 v10, s10, v7
	v_mad_u64_u32 v[6:7], s[24:25], s10, v6, 0
	v_add3_u32 v7, v7, v10, v9
	v_lshlrev_b64 v[6:7], 1, v[6:7]
	v_lshl_add_u64 v[74:75], s[12:13], 0, v[6:7]
	v_lshl_add_u64 v[76:77], s[14:15], 0, v[6:7]
	v_lshl_add_u64 v[6:7], v[4:5], 0, 6
	v_mul_lo_u32 v9, s11, v6
	v_mul_lo_u32 v10, s10, v7
	v_mad_u64_u32 v[6:7], s[24:25], s10, v6, 0
	v_add3_u32 v7, v7, v10, v9
	v_lshlrev_b64 v[6:7], 1, v[6:7]
	v_lshl_add_u64 v[78:79], s[12:13], 0, v[6:7]
	v_lshl_add_u64 v[80:81], s[14:15], 0, v[6:7]
	v_lshl_add_u64 v[6:7], v[4:5], 0, 5
	v_mul_lo_u32 v9, s11, v6
	v_mul_lo_u32 v10, s10, v7
	v_mad_u64_u32 v[6:7], s[24:25], s10, v6, 0
	v_add3_u32 v7, v7, v10, v9
	v_lshlrev_b64 v[6:7], 1, v[6:7]
	v_lshl_add_u64 v[82:83], s[12:13], 0, v[6:7]
	v_lshl_add_u64 v[84:85], s[14:15], 0, v[6:7]
	v_lshl_add_u64 v[6:7], v[4:5], 0, 4
	v_mul_lo_u32 v9, s11, v6
	v_mul_lo_u32 v10, s10, v7
	v_mad_u64_u32 v[6:7], s[24:25], s10, v6, 0
	v_add3_u32 v7, v7, v10, v9
	v_lshlrev_b64 v[6:7], 1, v[6:7]
	v_lshl_add_u64 v[86:87], s[12:13], 0, v[6:7]
	v_lshl_add_u64 v[88:89], s[14:15], 0, v[6:7]
	;; [unrolled: 1-line block ×3, first 2 shown]
	v_mul_lo_u32 v9, s11, v6
	v_mul_lo_u32 v10, s10, v7
	v_mad_u64_u32 v[6:7], s[24:25], s10, v6, 0
	v_add3_u32 v7, v7, v10, v9
	s_load_dword s3, s[0:1], 0x44
	v_lshlrev_b64 v[6:7], 1, v[6:7]
	v_lshl_add_u64 v[90:91], s[12:13], 0, v[6:7]
	v_lshl_add_u64 v[92:93], s[14:15], 0, v[6:7]
	;; [unrolled: 1-line block ×3, first 2 shown]
	v_mul_lo_u32 v5, s11, v6
	v_mul_lo_u32 v9, s10, v7
	v_mad_u64_u32 v[6:7], s[24:25], s10, v6, 0
	v_add3_u32 v7, v7, v9, v5
	s_add_u32 s20, s0, 64
	v_lshlrev_b64 v[6:7], 1, v[6:7]
	s_addc_u32 s21, s1, 0
	s_waitcnt lgkmcnt(0)
	s_lshl_b32 s3, s3, 8
	v_lshl_add_u64 v[94:95], s[12:13], 0, v[6:7]
	v_lshl_add_u64 v[96:97], s[14:15], 0, v[6:7]
	v_mov_b64_e32 v[6:7], s[10:11]
	s_mul_i32 s22, s11, s3
	s_mul_hi_u32 s23, s10, s3
	v_mad_u64_u32 v[4:5], s[24:25], s10, v4, v[6:7]
	s_add_i32 s23, s23, s22
	s_mul_i32 s22, s10, s3
	v_add3_u32 v5, v3, v5, v8
	v_mbcnt_lo_u32_b32 v3, -1, 0
	s_lshl_b64 s[22:23], s[22:23], 1
	v_mbcnt_hi_u32_b32 v3, -1, v3
	v_lshlrev_b64 v[4:5], 1, v[4:5]
	s_add_u32 s24, s18, 0xff
	s_movk_i32 s26, 0xff01
	s_movk_i32 s28, 0xff02
	s_movk_i32 s30, 0xff03
	s_movk_i32 s34, 0xff04
	s_movk_i32 s36, 0xff05
	s_movk_i32 s38, 0xff06
	s_movk_i32 s40, 0xff07
	s_movk_i32 s42, 0xff08
	s_movk_i32 s44, 0xff09
	s_movk_i32 s46, 0xff0a
	s_movk_i32 s48, 0xff0b
	s_movk_i32 s50, 0xff0c
	s_movk_i32 s52, 0xff0d
	s_movk_i32 s54, 0xff0e
	s_movk_i32 s56, 0xff0f
	s_movk_i32 s58, 0xff10
	v_lshlrev_b32_e32 v3, 2, v3
	v_lshl_add_u64 v[98:99], s[12:13], 0, v[4:5]
	v_lshl_add_u64 v[100:101], s[14:15], 0, v[4:5]
	s_addc_u32 s25, 0, 0
	s_mov_b32 s27, -1
	s_mov_b32 s29, -1
	;; [unrolled: 1-line block ×16, first 2 shown]
	v_and_b32_e32 v106, 0x100, v3
	s_mov_b64 s[60:61], s[18:19]
	v_mov_b32_e32 v107, 0
.LBB174_3:                              ; =>This Inner Loop Header: Depth=1
	v_mov_b64_e32 v[4:5], s[8:9]
	v_cmp_ge_i64_e32 vcc, s[24:25], v[4:5]
	v_lshl_add_u64 v[102:103], v[36:37], 0, s[24:25]
	s_mov_b64 s[62:63], -1
	s_and_b64 vcc, exec, vcc
                                        ; implicit-def: $vgpr4_vgpr5_vgpr6_vgpr7_vgpr8_vgpr9_vgpr10_vgpr11_vgpr12_vgpr13_vgpr14_vgpr15_vgpr16_vgpr17_vgpr18_vgpr19
                                        ; implicit-def: $vgpr3
                                        ; implicit-def: $vgpr20_vgpr21_vgpr22_vgpr23_vgpr24_vgpr25_vgpr26_vgpr27_vgpr28_vgpr29_vgpr30_vgpr31_vgpr32_vgpr33_vgpr34_vgpr35
                                        ; implicit-def: $vgpr4
	s_cbranch_vccz .LBB174_41
; %bb.4:                                ;   in Loop: Header=BB174_3 Depth=1
	s_load_dword s62, s[20:21], 0xc
	v_mov_b32_e32 v108, 0
	s_waitcnt lgkmcnt(0)
	s_and_b32 s62, s62, 0xffff
	v_mad_u32_u24 v3, v105, s62, v104
	v_and_b32_e32 v4, 63, v3
	v_cmp_gt_u32_e32 vcc, 16, v4
	s_and_saveexec_b64 s[62:63], vcc
	s_cbranch_execz .LBB174_8
; %bb.5:                                ;   in Loop: Header=BB174_3 Depth=1
	v_mov_b32_e32 v5, v2
	v_lshl_add_u64 v[4:5], v[102:103], 0, v[4:5]
	v_lshl_add_u64 v[4:5], v[4:5], 0, s[26:27]
	v_cmp_gt_i64_e32 vcc, s[8:9], v[4:5]
	v_mov_b32_e32 v108, 0
	s_and_saveexec_b64 s[64:65], vcc
	s_cbranch_execz .LBB174_7
; %bb.6:                                ;   in Loop: Header=BB174_3 Depth=1
	v_lshl_add_u64 v[4:5], v[4:5], 2, s[16:17]
	global_load_dword v108, v[4:5], off
.LBB174_7:                              ;   in Loop: Header=BB174_3 Depth=1
	s_or_b64 exec, exec, s[64:65]
.LBB174_8:                              ;   in Loop: Header=BB174_3 Depth=1
	s_or_b64 exec, exec, s[62:63]
	v_lshl_add_u64 v[4:5], v[102:103], 0, s[26:27]
	v_mov_b32_e32 v16, v2
	v_mov_b32_e32 v17, v2
	v_cmp_gt_i64_e32 vcc, s[8:9], v[4:5]
	v_mov_b32_e32 v3, v2
	v_mov_b32_e32 v4, v2
	;; [unrolled: 1-line block ×13, first 2 shown]
	v_mov_b64_e32 v[34:35], v[16:17]
	v_mov_b64_e32 v[32:33], v[14:15]
	;; [unrolled: 1-line block ×9, first 2 shown]
	s_and_b64 s[64:65], s[6:7], vcc
	v_mov_b64_e32 v[16:17], v[14:15]
	v_mov_b64_e32 v[14:15], v[12:13]
	v_mov_b64_e32 v[12:13], v[10:11]
	v_mov_b64_e32 v[10:11], v[8:9]
	v_mov_b64_e32 v[8:9], v[6:7]
	v_mov_b64_e32 v[6:7], v[4:5]
	v_mov_b64_e32 v[4:5], v[2:3]
	s_and_saveexec_b64 s[62:63], s[64:65]
	s_cbranch_execz .LBB174_10
; %bb.9:                                ;   in Loop: Header=BB174_3 Depth=1
	v_lshl_add_u64 v[4:5], v[40:41], 0, v[38:39]
	global_load_ushort v3, v[4:5], off
	v_lshl_add_u64 v[4:5], v[42:43], 0, v[38:39]
	global_load_ushort v20, v[4:5], off
	v_mov_b32_e32 v5, v2
	v_mov_b32_e32 v6, v2
	;; [unrolled: 1-line block ×30, first 2 shown]
	s_waitcnt vmcnt(1)
	v_cvt_f32_f16_e32 v4, v3
	s_waitcnt vmcnt(0)
	v_cvt_f32_f16_e32 v20, v20
.LBB174_10:                             ;   in Loop: Header=BB174_3 Depth=1
	s_or_b64 exec, exec, s[62:63]
	v_lshl_add_u64 v[110:111], v[102:103], 0, s[28:29]
	v_cmp_gt_i64_e32 vcc, s[8:9], v[110:111]
	s_and_b64 s[64:65], s[6:7], vcc
	s_and_saveexec_b64 s[62:63], s[64:65]
	s_cbranch_execz .LBB174_12
; %bb.11:                               ;   in Loop: Header=BB174_3 Depth=1
	v_lshl_add_u64 v[110:111], v[98:99], 0, v[38:39]
	global_load_ushort v3, v[110:111], off
	v_lshl_add_u64 v[110:111], v[100:101], 0, v[38:39]
	global_load_ushort v21, v[110:111], off
	s_waitcnt vmcnt(1)
	v_cvt_f32_f16_e32 v5, v3
	s_waitcnt vmcnt(0)
	v_cvt_f32_f16_e32 v21, v21
.LBB174_12:                             ;   in Loop: Header=BB174_3 Depth=1
	s_or_b64 exec, exec, s[62:63]
	v_lshl_add_u64 v[110:111], v[102:103], 0, s[30:31]
	v_cmp_gt_i64_e32 vcc, s[8:9], v[110:111]
	s_and_b64 s[64:65], s[6:7], vcc
	s_and_saveexec_b64 s[62:63], s[64:65]
	s_cbranch_execz .LBB174_14
; %bb.13:                               ;   in Loop: Header=BB174_3 Depth=1
	v_lshl_add_u64 v[110:111], v[94:95], 0, v[38:39]
	global_load_ushort v3, v[110:111], off
	v_lshl_add_u64 v[110:111], v[96:97], 0, v[38:39]
	global_load_ushort v22, v[110:111], off
	s_waitcnt vmcnt(1)
	v_cvt_f32_f16_e32 v6, v3
	s_waitcnt vmcnt(0)
	v_cvt_f32_f16_e32 v22, v22
.LBB174_14:                             ;   in Loop: Header=BB174_3 Depth=1
	;; [unrolled: 16-line block ×15, first 2 shown]
	s_or_b64 exec, exec, s[62:63]
	s_waitcnt vmcnt(0)
	ds_bpermute_b32 v3, v106, v108
	ds_bpermute_b32 v109, v106, v108 offset:4
	v_mul_f32_e32 v4, v20, v4
	ds_bpermute_b32 v20, v106, v108 offset:8
	v_mul_f32_e32 v5, v21, v5
	s_waitcnt lgkmcnt(2)
	v_fma_f32 v110, v4, v3, v107
	s_waitcnt lgkmcnt(1)
	v_fmac_f32_e32 v110, v5, v109
	ds_bpermute_b32 v4, v106, v108 offset:12
	ds_bpermute_b32 v5, v106, v108 offset:16
	v_mul_f32_e32 v3, v22, v6
	s_waitcnt lgkmcnt(2)
	v_fmac_f32_e32 v110, v3, v20
	v_pk_mul_f32 v[8:9], v[24:25], v[8:9]
	v_mul_f32_e32 v3, v23, v7
	v_pk_mov_b32 v[20:21], v[2:3], v[8:9] op_sel:[1,0]
	v_pk_mul_f32 v[10:11], v[26:27], v[10:11]
	s_waitcnt lgkmcnt(0)
	v_pk_mul_f32 v[4:5], v[20:21], v[4:5]
	ds_bpermute_b32 v20, v106, v108 offset:20
	ds_bpermute_b32 v21, v106, v108 offset:24
	v_add_f32_e32 v3, v110, v4
	v_add_f32_e32 v3, v3, v5
	v_pk_mov_b32 v[4:5], v[8:9], v[10:11] op_sel:[1,0]
	ds_bpermute_b32 v8, v106, v108 offset:28
	ds_bpermute_b32 v9, v106, v108 offset:32
	s_waitcnt lgkmcnt(2)
	v_pk_mul_f32 v[4:5], v[4:5], v[20:21]
	v_pk_mul_f32 v[12:13], v[28:29], v[12:13]
	v_add_f32_e32 v3, v3, v4
	v_add_f32_e32 v3, v3, v5
	v_pk_mov_b32 v[4:5], v[10:11], v[12:13] op_sel:[1,0]
	v_pk_mul_f32 v[14:15], v[30:31], v[14:15]
	s_waitcnt lgkmcnt(0)
	v_pk_mul_f32 v[4:5], v[4:5], v[8:9]
	ds_bpermute_b32 v8, v106, v108 offset:36
	ds_bpermute_b32 v9, v106, v108 offset:40
	v_add_f32_e32 v3, v3, v4
	ds_bpermute_b32 v10, v106, v108 offset:44
	ds_bpermute_b32 v11, v106, v108 offset:48
	v_add_f32_e32 v3, v3, v5
	v_pk_mov_b32 v[4:5], v[12:13], v[14:15] op_sel:[1,0]
	v_pk_mul_f32 v[16:17], v[32:33], v[16:17]
	s_waitcnt lgkmcnt(2)
	v_pk_mul_f32 v[4:5], v[4:5], v[8:9]
	ds_bpermute_b32 v8, v106, v108 offset:52
	v_add_f32_e32 v3, v3, v4
	ds_bpermute_b32 v9, v106, v108 offset:56
	v_add_f32_e32 v3, v3, v5
	v_pk_mov_b32 v[4:5], v[14:15], v[16:17] op_sel:[1,0]
	v_mul_f32_e32 v6, v34, v18
	s_waitcnt lgkmcnt(2)
	v_pk_mul_f32 v[4:5], v[4:5], v[10:11]
	v_pk_mov_b32 v[6:7], v[16:17], v[6:7] op_sel:[1,0]
	v_add_f32_e32 v3, v3, v4
	ds_bpermute_b32 v4, v106, v108 offset:60
	v_add_f32_e32 v3, v3, v5
	s_waitcnt lgkmcnt(1)
	v_pk_mul_f32 v[6:7], v[6:7], v[8:9]
	s_mov_b64 s[62:63], 0
	v_add_f32_e32 v3, v3, v6
	v_add_f32_e32 v3, v3, v7
.LBB174_41:                             ;   in Loop: Header=BB174_3 Depth=1
	s_and_b64 vcc, exec, s[62:63]
	s_cbranch_vccz .LBB174_64
; %bb.42:                               ;   in Loop: Header=BB174_3 Depth=1
	s_load_dword s62, s[20:21], 0x0
	v_mov_b32_e32 v108, 0
	s_waitcnt lgkmcnt(0)
	s_cmp_lt_u32 s2, s62
	s_cselect_b32 s62, 12, 18
	s_add_u32 s62, s20, s62
	s_addc_u32 s63, s21, 0
	global_load_ushort v3, v2, s[62:63]
	s_waitcnt vmcnt(0)
	v_mad_u32_u24 v3, v105, v3, v104
	v_and_b32_e32 v4, 63, v3
	v_cmp_gt_u32_e32 vcc, 16, v4
	s_and_saveexec_b64 s[62:63], vcc
	s_cbranch_execz .LBB174_46
; %bb.43:                               ;   in Loop: Header=BB174_3 Depth=1
	v_mov_b32_e32 v5, v2
	v_lshl_add_u64 v[4:5], v[102:103], 0, v[4:5]
	v_lshl_add_u64 v[4:5], v[4:5], 0, s[26:27]
	v_cmp_gt_i64_e32 vcc, s[8:9], v[4:5]
	v_mov_b32_e32 v108, 0
	s_and_saveexec_b64 s[64:65], vcc
	s_cbranch_execz .LBB174_45
; %bb.44:                               ;   in Loop: Header=BB174_3 Depth=1
	v_lshl_add_u64 v[4:5], v[4:5], 2, s[16:17]
	global_load_dword v108, v[4:5], off
.LBB174_45:                             ;   in Loop: Header=BB174_3 Depth=1
	s_or_b64 exec, exec, s[64:65]
.LBB174_46:                             ;   in Loop: Header=BB174_3 Depth=1
	s_or_b64 exec, exec, s[62:63]
	v_mov_b32_e32 v16, v2
	v_mov_b32_e32 v17, v2
	;; [unrolled: 1-line block ×15, first 2 shown]
	v_mov_b64_e32 v[34:35], v[16:17]
	v_mov_b64_e32 v[32:33], v[14:15]
	;; [unrolled: 1-line block ×16, first 2 shown]
	s_and_saveexec_b64 s[62:63], s[6:7]
	s_cbranch_execnz .LBB174_66
; %bb.47:                               ;   in Loop: Header=BB174_3 Depth=1
	s_or_b64 exec, exec, s[62:63]
	s_and_saveexec_b64 s[62:63], s[6:7]
	s_cbranch_execnz .LBB174_67
.LBB174_48:                             ;   in Loop: Header=BB174_3 Depth=1
	s_or_b64 exec, exec, s[62:63]
	s_and_saveexec_b64 s[62:63], s[6:7]
	s_cbranch_execnz .LBB174_68
.LBB174_49:                             ;   in Loop: Header=BB174_3 Depth=1
	s_or_b64 exec, exec, s[62:63]
	s_and_saveexec_b64 s[62:63], s[6:7]
	s_cbranch_execnz .LBB174_69
.LBB174_50:                             ;   in Loop: Header=BB174_3 Depth=1
	s_or_b64 exec, exec, s[62:63]
	s_and_saveexec_b64 s[62:63], s[6:7]
	s_cbranch_execnz .LBB174_70
.LBB174_51:                             ;   in Loop: Header=BB174_3 Depth=1
	s_or_b64 exec, exec, s[62:63]
	s_and_saveexec_b64 s[62:63], s[6:7]
	s_cbranch_execnz .LBB174_71
.LBB174_52:                             ;   in Loop: Header=BB174_3 Depth=1
	s_or_b64 exec, exec, s[62:63]
	s_and_saveexec_b64 s[62:63], s[6:7]
	s_cbranch_execnz .LBB174_72
.LBB174_53:                             ;   in Loop: Header=BB174_3 Depth=1
	s_or_b64 exec, exec, s[62:63]
	s_and_saveexec_b64 s[62:63], s[6:7]
	s_cbranch_execnz .LBB174_73
.LBB174_54:                             ;   in Loop: Header=BB174_3 Depth=1
	s_or_b64 exec, exec, s[62:63]
	s_and_saveexec_b64 s[62:63], s[6:7]
	s_cbranch_execnz .LBB174_74
.LBB174_55:                             ;   in Loop: Header=BB174_3 Depth=1
	s_or_b64 exec, exec, s[62:63]
	s_and_saveexec_b64 s[62:63], s[6:7]
	s_cbranch_execnz .LBB174_75
.LBB174_56:                             ;   in Loop: Header=BB174_3 Depth=1
	s_or_b64 exec, exec, s[62:63]
	s_and_saveexec_b64 s[62:63], s[6:7]
	s_cbranch_execnz .LBB174_76
.LBB174_57:                             ;   in Loop: Header=BB174_3 Depth=1
	s_or_b64 exec, exec, s[62:63]
	s_and_saveexec_b64 s[62:63], s[6:7]
	s_cbranch_execnz .LBB174_77
.LBB174_58:                             ;   in Loop: Header=BB174_3 Depth=1
	s_or_b64 exec, exec, s[62:63]
	s_and_saveexec_b64 s[62:63], s[6:7]
	s_cbranch_execnz .LBB174_78
.LBB174_59:                             ;   in Loop: Header=BB174_3 Depth=1
	s_or_b64 exec, exec, s[62:63]
	s_and_saveexec_b64 s[62:63], s[6:7]
	s_cbranch_execnz .LBB174_79
.LBB174_60:                             ;   in Loop: Header=BB174_3 Depth=1
	s_or_b64 exec, exec, s[62:63]
	s_and_saveexec_b64 s[62:63], s[6:7]
	s_cbranch_execnz .LBB174_80
.LBB174_61:                             ;   in Loop: Header=BB174_3 Depth=1
	s_or_b64 exec, exec, s[62:63]
	s_and_saveexec_b64 s[62:63], s[6:7]
	s_cbranch_execz .LBB174_63
.LBB174_62:                             ;   in Loop: Header=BB174_3 Depth=1
	v_lshl_add_u64 v[102:103], v[44:45], 0, v[38:39]
	global_load_ushort v3, v[102:103], off
	v_lshl_add_u64 v[102:103], v[46:47], 0, v[38:39]
	global_load_ushort v35, v[102:103], off
	s_waitcnt vmcnt(1)
	v_cvt_f32_f16_e32 v19, v3
	s_waitcnt vmcnt(0)
	v_cvt_f32_f16_e32 v35, v35
.LBB174_63:                             ;   in Loop: Header=BB174_3 Depth=1
	s_or_b64 exec, exec, s[62:63]
	s_waitcnt vmcnt(0)
	ds_bpermute_b32 v3, v106, v108
	ds_bpermute_b32 v102, v106, v108 offset:4
	v_mul_f32_e32 v4, v20, v4
	ds_bpermute_b32 v20, v106, v108 offset:8
	v_mul_f32_e32 v5, v21, v5
	s_waitcnt lgkmcnt(2)
	v_fmac_f32_e32 v107, v4, v3
	s_waitcnt lgkmcnt(1)
	v_fmac_f32_e32 v107, v5, v102
	ds_bpermute_b32 v4, v106, v108 offset:12
	ds_bpermute_b32 v5, v106, v108 offset:16
	v_mul_f32_e32 v3, v22, v6
	s_waitcnt lgkmcnt(2)
	v_fmac_f32_e32 v107, v3, v20
	v_pk_mul_f32 v[8:9], v[24:25], v[8:9]
	v_mul_f32_e32 v3, v23, v7
	v_pk_mov_b32 v[20:21], v[2:3], v[8:9] op_sel:[1,0]
	v_pk_mul_f32 v[10:11], v[26:27], v[10:11]
	s_waitcnt lgkmcnt(0)
	v_pk_mul_f32 v[4:5], v[20:21], v[4:5]
	ds_bpermute_b32 v20, v106, v108 offset:20
	ds_bpermute_b32 v21, v106, v108 offset:24
	v_add_f32_e32 v3, v107, v4
	v_add_f32_e32 v3, v3, v5
	v_pk_mov_b32 v[4:5], v[8:9], v[10:11] op_sel:[1,0]
	ds_bpermute_b32 v8, v106, v108 offset:28
	ds_bpermute_b32 v9, v106, v108 offset:32
	s_waitcnt lgkmcnt(2)
	v_pk_mul_f32 v[4:5], v[4:5], v[20:21]
	v_pk_mul_f32 v[12:13], v[28:29], v[12:13]
	v_add_f32_e32 v3, v3, v4
	v_add_f32_e32 v3, v3, v5
	v_pk_mov_b32 v[4:5], v[10:11], v[12:13] op_sel:[1,0]
	v_pk_mul_f32 v[14:15], v[30:31], v[14:15]
	s_waitcnt lgkmcnt(0)
	v_pk_mul_f32 v[4:5], v[4:5], v[8:9]
	ds_bpermute_b32 v8, v106, v108 offset:36
	ds_bpermute_b32 v9, v106, v108 offset:40
	v_add_f32_e32 v3, v3, v4
	ds_bpermute_b32 v10, v106, v108 offset:44
	ds_bpermute_b32 v11, v106, v108 offset:48
	v_add_f32_e32 v3, v3, v5
	v_pk_mov_b32 v[4:5], v[12:13], v[14:15] op_sel:[1,0]
	v_pk_mul_f32 v[16:17], v[32:33], v[16:17]
	s_waitcnt lgkmcnt(2)
	v_pk_mul_f32 v[4:5], v[4:5], v[8:9]
	ds_bpermute_b32 v8, v106, v108 offset:52
	v_add_f32_e32 v3, v3, v4
	ds_bpermute_b32 v9, v106, v108 offset:56
	v_add_f32_e32 v3, v3, v5
	v_pk_mov_b32 v[4:5], v[14:15], v[16:17] op_sel:[1,0]
	v_mul_f32_e32 v6, v34, v18
	s_waitcnt lgkmcnt(2)
	v_pk_mul_f32 v[4:5], v[4:5], v[10:11]
	v_pk_mov_b32 v[6:7], v[16:17], v[6:7] op_sel:[1,0]
	v_add_f32_e32 v3, v3, v4
	ds_bpermute_b32 v4, v106, v108 offset:60
	v_add_f32_e32 v3, v3, v5
	s_waitcnt lgkmcnt(1)
	v_pk_mul_f32 v[6:7], v[6:7], v[8:9]
	s_nop 0
	v_add_f32_e32 v3, v3, v6
	v_add_f32_e32 v3, v3, v7
.LBB174_64:                             ;   in Loop: Header=BB174_3 Depth=1
	v_mul_f32_e32 v5, v19, v35
	s_add_u32 s60, s60, s3
	s_waitcnt lgkmcnt(0)
	v_fmac_f32_e32 v3, v5, v4
	s_addc_u32 s61, s61, 0
	v_mov_b64_e32 v[4:5], s[8:9]
	s_add_u32 s24, s24, s3
	v_cmp_lt_i64_e32 vcc, s[60:61], v[4:5]
	v_lshl_add_u64 v[40:41], v[40:41], 0, s[22:23]
	v_lshl_add_u64 v[42:43], v[42:43], 0, s[22:23]
	;; [unrolled: 1-line block ×32, first 2 shown]
	s_addc_u32 s25, s25, 0
	s_cbranch_vccz .LBB174_82
; %bb.65:                               ;   in Loop: Header=BB174_3 Depth=1
	v_mov_b32_e32 v107, v3
	s_branch .LBB174_3
.LBB174_66:                             ;   in Loop: Header=BB174_3 Depth=1
	v_lshl_add_u64 v[4:5], v[40:41], 0, v[38:39]
	global_load_ushort v3, v[4:5], off
	v_lshl_add_u64 v[4:5], v[42:43], 0, v[38:39]
	global_load_ushort v20, v[4:5], off
	v_mov_b32_e32 v5, v2
	v_mov_b32_e32 v6, v2
	v_mov_b32_e32 v7, v2
	v_mov_b32_e32 v8, v2
	v_mov_b32_e32 v9, v2
	v_mov_b32_e32 v10, v2
	v_mov_b32_e32 v11, v2
	v_mov_b32_e32 v12, v2
	v_mov_b32_e32 v13, v2
	v_mov_b32_e32 v14, v2
	v_mov_b32_e32 v15, v2
	v_mov_b32_e32 v16, v2
	v_mov_b32_e32 v17, v2
	v_mov_b32_e32 v18, v2
	v_mov_b32_e32 v19, v2
	v_mov_b32_e32 v21, v2
	v_mov_b32_e32 v22, v2
	v_mov_b32_e32 v23, v2
	v_mov_b32_e32 v24, v2
	v_mov_b32_e32 v25, v2
	v_mov_b32_e32 v26, v2
	v_mov_b32_e32 v27, v2
	v_mov_b32_e32 v28, v2
	v_mov_b32_e32 v29, v2
	v_mov_b32_e32 v30, v2
	v_mov_b32_e32 v31, v2
	v_mov_b32_e32 v32, v2
	v_mov_b32_e32 v33, v2
	v_mov_b32_e32 v34, v2
	v_mov_b32_e32 v35, v2
	s_waitcnt vmcnt(1)
	v_cvt_f32_f16_e32 v4, v3
	s_waitcnt vmcnt(0)
	v_cvt_f32_f16_e32 v20, v20
	s_or_b64 exec, exec, s[62:63]
	s_and_saveexec_b64 s[62:63], s[6:7]
	s_cbranch_execz .LBB174_48
.LBB174_67:                             ;   in Loop: Header=BB174_3 Depth=1
	v_lshl_add_u64 v[102:103], v[98:99], 0, v[38:39]
	global_load_ushort v3, v[102:103], off
	v_lshl_add_u64 v[102:103], v[100:101], 0, v[38:39]
	global_load_ushort v21, v[102:103], off
	s_waitcnt vmcnt(1)
	v_cvt_f32_f16_e32 v5, v3
	s_waitcnt vmcnt(0)
	v_cvt_f32_f16_e32 v21, v21
	s_or_b64 exec, exec, s[62:63]
	s_and_saveexec_b64 s[62:63], s[6:7]
	s_cbranch_execz .LBB174_49
.LBB174_68:                             ;   in Loop: Header=BB174_3 Depth=1
	v_lshl_add_u64 v[102:103], v[94:95], 0, v[38:39]
	global_load_ushort v3, v[102:103], off
	v_lshl_add_u64 v[102:103], v[96:97], 0, v[38:39]
	global_load_ushort v22, v[102:103], off
	s_waitcnt vmcnt(1)
	v_cvt_f32_f16_e32 v6, v3
	s_waitcnt vmcnt(0)
	v_cvt_f32_f16_e32 v22, v22
	s_or_b64 exec, exec, s[62:63]
	s_and_saveexec_b64 s[62:63], s[6:7]
	s_cbranch_execz .LBB174_50
.LBB174_69:                             ;   in Loop: Header=BB174_3 Depth=1
	v_lshl_add_u64 v[102:103], v[90:91], 0, v[38:39]
	global_load_ushort v3, v[102:103], off
	v_lshl_add_u64 v[102:103], v[92:93], 0, v[38:39]
	global_load_ushort v23, v[102:103], off
	s_waitcnt vmcnt(1)
	v_cvt_f32_f16_e32 v7, v3
	s_waitcnt vmcnt(0)
	v_cvt_f32_f16_e32 v23, v23
	s_or_b64 exec, exec, s[62:63]
	s_and_saveexec_b64 s[62:63], s[6:7]
	s_cbranch_execz .LBB174_51
.LBB174_70:                             ;   in Loop: Header=BB174_3 Depth=1
	v_lshl_add_u64 v[102:103], v[86:87], 0, v[38:39]
	global_load_ushort v3, v[102:103], off
	v_lshl_add_u64 v[102:103], v[88:89], 0, v[38:39]
	global_load_ushort v24, v[102:103], off
	s_waitcnt vmcnt(1)
	v_cvt_f32_f16_e32 v8, v3
	s_waitcnt vmcnt(0)
	v_cvt_f32_f16_e32 v24, v24
	s_or_b64 exec, exec, s[62:63]
	s_and_saveexec_b64 s[62:63], s[6:7]
	s_cbranch_execz .LBB174_52
.LBB174_71:                             ;   in Loop: Header=BB174_3 Depth=1
	v_lshl_add_u64 v[102:103], v[82:83], 0, v[38:39]
	global_load_ushort v3, v[102:103], off
	v_lshl_add_u64 v[102:103], v[84:85], 0, v[38:39]
	global_load_ushort v25, v[102:103], off
	s_waitcnt vmcnt(1)
	v_cvt_f32_f16_e32 v9, v3
	s_waitcnt vmcnt(0)
	v_cvt_f32_f16_e32 v25, v25
	s_or_b64 exec, exec, s[62:63]
	s_and_saveexec_b64 s[62:63], s[6:7]
	s_cbranch_execz .LBB174_53
.LBB174_72:                             ;   in Loop: Header=BB174_3 Depth=1
	v_lshl_add_u64 v[102:103], v[78:79], 0, v[38:39]
	global_load_ushort v3, v[102:103], off
	v_lshl_add_u64 v[102:103], v[80:81], 0, v[38:39]
	global_load_ushort v26, v[102:103], off
	s_waitcnt vmcnt(1)
	v_cvt_f32_f16_e32 v10, v3
	s_waitcnt vmcnt(0)
	v_cvt_f32_f16_e32 v26, v26
	s_or_b64 exec, exec, s[62:63]
	s_and_saveexec_b64 s[62:63], s[6:7]
	s_cbranch_execz .LBB174_54
.LBB174_73:                             ;   in Loop: Header=BB174_3 Depth=1
	v_lshl_add_u64 v[102:103], v[74:75], 0, v[38:39]
	global_load_ushort v3, v[102:103], off
	v_lshl_add_u64 v[102:103], v[76:77], 0, v[38:39]
	global_load_ushort v27, v[102:103], off
	s_waitcnt vmcnt(1)
	v_cvt_f32_f16_e32 v11, v3
	s_waitcnt vmcnt(0)
	v_cvt_f32_f16_e32 v27, v27
	s_or_b64 exec, exec, s[62:63]
	s_and_saveexec_b64 s[62:63], s[6:7]
	s_cbranch_execz .LBB174_55
.LBB174_74:                             ;   in Loop: Header=BB174_3 Depth=1
	v_lshl_add_u64 v[102:103], v[70:71], 0, v[38:39]
	global_load_ushort v3, v[102:103], off
	v_lshl_add_u64 v[102:103], v[72:73], 0, v[38:39]
	global_load_ushort v28, v[102:103], off
	s_waitcnt vmcnt(1)
	v_cvt_f32_f16_e32 v12, v3
	s_waitcnt vmcnt(0)
	v_cvt_f32_f16_e32 v28, v28
	s_or_b64 exec, exec, s[62:63]
	s_and_saveexec_b64 s[62:63], s[6:7]
	s_cbranch_execz .LBB174_56
.LBB174_75:                             ;   in Loop: Header=BB174_3 Depth=1
	v_lshl_add_u64 v[102:103], v[66:67], 0, v[38:39]
	global_load_ushort v3, v[102:103], off
	v_lshl_add_u64 v[102:103], v[68:69], 0, v[38:39]
	global_load_ushort v29, v[102:103], off
	s_waitcnt vmcnt(1)
	v_cvt_f32_f16_e32 v13, v3
	s_waitcnt vmcnt(0)
	v_cvt_f32_f16_e32 v29, v29
	s_or_b64 exec, exec, s[62:63]
	s_and_saveexec_b64 s[62:63], s[6:7]
	s_cbranch_execz .LBB174_57
.LBB174_76:                             ;   in Loop: Header=BB174_3 Depth=1
	v_lshl_add_u64 v[102:103], v[62:63], 0, v[38:39]
	global_load_ushort v3, v[102:103], off
	v_lshl_add_u64 v[102:103], v[64:65], 0, v[38:39]
	global_load_ushort v30, v[102:103], off
	s_waitcnt vmcnt(1)
	v_cvt_f32_f16_e32 v14, v3
	s_waitcnt vmcnt(0)
	v_cvt_f32_f16_e32 v30, v30
	s_or_b64 exec, exec, s[62:63]
	s_and_saveexec_b64 s[62:63], s[6:7]
	s_cbranch_execz .LBB174_58
.LBB174_77:                             ;   in Loop: Header=BB174_3 Depth=1
	v_lshl_add_u64 v[102:103], v[58:59], 0, v[38:39]
	global_load_ushort v3, v[102:103], off
	v_lshl_add_u64 v[102:103], v[60:61], 0, v[38:39]
	global_load_ushort v31, v[102:103], off
	s_waitcnt vmcnt(1)
	v_cvt_f32_f16_e32 v15, v3
	s_waitcnt vmcnt(0)
	v_cvt_f32_f16_e32 v31, v31
	s_or_b64 exec, exec, s[62:63]
	s_and_saveexec_b64 s[62:63], s[6:7]
	s_cbranch_execz .LBB174_59
.LBB174_78:                             ;   in Loop: Header=BB174_3 Depth=1
	v_lshl_add_u64 v[102:103], v[54:55], 0, v[38:39]
	global_load_ushort v3, v[102:103], off
	v_lshl_add_u64 v[102:103], v[56:57], 0, v[38:39]
	global_load_ushort v32, v[102:103], off
	s_waitcnt vmcnt(1)
	v_cvt_f32_f16_e32 v16, v3
	s_waitcnt vmcnt(0)
	v_cvt_f32_f16_e32 v32, v32
	s_or_b64 exec, exec, s[62:63]
	s_and_saveexec_b64 s[62:63], s[6:7]
	s_cbranch_execz .LBB174_60
.LBB174_79:                             ;   in Loop: Header=BB174_3 Depth=1
	v_lshl_add_u64 v[102:103], v[50:51], 0, v[38:39]
	global_load_ushort v3, v[102:103], off
	v_lshl_add_u64 v[102:103], v[52:53], 0, v[38:39]
	global_load_ushort v33, v[102:103], off
	s_waitcnt vmcnt(1)
	v_cvt_f32_f16_e32 v17, v3
	s_waitcnt vmcnt(0)
	v_cvt_f32_f16_e32 v33, v33
	s_or_b64 exec, exec, s[62:63]
	s_and_saveexec_b64 s[62:63], s[6:7]
	s_cbranch_execz .LBB174_61
.LBB174_80:                             ;   in Loop: Header=BB174_3 Depth=1
	v_lshl_add_u64 v[102:103], v[0:1], 0, v[38:39]
	global_load_ushort v3, v[102:103], off
	v_lshl_add_u64 v[102:103], v[48:49], 0, v[38:39]
	global_load_ushort v34, v[102:103], off
	s_waitcnt vmcnt(1)
	v_cvt_f32_f16_e32 v18, v3
	s_waitcnt vmcnt(0)
	v_cvt_f32_f16_e32 v34, v34
	s_or_b64 exec, exec, s[62:63]
	s_and_saveexec_b64 s[62:63], s[6:7]
	s_cbranch_execnz .LBB174_62
	s_branch .LBB174_63
.LBB174_81:
                                        ; implicit-def: $vgpr3
	s_branch .LBB174_84
.LBB174_82:
	v_mov_b32_e32 v73, v112
.LBB174_83:
	s_cbranch_execnz .LBB174_132
.LBB174_84:
	s_and_b64 vcc, exec, s[4:5]
	v_mov_b32_e32 v3, 0
	s_cbranch_vccnz .LBB174_132
; %bb.85:
	v_mov_b32_e32 v2, 0
	v_bfe_u32 v25, v73, 10, 10
	v_lshlrev_b32_e32 v0, 5, v25
	v_mov_b32_e32 v1, v2
	v_lshl_add_u64 v[0:1], s[18:19], 1, v[0:1]
	v_lshl_add_u64 v[6:7], v[0:1], 0, 2
	v_mov_b64_e32 v[4:5], s[12:13]
	v_mad_u64_u32 v[8:9], s[4:5], s10, v6, v[4:5]
	v_mul_lo_u32 v3, s10, v7
	v_mul_lo_u32 v7, s11, v6
	v_add3_u32 v9, v7, v9, v3
	scratch_store_dwordx2 off, v[8:9], off  ; 8-byte Folded Spill
	v_lshl_add_u64 v[8:9], v[0:1], 0, 4
	v_mad_u64_u32 v[10:11], s[4:5], s10, v8, v[4:5]
	v_mul_lo_u32 v9, s10, v9
	v_mul_lo_u32 v20, s11, v8
	v_add3_u32 v11, v20, v11, v9
	scratch_store_dwordx2 off, v[10:11], off offset:8 ; 8-byte Folded Spill
	v_lshl_add_u64 v[10:11], v[0:1], 0, 6
	v_mad_u64_u32 v[12:13], s[4:5], s10, v10, v[4:5]
	v_mul_lo_u32 v11, s10, v11
	v_mul_lo_u32 v21, s11, v10
	v_add3_u32 v13, v21, v13, v11
	scratch_store_dwordx2 off, v[12:13], off offset:16 ; 8-byte Folded Spill
	;; [unrolled: 6-line block ×5, first 2 shown]
	v_mov_b64_e32 v[18:19], s[14:15]
	v_mad_u64_u32 v[26:27], s[4:5], s10, v6, v[18:19]
	v_add3_u32 v27, v7, v27, v3
	scratch_store_dwordx2 off, v[26:27], off offset:48 ; 8-byte Folded Spill
	v_mad_u64_u32 v[26:27], s[4:5], s10, v8, v[18:19]
	v_lshl_add_u64 v[6:7], v[0:1], 0, 14
	v_add3_u32 v27, v20, v27, v9
	scratch_store_dwordx2 off, v[26:27], off offset:56 ; 8-byte Folded Spill
	v_mad_u64_u32 v[8:9], s[4:5], s10, v6, v[4:5]
	v_mad_u64_u32 v[26:27], s[4:5], s10, v10, v[18:19]
	v_mul_lo_u32 v3, s10, v7
	v_mul_lo_u32 v7, s11, v6
	v_add3_u32 v27, v21, v27, v11
	v_add3_u32 v9, v7, v9, v3
	v_mad_u64_u32 v[10:11], s[4:5], s10, v14, v[18:19]
	scratch_store_dwordx2 off, v[8:9], off offset:64 ; 8-byte Folded Spill
	v_mad_u64_u32 v[8:9], s[4:5], s10, v12, v[18:19]
	v_add3_u32 v11, v23, v11, v15
	v_add3_u32 v9, v22, v9, v13
	scratch_store_dwordx2 off, v[10:11], off offset:88 ; 8-byte Folded Spill
	v_mad_u64_u32 v[10:11], s[4:5], s10, v16, v[18:19]
	scratch_store_dwordx2 off, v[8:9], off offset:80 ; 8-byte Folded Spill
	v_lshl_add_u64 v[8:9], v[0:1], 0, 16
	v_add3_u32 v11, v24, v11, v17
	v_mad_u64_u32 v[12:13], s[4:5], s10, v8, v[4:5]
	scratch_store_dwordx2 off, v[10:11], off offset:104 ; 8-byte Folded Spill
	v_mul_lo_u32 v9, s10, v9
	v_mul_lo_u32 v10, s11, v8
	v_add3_u32 v13, v10, v13, v9
	scratch_store_dwordx2 off, v[12:13], off offset:96 ; 8-byte Folded Spill
	v_mad_u64_u32 v[12:13], s[4:5], s10, v6, v[18:19]
	v_add3_u32 v13, v7, v13, v3
	scratch_store_dwordx2 off, v[12:13], off offset:112 ; 8-byte Folded Spill
	v_lshl_add_u64 v[6:7], v[0:1], 0, 18
	v_mad_u64_u32 v[12:13], s[4:5], s10, v8, v[18:19]
	v_add3_u32 v13, v10, v13, v9
	v_mul_lo_u32 v3, s10, v7
	v_mul_lo_u32 v7, s11, v6
	v_mad_u64_u32 v[8:9], s[4:5], s10, v6, v[4:5]
	v_add3_u32 v9, v7, v9, v3
	scratch_store_dwordx2 off, v[8:9], off offset:128 ; 8-byte Folded Spill
	v_mad_u64_u32 v[8:9], s[4:5], s10, v6, v[18:19]
	v_add3_u32 v9, v7, v9, v3
	v_lshl_add_u64 v[6:7], v[0:1], 0, 20
	scratch_store_dwordx2 off, v[8:9], off offset:136 ; 8-byte Folded Spill
	v_mul_lo_u32 v3, s10, v7
	v_mul_lo_u32 v7, s11, v6
	v_mad_u64_u32 v[8:9], s[4:5], s10, v6, v[4:5]
	v_add3_u32 v9, v7, v9, v3
	scratch_store_dwordx2 off, v[8:9], off offset:144 ; 8-byte Folded Spill
	v_mad_u64_u32 v[8:9], s[4:5], s10, v6, v[18:19]
	v_add3_u32 v9, v7, v9, v3
	v_lshl_add_u64 v[6:7], v[0:1], 0, 22
	v_mul_lo_u32 v3, s10, v7
	v_mul_lo_u32 v7, s11, v6
	v_mad_u64_u32 v[76:77], s[4:5], s10, v6, v[4:5]
	v_mad_u64_u32 v[78:79], s[4:5], s10, v6, v[18:19]
	v_add3_u32 v77, v7, v77, v3
	v_add3_u32 v79, v7, v79, v3
	v_lshl_add_u64 v[6:7], v[0:1], 0, 24
	v_mul_lo_u32 v3, s10, v7
	v_mul_lo_u32 v7, s11, v6
	v_mad_u64_u32 v[80:81], s[4:5], s10, v6, v[4:5]
	v_mad_u64_u32 v[82:83], s[4:5], s10, v6, v[18:19]
	v_add3_u32 v81, v7, v81, v3
	;; [unrolled: 7-line block ×3, first 2 shown]
	v_add3_u32 v87, v7, v87, v3
	v_lshl_add_u64 v[6:7], v[0:1], 0, 28
	v_lshl_add_u64 v[0:1], v[0:1], 0, 30
	v_mad_u64_u32 v[92:93], s[4:5], s10, v0, v[4:5]
	v_mad_u64_u32 v[94:95], s[4:5], s10, v0, v[18:19]
	v_mul_lo_u32 v1, s10, v1
	v_mul_lo_u32 v0, s11, v0
	;; [unrolled: 1-line block ×4, first 2 shown]
	v_mad_u64_u32 v[88:89], s[4:5], s10, v6, v[4:5]
	v_mad_u64_u32 v[90:91], s[4:5], s10, v6, v[18:19]
	v_add3_u32 v93, v0, v93, v1
	v_add3_u32 v95, v0, v95, v1
	v_lshlrev_b32_e32 v0, 4, v25
	v_mov_b32_e32 v1, v2
	v_add3_u32 v89, v7, v89, v3
	v_add3_u32 v91, v7, v91, v3
	v_lshl_add_u64 v[6:7], v[0:1], 0, s[18:19]
	scratch_store_dwordx2 off, v[0:1], off offset:160 ; 8-byte Folded Spill
	v_lshl_add_u64 v[0:1], v[6:7], 0, 15
	v_mul_lo_u32 v3, s11, v0
	v_mul_lo_u32 v4, s10, v1
	v_mad_u64_u32 v[0:1], s[4:5], s10, v0, 0
	v_add3_u32 v1, v1, v4, v3
	v_lshl_add_u64 v[4:5], v[6:7], 0, 14
	scratch_store_dwordx2 off, v[8:9], off offset:152 ; 8-byte Folded Spill
	v_mul_lo_u32 v3, s11, v4
	v_mul_lo_u32 v8, s10, v5
	v_mad_u64_u32 v[4:5], s[4:5], s10, v4, 0
	v_add3_u32 v5, v5, v8, v3
	v_lshl_add_u64 v[8:9], v[6:7], 0, 13
	v_mul_lo_u32 v3, s11, v8
	v_mul_lo_u32 v10, s10, v9
	v_mad_u64_u32 v[8:9], s[4:5], s10, v8, 0
	v_add3_u32 v9, v9, v10, v3
	v_lshl_add_u64 v[10:11], v[6:7], 0, 12
	scratch_store_dwordx2 off, v[12:13], off offset:120 ; 8-byte Folded Spill
	v_mul_lo_u32 v3, s11, v10
	v_mul_lo_u32 v12, s10, v11
	v_mad_u64_u32 v[10:11], s[4:5], s10, v10, 0
	v_add3_u32 v11, v11, v12, v3
	v_lshl_add_u64 v[12:13], v[6:7], 0, 11
	v_mul_lo_u32 v3, s11, v12
	v_mul_lo_u32 v14, s10, v13
	v_mad_u64_u32 v[12:13], s[4:5], s10, v12, 0
	v_add3_u32 v13, v13, v14, v3
	v_lshl_add_u64 v[14:15], v[6:7], 0, 10
	;; [unrolled: 5-line block ×7, first 2 shown]
	scratch_store_dwordx2 off, v[26:27], off offset:72 ; 8-byte Folded Spill
	v_mul_lo_u32 v3, s11, v24
	v_mul_lo_u32 v26, s10, v25
	v_mad_u64_u32 v[24:25], s[4:5], s10, v24, 0
	v_add3_u32 v25, v25, v26, v3
	v_lshl_add_u64 v[26:27], v[6:7], 0, 4
	v_mul_lo_u32 v3, s11, v26
	v_mul_lo_u32 v28, s10, v27
	v_mad_u64_u32 v[26:27], s[4:5], s10, v26, 0
	v_add3_u32 v27, v27, v28, v3
	v_lshl_add_u64 v[28:29], v[6:7], 0, 3
	;; [unrolled: 5-line block ×3, first 2 shown]
	s_load_dword s3, s[0:1], 0x44
	v_lshlrev_b64 v[0:1], 1, v[0:1]
	v_mul_lo_u32 v3, s11, v30
	v_mul_lo_u32 v32, s10, v31
	v_mad_u64_u32 v[30:31], s[4:5], s10, v30, 0
	v_lshl_add_u64 v[104:105], s[12:13], 0, v[0:1]
	v_lshl_add_u64 v[106:107], s[14:15], 0, v[0:1]
	v_lshlrev_b64 v[0:1], 1, v[4:5]
	v_lshlrev_b64 v[4:5], 1, v[18:19]
	v_add3_u32 v31, v31, v32, v3
	v_mov_b64_e32 v[32:33], s[10:11]
	v_lshl_add_u64 v[36:37], s[12:13], 0, v[4:5]
	v_lshl_add_u64 v[38:39], s[14:15], 0, v[4:5]
	v_lshlrev_b64 v[4:5], 1, v[20:21]
	v_mad_u64_u32 v[32:33], s[4:5], s10, v6, v[32:33]
	v_mul_lo_u32 v3, s11, v6
	v_mul_lo_u32 v34, s10, v7
	v_mad_u64_u32 v[6:7], s[4:5], s10, v6, 0
	v_lshl_add_u64 v[40:41], s[12:13], 0, v[4:5]
	v_lshl_add_u64 v[42:43], s[14:15], 0, v[4:5]
	v_lshlrev_b64 v[4:5], 1, v[22:23]
	s_add_u32 s4, s0, 64
	v_lshl_add_u64 v[108:109], s[12:13], 0, v[0:1]
	v_lshl_add_u64 v[110:111], s[14:15], 0, v[0:1]
	v_lshlrev_b64 v[0:1], 1, v[8:9]
	v_lshl_add_u64 v[44:45], s[12:13], 0, v[4:5]
	v_lshl_add_u64 v[46:47], s[14:15], 0, v[4:5]
	v_lshlrev_b64 v[4:5], 1, v[24:25]
	s_addc_u32 s5, s1, 0
	s_waitcnt lgkmcnt(0)
	s_lshl_b32 s3, s3, 8
	v_lshl_add_u64 v[112:113], s[12:13], 0, v[0:1]
	v_lshl_add_u64 v[114:115], s[14:15], 0, v[0:1]
	v_lshlrev_b64 v[0:1], 1, v[10:11]
	v_lshl_add_u64 v[48:49], s[12:13], 0, v[4:5]
	v_lshl_add_u64 v[50:51], s[14:15], 0, v[4:5]
	v_lshlrev_b64 v[4:5], 1, v[26:27]
	v_add3_u32 v7, v7, v34, v3
	v_add3_u32 v33, v3, v33, v34
	v_and_b32_e32 v3, 0x3ff, v73
	s_mul_i32 s6, s11, s3
	s_mul_hi_u32 s7, s10, s3
	v_lshl_add_u64 v[116:117], s[12:13], 0, v[0:1]
	v_lshl_add_u64 v[118:119], s[14:15], 0, v[0:1]
	v_lshlrev_b64 v[0:1], 1, v[12:13]
	v_lshl_add_u64 v[52:53], s[12:13], 0, v[4:5]
	v_lshl_add_u64 v[54:55], s[14:15], 0, v[4:5]
	v_lshlrev_b64 v[4:5], 1, v[28:29]
	v_add_u32_e32 v34, s33, v3
	s_add_i32 s7, s7, s6
	s_mul_i32 s6, s10, s3
	v_lshl_add_u64 v[120:121], s[12:13], 0, v[0:1]
	v_lshl_add_u64 v[122:123], s[14:15], 0, v[0:1]
	v_lshlrev_b64 v[0:1], 1, v[14:15]
	v_lshl_add_u64 v[56:57], s[12:13], 0, v[4:5]
	v_lshl_add_u64 v[58:59], s[14:15], 0, v[4:5]
	v_lshlrev_b64 v[4:5], 1, v[30:31]
	v_mbcnt_lo_u32_b32 v3, -1, 0
	v_lshlrev_b64 v[6:7], 1, v[6:7]
	s_lshl_b64 s[6:7], s[6:7], 1
	v_lshl_add_u64 v[124:125], s[12:13], 0, v[0:1]
	v_lshl_add_u64 v[126:127], s[14:15], 0, v[0:1]
	v_lshlrev_b64 v[0:1], 1, v[16:17]
	v_lshl_add_u64 v[60:61], s[12:13], 0, v[4:5]
	v_lshl_add_u64 v[62:63], s[14:15], 0, v[4:5]
	v_lshlrev_b64 v[4:5], 1, v[32:33]
	v_mbcnt_hi_u32_b32 v3, -1, v3
	v_mov_b32_e32 v35, v2
	v_lshl_add_u64 v[100:101], s[12:13], 0, v[6:7]
	v_lshl_add_u64 v[102:103], s[14:15], 0, v[6:7]
	s_add_u32 s20, s18, 0xff
	v_lshl_add_u64 v[96:97], s[12:13], 0, v[0:1]
	v_lshl_add_u64 v[0:1], s[14:15], 0, v[0:1]
	;; [unrolled: 1-line block ×4, first 2 shown]
	s_movk_i32 s12, 0xff01
	s_movk_i32 s14, 0xff02
	;; [unrolled: 1-line block ×16, first 2 shown]
	v_lshlrev_b32_e32 v3, 2, v3
	v_lshlrev_b64 v[98:99], 1, v[34:35]
	s_addc_u32 s21, 0, 0
	s_mov_b32 s13, -1
	s_mov_b32 s15, -1
	;; [unrolled: 1-line block ×16, first 2 shown]
	v_and_b32_e32 v70, 0x100, v3
	v_mov_b32_e32 v71, 0
.LBB174_86:                             ; =>This Inner Loop Header: Depth=1
	v_mov_b64_e32 v[4:5], s[8:9]
	v_cmp_ge_i64_e32 vcc, s[20:21], v[4:5]
	scratch_load_dwordx2 v[4:5], off, off offset:160 ; 8-byte Folded Reload
	s_mov_b64 s[52:53], -1
                                        ; implicit-def: $vgpr3
	s_waitcnt vmcnt(0)
	v_lshl_add_u64 v[68:69], v[4:5], 0, s[20:21]
	s_cbranch_vccz .LBB174_124
; %bb.87:                               ;   in Loop: Header=BB174_86 Depth=1
	s_load_dword s33, s[4:5], 0xc
	v_bfe_u32 v3, v73, 10, 10
	v_and_b32_e32 v4, 0x3ff, v73
	v_mov_b32_e32 v72, 0
	s_waitcnt lgkmcnt(0)
	s_and_b32 s33, s33, 0xffff
	v_mad_u32_u24 v3, v3, s33, v4
	v_and_b32_e32 v4, 63, v3
	v_cmp_gt_u32_e32 vcc, 16, v4
	s_and_saveexec_b64 s[52:53], vcc
	s_cbranch_execz .LBB174_91
; %bb.88:                               ;   in Loop: Header=BB174_86 Depth=1
	v_mov_b32_e32 v5, v2
	v_lshl_add_u64 v[4:5], v[68:69], 0, v[4:5]
	v_lshl_add_u64 v[4:5], v[4:5], 0, s[12:13]
	v_cmp_gt_i64_e32 vcc, s[8:9], v[4:5]
	v_mov_b32_e32 v72, 0
	s_and_saveexec_b64 s[54:55], vcc
	s_cbranch_execz .LBB174_90
; %bb.89:                               ;   in Loop: Header=BB174_86 Depth=1
	v_lshl_add_u64 v[4:5], v[4:5], 2, s[16:17]
	global_load_dword v72, v[4:5], off
.LBB174_90:                             ;   in Loop: Header=BB174_86 Depth=1
	s_or_b64 exec, exec, s[54:55]
.LBB174_91:                             ;   in Loop: Header=BB174_86 Depth=1
	s_or_b64 exec, exec, s[52:53]
	v_lshl_add_u64 v[4:5], v[68:69], 0, s[12:13]
	v_mov_b32_e32 v16, v2
	v_mov_b32_e32 v17, v2
	v_cmp_gt_i64_e32 vcc, s[8:9], v[4:5]
	v_mov_b32_e32 v3, v2
	v_mov_b32_e32 v4, v2
	;; [unrolled: 1-line block ×13, first 2 shown]
	v_mov_b64_e32 v[34:35], v[16:17]
	v_mov_b64_e32 v[32:33], v[14:15]
	;; [unrolled: 1-line block ×16, first 2 shown]
	s_and_saveexec_b64 s[52:53], vcc
	s_cbranch_execz .LBB174_93
; %bb.92:                               ;   in Loop: Header=BB174_86 Depth=1
	v_lshl_add_u64 v[4:5], v[100:101], 0, v[98:99]
	global_load_ushort v3, v[4:5], off
	v_lshl_add_u64 v[4:5], v[102:103], 0, v[98:99]
	global_load_ushort v20, v[4:5], off
	v_mov_b32_e32 v5, v2
	v_mov_b32_e32 v6, v2
	;; [unrolled: 1-line block ×30, first 2 shown]
	s_waitcnt vmcnt(1)
	v_cvt_f32_f16_e32 v4, v3
	s_waitcnt vmcnt(0)
	v_cvt_f32_f16_e32 v20, v20
.LBB174_93:                             ;   in Loop: Header=BB174_86 Depth=1
	s_or_b64 exec, exec, s[52:53]
	v_lshl_add_u64 v[74:75], v[68:69], 0, s[14:15]
	v_cmp_gt_i64_e32 vcc, s[8:9], v[74:75]
	s_and_saveexec_b64 s[52:53], vcc
	s_cbranch_execz .LBB174_95
; %bb.94:                               ;   in Loop: Header=BB174_86 Depth=1
	v_lshl_add_u64 v[74:75], v[64:65], 0, v[98:99]
	global_load_ushort v3, v[74:75], off
	v_lshl_add_u64 v[74:75], v[66:67], 0, v[98:99]
	global_load_ushort v21, v[74:75], off
	s_waitcnt vmcnt(1)
	v_cvt_f32_f16_e32 v5, v3
	s_waitcnt vmcnt(0)
	v_cvt_f32_f16_e32 v21, v21
.LBB174_95:                             ;   in Loop: Header=BB174_86 Depth=1
	s_or_b64 exec, exec, s[52:53]
	v_lshl_add_u64 v[74:75], v[68:69], 0, s[22:23]
	v_cmp_gt_i64_e32 vcc, s[8:9], v[74:75]
	s_and_saveexec_b64 s[52:53], vcc
	s_cbranch_execz .LBB174_97
; %bb.96:                               ;   in Loop: Header=BB174_86 Depth=1
	v_lshl_add_u64 v[74:75], v[60:61], 0, v[98:99]
	global_load_ushort v3, v[74:75], off
	v_lshl_add_u64 v[74:75], v[62:63], 0, v[98:99]
	global_load_ushort v22, v[74:75], off
	s_waitcnt vmcnt(1)
	v_cvt_f32_f16_e32 v6, v3
	s_waitcnt vmcnt(0)
	v_cvt_f32_f16_e32 v22, v22
.LBB174_97:                             ;   in Loop: Header=BB174_86 Depth=1
	;; [unrolled: 15-line block ×3, first 2 shown]
	s_or_b64 exec, exec, s[52:53]
	v_lshl_add_u64 v[74:75], v[68:69], 0, s[26:27]
	v_cmp_gt_i64_e32 vcc, s[8:9], v[74:75]
	s_and_saveexec_b64 s[52:53], vcc
	s_cbranch_execz .LBB174_101
; %bb.100:                              ;   in Loop: Header=BB174_86 Depth=1
	v_lshl_add_u64 v[74:75], v[52:53], 0, v[98:99]
	global_load_ushort v3, v[74:75], off
	v_lshl_add_u64 v[74:75], v[54:55], 0, v[98:99]
	global_load_ushort v24, v[74:75], off
	s_waitcnt vmcnt(1)
	v_cvt_f32_f16_e32 v8, v3
	s_waitcnt vmcnt(0)
	v_cvt_f32_f16_e32 v24, v24
.LBB174_101:                            ;   in Loop: Header=BB174_86 Depth=1
	s_or_b64 exec, exec, s[52:53]
	v_lshl_add_u64 v[74:75], v[68:69], 0, s[28:29]
	v_cmp_gt_i64_e32 vcc, s[8:9], v[74:75]
	s_and_saveexec_b64 s[52:53], vcc
	s_cbranch_execz .LBB174_103
; %bb.102:                              ;   in Loop: Header=BB174_86 Depth=1
	v_lshl_add_u64 v[74:75], v[48:49], 0, v[98:99]
	global_load_ushort v3, v[74:75], off
	v_lshl_add_u64 v[74:75], v[50:51], 0, v[98:99]
	global_load_ushort v25, v[74:75], off
	s_waitcnt vmcnt(1)
	v_cvt_f32_f16_e32 v9, v3
	s_waitcnt vmcnt(0)
	v_cvt_f32_f16_e32 v25, v25
.LBB174_103:                            ;   in Loop: Header=BB174_86 Depth=1
	;; [unrolled: 15-line block ×12, first 2 shown]
	s_or_b64 exec, exec, s[52:53]
	s_waitcnt vmcnt(0)
	ds_bpermute_b32 v3, v70, v72
	v_mul_f32_e32 v4, v20, v4
	v_mul_f32_e32 v5, v21, v5
	v_pk_mul_f32 v[8:9], v[24:25], v[8:9]
	v_pk_mul_f32 v[10:11], v[26:27], v[10:11]
	s_waitcnt lgkmcnt(0)
	v_fma_f32 v3, v4, v3, v71
	ds_bpermute_b32 v4, v70, v72 offset:4
	v_pk_mul_f32 v[12:13], v[28:29], v[12:13]
	v_pk_mul_f32 v[14:15], v[30:31], v[14:15]
	;; [unrolled: 1-line block ×3, first 2 shown]
	s_mov_b64 s[52:53], 0
	s_waitcnt lgkmcnt(0)
	v_fmac_f32_e32 v3, v5, v4
	ds_bpermute_b32 v4, v70, v72 offset:8
	v_mul_f32_e32 v5, v22, v6
	ds_bpermute_b32 v6, v70, v72 offset:16
	s_waitcnt lgkmcnt(1)
	v_fmac_f32_e32 v3, v5, v4
	ds_bpermute_b32 v4, v70, v72 offset:12
	v_mul_f32_e32 v5, v23, v7
	ds_bpermute_b32 v7, v70, v72 offset:20
	s_waitcnt lgkmcnt(1)
	v_fmac_f32_e32 v3, v5, v4
	v_pk_mul_f32 v[4:5], v[34:35], v[18:19]
	s_waitcnt lgkmcnt(0)
	v_pk_mul_f32 v[6:7], v[8:9], v[6:7]
	s_nop 0
	v_add_f32_e32 v3, v3, v6
	v_add_f32_e32 v3, v3, v7
	ds_bpermute_b32 v6, v70, v72 offset:24
	ds_bpermute_b32 v7, v70, v72 offset:28
	s_waitcnt lgkmcnt(0)
	v_pk_mul_f32 v[6:7], v[10:11], v[6:7]
	s_nop 0
	v_add_f32_e32 v3, v3, v6
	v_add_f32_e32 v3, v3, v7
	ds_bpermute_b32 v6, v70, v72 offset:32
	ds_bpermute_b32 v7, v70, v72 offset:36
	;; [unrolled: 7-line block ×5, first 2 shown]
	s_waitcnt lgkmcnt(0)
	v_pk_mul_f32 v[4:5], v[4:5], v[6:7]
	s_nop 0
	v_add_f32_e32 v3, v3, v4
	v_add_f32_e32 v3, v3, v5
.LBB174_124:                            ;   in Loop: Header=BB174_86 Depth=1
	s_and_b64 vcc, exec, s[52:53]
	s_cbranch_vccz .LBB174_130
; %bb.125:                              ;   in Loop: Header=BB174_86 Depth=1
	s_load_dword s33, s[4:5], 0x0
	v_bfe_u32 v4, v73, 10, 10
	v_and_b32_e32 v5, 0x3ff, v73
	s_waitcnt lgkmcnt(0)
	s_cmp_lt_u32 s2, s33
	s_cselect_b32 s33, 12, 18
	s_add_u32 s52, s4, s33
	s_addc_u32 s53, s5, 0
	global_load_ushort v3, v2, s[52:53]
	s_waitcnt vmcnt(0)
	v_mad_u32_u24 v3, v4, v3, v5
	v_and_b32_e32 v4, 63, v3
	v_cmp_gt_u32_e32 vcc, 16, v4
	v_mov_b32_e32 v3, 0
	s_and_saveexec_b64 s[52:53], vcc
	s_cbranch_execz .LBB174_129
; %bb.126:                              ;   in Loop: Header=BB174_86 Depth=1
	v_mov_b32_e32 v5, v2
	v_lshl_add_u64 v[4:5], v[68:69], 0, v[4:5]
	v_lshl_add_u64 v[4:5], v[4:5], 0, s[12:13]
	v_cmp_gt_i64_e32 vcc, s[8:9], v[4:5]
	v_mov_b32_e32 v3, 0
	s_and_saveexec_b64 s[54:55], vcc
	s_cbranch_execz .LBB174_128
; %bb.127:                              ;   in Loop: Header=BB174_86 Depth=1
	v_lshl_add_u64 v[4:5], v[4:5], 2, s[16:17]
	global_load_dword v3, v[4:5], off
.LBB174_128:                            ;   in Loop: Header=BB174_86 Depth=1
	s_or_b64 exec, exec, s[54:55]
.LBB174_129:                            ;   in Loop: Header=BB174_86 Depth=1
	s_or_b64 exec, exec, s[52:53]
	v_lshl_add_u64 v[4:5], v[100:101], 0, v[98:99]
	global_load_ushort v4, v[4:5], off
	v_lshl_add_u64 v[14:15], v[90:91], 0, v[98:99]
	s_waitcnt vmcnt(0)
	v_cvt_f32_f16_e32 v13, v4
	v_lshl_add_u64 v[4:5], v[102:103], 0, v[98:99]
	global_load_ushort v4, v[4:5], off
	s_waitcnt vmcnt(0)
	v_cvt_f32_f16_e32 v16, v4
	scratch_load_dwordx2 v[4:5], off, off   ; 8-byte Folded Reload
	v_mul_f32_e32 v13, v13, v16
	s_waitcnt vmcnt(0)
	v_lshl_add_u64 v[4:5], v[4:5], 0, v[98:99]
	global_load_ushort v4, v[4:5], off
	s_waitcnt vmcnt(0)
	v_cvt_f32_f16_e32 v17, v4
	scratch_load_dwordx2 v[4:5], off, off offset:48 ; 8-byte Folded Reload
	s_waitcnt vmcnt(0)
	v_lshl_add_u64 v[4:5], v[4:5], 0, v[98:99]
	global_load_ushort v4, v[4:5], off
	s_waitcnt vmcnt(0)
	v_cvt_f32_f16_e32 v18, v4
	scratch_load_dwordx2 v[4:5], off, off offset:8 ; 8-byte Folded Reload
	;; [unrolled: 6-line block ×6, first 2 shown]
	s_waitcnt vmcnt(0)
	v_lshl_add_u64 v[4:5], v[4:5], 0, v[98:99]
	global_load_ushort v23, v[4:5], off
	s_nop 0
	scratch_load_dwordx2 v[4:5], off, off offset:80 ; 8-byte Folded Reload
	s_waitcnt vmcnt(1)
	v_cvt_f32_f16_e32 v16, v23
	s_waitcnt vmcnt(0)
	v_lshl_add_u64 v[4:5], v[4:5], 0, v[98:99]
	global_load_ushort v24, v[4:5], off
	s_nop 0
	scratch_load_dwordx2 v[4:5], off, off offset:32 ; 8-byte Folded Reload
	s_waitcnt vmcnt(0)
	v_lshl_add_u64 v[4:5], v[4:5], 0, v[98:99]
	global_load_ushort v25, v[4:5], off
	s_nop 0
	scratch_load_dwordx2 v[4:5], off, off offset:88 ; 8-byte Folded Reload
	;; [unrolled: 5-line block ×12, first 2 shown]
	s_waitcnt vmcnt(0)
	v_lshl_add_u64 v[4:5], v[4:5], 0, v[98:99]
	global_load_ushort v10, v[4:5], off
	v_lshl_add_u64 v[4:5], v[76:77], 0, v[98:99]
	global_load_ushort v35, v[4:5], off
	;; [unrolled: 2-line block ×8, first 2 shown]
	s_nop 0
	global_load_ushort v5, v[14:15], off
	v_lshl_add_u64 v[14:15], v[92:93], 0, v[98:99]
	global_load_ushort v8, v[14:15], off
	v_lshl_add_u64 v[14:15], v[94:95], 0, v[98:99]
	global_load_ushort v11, v[14:15], off
	ds_bpermute_b32 v14, v70, v3
	ds_bpermute_b32 v15, v70, v3 offset:20
	s_waitcnt lgkmcnt(1)
	v_fmac_f32_e32 v71, v13, v14
	ds_bpermute_b32 v13, v70, v3 offset:4
	v_mul_f32_e32 v14, v17, v18
	v_cvt_f32_f16_e32 v17, v25
	v_cvt_f32_f16_e32 v18, v24
	s_waitcnt lgkmcnt(0)
	v_fmac_f32_e32 v71, v14, v13
	ds_bpermute_b32 v13, v70, v3 offset:8
	v_mul_f32_e32 v14, v19, v20
	v_cvt_f32_f16_e32 v19, v26
	s_waitcnt lgkmcnt(0)
	v_fmac_f32_e32 v71, v14, v13
	ds_bpermute_b32 v13, v70, v3 offset:12
	v_mul_f32_e32 v14, v21, v22
	v_pk_mul_f32 v[16:17], v[16:17], v[18:19]
	v_cvt_f32_f16_e32 v19, v30
	v_cvt_f32_f16_e32 v18, v28
	s_waitcnt lgkmcnt(0)
	v_fmac_f32_e32 v71, v14, v13
	ds_bpermute_b32 v14, v70, v3 offset:16
	s_waitcnt lgkmcnt(0)
	v_pk_mul_f32 v[14:15], v[16:17], v[14:15]
	s_nop 0
	v_add_f32_e32 v13, v71, v14
	v_add_f32_e32 v13, v13, v15
	ds_bpermute_b32 v14, v70, v3 offset:24
	ds_bpermute_b32 v15, v70, v3 offset:28
	v_cvt_f32_f16_e32 v17, v29
	v_cvt_f32_f16_e32 v16, v27
	v_pk_mul_f32 v[16:17], v[16:17], v[18:19]
	s_waitcnt lgkmcnt(0)
	v_pk_mul_f32 v[14:15], v[16:17], v[14:15]
	v_cvt_f32_f16_e32 v17, v33
	v_add_f32_e32 v13, v13, v14
	v_add_f32_e32 v13, v13, v15
	ds_bpermute_b32 v14, v70, v3 offset:32
	ds_bpermute_b32 v15, v70, v3 offset:36
	v_cvt_f32_f16_e32 v16, v31
	v_cvt_f32_f16_e32 v19, v34
	;; [unrolled: 1-line block ×3, first 2 shown]
	v_pk_mul_f32 v[16:17], v[16:17], v[18:19]
	s_waitcnt lgkmcnt(0)
	v_pk_mul_f32 v[14:15], v[16:17], v[14:15]
	v_cvt_f32_f16_e32 v16, v9
	v_add_f32_e32 v13, v13, v14
	v_add_f32_e32 v13, v13, v15
	ds_bpermute_b32 v14, v70, v3 offset:40
	ds_bpermute_b32 v15, v70, v3 offset:44
	s_waitcnt vmcnt(10)
	v_cvt_f32_f16_e32 v18, v10
	s_waitcnt vmcnt(9)
	v_cvt_f32_f16_e32 v17, v35
	;; [unrolled: 2-line block ×3, first 2 shown]
	v_pk_mul_f32 v[16:17], v[16:17], v[18:19]
	s_waitcnt lgkmcnt(0)
	v_pk_mul_f32 v[14:15], v[16:17], v[14:15]
	s_waitcnt vmcnt(6)
	v_cvt_f32_f16_e32 v16, v7
	v_add_f32_e32 v9, v13, v14
	v_add_f32_e32 v9, v9, v15
	ds_bpermute_b32 v14, v70, v3 offset:48
	ds_bpermute_b32 v15, v70, v3 offset:52
	s_waitcnt vmcnt(5)
	v_cvt_f32_f16_e32 v13, v12
	v_cvt_f32_f16_e32 v12, v6
	s_waitcnt vmcnt(4)
	v_cvt_f32_f16_e32 v17, v69
	s_waitcnt vmcnt(2)
	;; [unrolled: 2-line block ×3, first 2 shown]
	v_cvt_f32_f16_e32 v11, v11
	v_pk_mul_f32 v[6:7], v[12:13], v[16:17]
	s_waitcnt lgkmcnt(0)
	v_pk_mul_f32 v[6:7], v[6:7], v[14:15]
	s_nop 0
	v_add_f32_e32 v6, v9, v6
	v_add_f32_e32 v12, v6, v7
	ds_bpermute_b32 v6, v70, v3 offset:56
	ds_bpermute_b32 v7, v70, v3 offset:60
	v_cvt_f32_f16_e32 v9, v8
	v_cvt_f32_f16_e32 v8, v4
	v_pk_mul_f32 v[4:5], v[8:9], v[10:11]
	s_waitcnt lgkmcnt(0)
	v_pk_mul_f32 v[4:5], v[4:5], v[6:7]
	s_nop 0
	v_add_f32_e32 v3, v12, v4
	v_add_f32_e32 v3, v3, v5
.LBB174_130:                            ;   in Loop: Header=BB174_86 Depth=1
	s_add_u32 s18, s18, s3
	s_addc_u32 s19, s19, 0
	v_mov_b64_e32 v[4:5], s[8:9]
	v_cmp_ge_i64_e32 vcc, s[18:19], v[4:5]
	scratch_load_dwordx2 v[4:5], off, off   ; 8-byte Folded Reload
	s_add_u32 s20, s20, s3
	v_lshl_add_u64 v[100:101], v[100:101], 0, s[6:7]
	v_lshl_add_u64 v[102:103], v[102:103], 0, s[6:7]
	s_addc_u32 s21, s21, 0
	v_lshl_add_u64 v[76:77], v[76:77], 0, s[6:7]
	v_lshl_add_u64 v[80:81], v[80:81], 0, s[6:7]
	;; [unrolled: 1-line block ×40, first 2 shown]
	s_and_b64 vcc, exec, vcc
	s_waitcnt vmcnt(0)
	v_lshl_add_u64 v[4:5], v[4:5], 0, s[6:7]
	scratch_store_dwordx2 off, v[4:5], off  ; 8-byte Folded Spill
	scratch_load_dwordx2 v[4:5], off, off offset:8 ; 8-byte Folded Reload
	s_waitcnt vmcnt(0)
	v_lshl_add_u64 v[4:5], v[4:5], 0, s[6:7]
	scratch_store_dwordx2 off, v[4:5], off offset:8 ; 8-byte Folded Spill
	scratch_load_dwordx2 v[4:5], off, off offset:16 ; 8-byte Folded Reload
	s_waitcnt vmcnt(0)
	v_lshl_add_u64 v[4:5], v[4:5], 0, s[6:7]
	scratch_store_dwordx2 off, v[4:5], off offset:16 ; 8-byte Folded Spill
	;; [unrolled: 4-line block ×19, first 2 shown]
	s_cbranch_vccnz .LBB174_132
; %bb.131:                              ;   in Loop: Header=BB174_86 Depth=1
	v_mov_b32_e32 v71, v3
	s_branch .LBB174_86
.LBB174_132:
	v_and_b32_e32 v1, 0x3ff, v73
	v_bfe_u32 v0, v73, 10, 10
	s_movk_i32 s3, 0x41
	v_mad_u32_u24 v2, v0, s3, v1
	v_lshl_add_u32 v2, v2, 2, 0
	ds_write_b32 v2, v3
	v_mov_b32_e32 v3, 0
	ds_write_b32 v2, v3 offset:4160
	v_bfe_u32 v2, v73, 6, 4
	v_add_u32_e32 v0, v2, v0
	v_cmp_gt_u32_e32 vcc, 64, v0
	s_waitcnt lgkmcnt(0)
	s_barrier
	s_and_saveexec_b64 s[4:5], vcc
	s_cbranch_execz .LBB174_152
; %bb.133:
	s_load_dwordx2 s[4:5], s[0:1], 0x30
	v_and_b32_e32 v2, 63, v1
	v_cmp_gt_u32_e32 vcc, 16, v2
	v_mul_u32_u24_e32 v4, 0x41, v2
                                        ; implicit-def: $vgpr2
	s_and_saveexec_b64 s[0:1], vcc
; %bb.134:
	v_lshlrev_b32_e32 v2, 2, v0
	v_lshlrev_b32_e32 v3, 2, v4
	v_add3_u32 v2, 0, v2, v3
	ds_read_b32 v2, v2
; %bb.135:
	s_or_b64 exec, exec, s[0:1]
	v_mbcnt_lo_u32_b32 v3, -1, 0
	v_mbcnt_hi_u32_b32 v3, -1, v3
	v_and_b32_e32 v5, 64, v3
	v_add_u32_e32 v8, 64, v5
	v_xor_b32_e32 v5, 8, v3
	v_cmp_lt_i32_e64 s[0:1], v5, v8
	v_xor_b32_e32 v7, 4, v3
	v_xor_b32_e32 v9, 2, v3
	v_cndmask_b32_e64 v5, v3, v5, s[0:1]
	v_lshlrev_b32_e32 v5, 2, v5
	s_waitcnt lgkmcnt(0)
	ds_bpermute_b32 v6, v5, v2
	v_cmp_lt_i32_e64 s[0:1], v7, v8
	v_xor_b32_e32 v10, 1, v3
	s_mov_b32 s3, 0
	s_lshl_b64 s[6:7], s[2:3], 6
	s_waitcnt lgkmcnt(0)
	v_add_f32_e32 v2, v2, v6
	v_cndmask_b32_e64 v6, v3, v7, s[0:1]
	v_lshlrev_b32_e32 v6, 2, v6
	ds_bpermute_b32 v7, v6, v2
	v_cmp_lt_i32_e64 s[0:1], v9, v8
	s_cmp_eq_u64 s[4:5], 0
	s_cselect_b64 s[8:9], -1, 0
	s_waitcnt lgkmcnt(0)
	v_add_f32_e32 v2, v2, v7
	v_cndmask_b32_e64 v7, v3, v9, s[0:1]
	v_lshlrev_b32_e32 v7, 2, v7
	ds_bpermute_b32 v9, v7, v2
	v_cmp_lt_i32_e64 s[0:1], v10, v8
	s_waitcnt lgkmcnt(0)
	v_add_f32_e32 v2, v2, v9
	v_cndmask_b32_e64 v3, v3, v10, s[0:1]
	v_lshlrev_b32_e32 v8, 2, v3
	ds_bpermute_b32 v3, v8, v2
	v_cmp_ne_u32_e64 s[0:1], 0, v1
	s_waitcnt lgkmcnt(0)
	v_add_f32_e32 v9, v2, v3
	v_or_b32_e32 v2, s6, v0
	v_mov_b32_e32 v3, s7
	v_cmp_le_i64_e64 s[2:3], s[10:11], v[2:3]
	s_or_b64 s[2:3], s[0:1], s[2:3]
	s_nor_b64 s[12:13], s[8:9], s[2:3]
	s_and_saveexec_b64 s[2:3], s[12:13]
	s_cbranch_execz .LBB174_137
; %bb.136:
	v_cvt_f16_f32_e32 v1, v9
	v_lshl_add_u64 v[2:3], v[2:3], 1, s[4:5]
	global_store_short v[2:3], v1, off
.LBB174_137:
	s_or_b64 exec, exec, s[2:3]
	v_cmp_gt_u32_e64 s[2:3], 48, v0
	s_and_b64 exec, exec, s[2:3]
	s_cbranch_execz .LBB174_152
; %bb.138:
	v_mov_b32_e32 v1, 0
	s_and_saveexec_b64 s[2:3], vcc
; %bb.139:
	v_lshlrev_b32_e32 v2, 2, v0
	v_lshlrev_b32_e32 v3, 2, v4
	v_add3_u32 v2, 0, v2, v3
	ds_read_b32 v9, v2 offset:64
; %bb.140:
	s_or_b64 exec, exec, s[2:3]
	s_waitcnt lgkmcnt(0)
	ds_bpermute_b32 v2, v5, v9
	s_waitcnt lgkmcnt(0)
	v_add_f32_e32 v2, v9, v2
	ds_bpermute_b32 v3, v6, v2
	s_waitcnt lgkmcnt(0)
	v_add_f32_e32 v3, v2, v3
	ds_bpermute_b32 v9, v7, v3
	v_add_u32_e32 v2, 16, v0
	s_waitcnt lgkmcnt(0)
	v_add_f32_e32 v9, v3, v9
	ds_bpermute_b32 v10, v8, v9
	v_mov_b32_e32 v3, v1
	v_lshl_add_u64 v[2:3], s[6:7], 0, v[2:3]
	v_cmp_le_i64_e64 s[2:3], s[10:11], v[2:3]
	s_or_b64 s[2:3], s[0:1], s[2:3]
	s_waitcnt lgkmcnt(0)
	v_add_f32_e32 v2, v9, v10
	s_nor_b64 s[12:13], s[8:9], s[2:3]
	s_and_saveexec_b64 s[2:3], s[12:13]
	s_cbranch_execz .LBB174_142
; %bb.141:
	v_cvt_f16_f32_e32 v3, v2
	v_lshl_add_u64 v[10:11], s[6:7], 0, v[0:1]
	v_lshl_add_u64 v[10:11], v[10:11], 1, s[4:5]
	global_store_short v[10:11], v3, off offset:32
.LBB174_142:
	s_or_b64 exec, exec, s[2:3]
	v_cmp_gt_u32_e64 s[2:3], 32, v0
	s_and_b64 exec, exec, s[2:3]
	s_cbranch_execz .LBB174_152
; %bb.143:
	s_and_saveexec_b64 s[2:3], vcc
; %bb.144:
	v_lshlrev_b32_e32 v2, 2, v0
	v_lshlrev_b32_e32 v3, 2, v4
	v_add3_u32 v2, 0, v2, v3
	ds_read_b32 v2, v2 offset:128
; %bb.145:
	s_or_b64 exec, exec, s[2:3]
	s_waitcnt lgkmcnt(0)
	ds_bpermute_b32 v3, v5, v2
	v_add_u32_e32 v9, 32, v0
	s_waitcnt lgkmcnt(0)
	v_add_f32_e32 v2, v2, v3
	ds_bpermute_b32 v3, v6, v2
	s_waitcnt lgkmcnt(0)
	v_add_f32_e32 v2, v2, v3
	ds_bpermute_b32 v3, v7, v2
	;; [unrolled: 3-line block ×3, first 2 shown]
	v_mov_b32_e32 v3, s7
	v_or_b32_e32 v2, s6, v9
	v_cmp_le_i64_e64 s[2:3], s[10:11], v[2:3]
	s_or_b64 s[2:3], s[0:1], s[2:3]
	s_waitcnt lgkmcnt(0)
	v_add_f32_e32 v2, v10, v11
	s_nor_b64 s[12:13], s[8:9], s[2:3]
	s_and_saveexec_b64 s[2:3], s[12:13]
	s_cbranch_execz .LBB174_147
; %bb.146:
	v_cvt_f16_f32_e32 v3, v2
	v_lshl_add_u64 v[10:11], s[6:7], 0, v[0:1]
	v_lshl_add_u64 v[10:11], v[10:11], 1, s[4:5]
	global_store_short v[10:11], v3, off offset:64
.LBB174_147:
	s_or_b64 exec, exec, s[2:3]
	v_cmp_gt_u32_e64 s[2:3], 16, v0
	s_and_b64 exec, exec, s[2:3]
	s_cbranch_execz .LBB174_152
; %bb.148:
	s_and_saveexec_b64 s[2:3], vcc
; %bb.149:
	v_lshlrev_b32_e32 v2, 2, v0
	v_lshlrev_b32_e32 v3, 2, v4
	v_add3_u32 v2, 0, v2, v3
	ds_read_b32 v2, v2 offset:192
; %bb.150:
	s_or_b64 exec, exec, s[2:3]
	s_waitcnt lgkmcnt(0)
	ds_bpermute_b32 v3, v5, v2
	v_add_u32_e32 v4, 48, v0
	v_or_b32_e32 v4, s6, v4
	v_mov_b32_e32 v5, s7
	v_cmp_le_i64_e32 vcc, s[10:11], v[4:5]
	s_waitcnt lgkmcnt(0)
	v_add_f32_e32 v2, v2, v3
	ds_bpermute_b32 v3, v6, v2
	s_or_b64 s[0:1], s[0:1], vcc
	s_nor_b64 s[0:1], s[8:9], s[0:1]
	s_waitcnt lgkmcnt(0)
	v_add_f32_e32 v2, v2, v3
	ds_bpermute_b32 v3, v7, v2
	s_waitcnt lgkmcnt(0)
	v_add_f32_e32 v2, v2, v3
	ds_bpermute_b32 v3, v8, v2
	s_and_saveexec_b64 s[2:3], s[0:1]
	s_xor_b64 s[2:3], exec, s[2:3]
	s_cbranch_execz .LBB174_152
; %bb.151:
	s_waitcnt lgkmcnt(0)
	v_add_f32_e32 v2, v2, v3
	v_cvt_f16_f32_e32 v2, v2
	v_lshl_add_u64 v[0:1], s[6:7], 0, v[0:1]
	v_lshl_add_u64 v[0:1], v[0:1], 1, s[4:5]
	global_store_short v[0:1], v2, off offset:96
.LBB174_152:
	s_endpgm
	.section	.rodata,"a",@progbits
	.p2align	6, 0x0
	.amdhsa_kernel _ZN2at6native12_GLOBAL__N_135GammaBetaBackwardCUDAKernelTemplateIN3c104HalfEfLj64ELj16ELj256ELb0ELb0ELb1EEEvllPKT_S7_PKT0_SA_PS5_SB_
		.amdhsa_group_segment_fixed_size 0
		.amdhsa_private_segment_fixed_size 172
		.amdhsa_kernarg_size 320
		.amdhsa_user_sgpr_count 2
		.amdhsa_user_sgpr_dispatch_ptr 0
		.amdhsa_user_sgpr_queue_ptr 0
		.amdhsa_user_sgpr_kernarg_segment_ptr 1
		.amdhsa_user_sgpr_dispatch_id 0
		.amdhsa_user_sgpr_kernarg_preload_length 0
		.amdhsa_user_sgpr_kernarg_preload_offset 0
		.amdhsa_user_sgpr_private_segment_size 0
		.amdhsa_uses_dynamic_stack 0
		.amdhsa_enable_private_segment 1
		.amdhsa_system_sgpr_workgroup_id_x 1
		.amdhsa_system_sgpr_workgroup_id_y 1
		.amdhsa_system_sgpr_workgroup_id_z 0
		.amdhsa_system_sgpr_workgroup_info 0
		.amdhsa_system_vgpr_workitem_id 1
		.amdhsa_next_free_vgpr 128
		.amdhsa_next_free_sgpr 66
		.amdhsa_accum_offset 128
		.amdhsa_reserve_vcc 1
		.amdhsa_float_round_mode_32 0
		.amdhsa_float_round_mode_16_64 0
		.amdhsa_float_denorm_mode_32 3
		.amdhsa_float_denorm_mode_16_64 3
		.amdhsa_dx10_clamp 1
		.amdhsa_ieee_mode 1
		.amdhsa_fp16_overflow 0
		.amdhsa_tg_split 0
		.amdhsa_exception_fp_ieee_invalid_op 0
		.amdhsa_exception_fp_denorm_src 0
		.amdhsa_exception_fp_ieee_div_zero 0
		.amdhsa_exception_fp_ieee_overflow 0
		.amdhsa_exception_fp_ieee_underflow 0
		.amdhsa_exception_fp_ieee_inexact 0
		.amdhsa_exception_int_div_zero 0
	.end_amdhsa_kernel
	.section	.text._ZN2at6native12_GLOBAL__N_135GammaBetaBackwardCUDAKernelTemplateIN3c104HalfEfLj64ELj16ELj256ELb0ELb0ELb1EEEvllPKT_S7_PKT0_SA_PS5_SB_,"axG",@progbits,_ZN2at6native12_GLOBAL__N_135GammaBetaBackwardCUDAKernelTemplateIN3c104HalfEfLj64ELj16ELj256ELb0ELb0ELb1EEEvllPKT_S7_PKT0_SA_PS5_SB_,comdat
.Lfunc_end174:
	.size	_ZN2at6native12_GLOBAL__N_135GammaBetaBackwardCUDAKernelTemplateIN3c104HalfEfLj64ELj16ELj256ELb0ELb0ELb1EEEvllPKT_S7_PKT0_SA_PS5_SB_, .Lfunc_end174-_ZN2at6native12_GLOBAL__N_135GammaBetaBackwardCUDAKernelTemplateIN3c104HalfEfLj64ELj16ELj256ELb0ELb0ELb1EEEvllPKT_S7_PKT0_SA_PS5_SB_
                                        ; -- End function
	.set _ZN2at6native12_GLOBAL__N_135GammaBetaBackwardCUDAKernelTemplateIN3c104HalfEfLj64ELj16ELj256ELb0ELb0ELb1EEEvllPKT_S7_PKT0_SA_PS5_SB_.num_vgpr, 128
	.set _ZN2at6native12_GLOBAL__N_135GammaBetaBackwardCUDAKernelTemplateIN3c104HalfEfLj64ELj16ELj256ELb0ELb0ELb1EEEvllPKT_S7_PKT0_SA_PS5_SB_.num_agpr, 0
	.set _ZN2at6native12_GLOBAL__N_135GammaBetaBackwardCUDAKernelTemplateIN3c104HalfEfLj64ELj16ELj256ELb0ELb0ELb1EEEvllPKT_S7_PKT0_SA_PS5_SB_.numbered_sgpr, 66
	.set _ZN2at6native12_GLOBAL__N_135GammaBetaBackwardCUDAKernelTemplateIN3c104HalfEfLj64ELj16ELj256ELb0ELb0ELb1EEEvllPKT_S7_PKT0_SA_PS5_SB_.num_named_barrier, 0
	.set _ZN2at6native12_GLOBAL__N_135GammaBetaBackwardCUDAKernelTemplateIN3c104HalfEfLj64ELj16ELj256ELb0ELb0ELb1EEEvllPKT_S7_PKT0_SA_PS5_SB_.private_seg_size, 172
	.set _ZN2at6native12_GLOBAL__N_135GammaBetaBackwardCUDAKernelTemplateIN3c104HalfEfLj64ELj16ELj256ELb0ELb0ELb1EEEvllPKT_S7_PKT0_SA_PS5_SB_.uses_vcc, 1
	.set _ZN2at6native12_GLOBAL__N_135GammaBetaBackwardCUDAKernelTemplateIN3c104HalfEfLj64ELj16ELj256ELb0ELb0ELb1EEEvllPKT_S7_PKT0_SA_PS5_SB_.uses_flat_scratch, 0
	.set _ZN2at6native12_GLOBAL__N_135GammaBetaBackwardCUDAKernelTemplateIN3c104HalfEfLj64ELj16ELj256ELb0ELb0ELb1EEEvllPKT_S7_PKT0_SA_PS5_SB_.has_dyn_sized_stack, 0
	.set _ZN2at6native12_GLOBAL__N_135GammaBetaBackwardCUDAKernelTemplateIN3c104HalfEfLj64ELj16ELj256ELb0ELb0ELb1EEEvllPKT_S7_PKT0_SA_PS5_SB_.has_recursion, 0
	.set _ZN2at6native12_GLOBAL__N_135GammaBetaBackwardCUDAKernelTemplateIN3c104HalfEfLj64ELj16ELj256ELb0ELb0ELb1EEEvllPKT_S7_PKT0_SA_PS5_SB_.has_indirect_call, 0
	.section	.AMDGPU.csdata,"",@progbits
; Kernel info:
; codeLenInByte = 13256
; TotalNumSgprs: 72
; NumVgprs: 128
; NumAgprs: 0
; TotalNumVgprs: 128
; ScratchSize: 172
; MemoryBound: 0
; FloatMode: 240
; IeeeMode: 1
; LDSByteSize: 0 bytes/workgroup (compile time only)
; SGPRBlocks: 8
; VGPRBlocks: 15
; NumSGPRsForWavesPerEU: 72
; NumVGPRsForWavesPerEU: 128
; AccumOffset: 128
; Occupancy: 4
; WaveLimiterHint : 0
; COMPUTE_PGM_RSRC2:SCRATCH_EN: 1
; COMPUTE_PGM_RSRC2:USER_SGPR: 2
; COMPUTE_PGM_RSRC2:TRAP_HANDLER: 0
; COMPUTE_PGM_RSRC2:TGID_X_EN: 1
; COMPUTE_PGM_RSRC2:TGID_Y_EN: 1
; COMPUTE_PGM_RSRC2:TGID_Z_EN: 0
; COMPUTE_PGM_RSRC2:TIDIG_COMP_CNT: 1
; COMPUTE_PGM_RSRC3_GFX90A:ACCUM_OFFSET: 31
; COMPUTE_PGM_RSRC3_GFX90A:TG_SPLIT: 0
	.section	.text._ZN2at6native12_GLOBAL__N_135GammaBetaBackwardCUDAKernelTemplateIN3c104HalfEfLj32ELj1ELj32ELb1ELb1ELb1EEEvllPKT_S7_PKT0_SA_PS5_SB_,"axG",@progbits,_ZN2at6native12_GLOBAL__N_135GammaBetaBackwardCUDAKernelTemplateIN3c104HalfEfLj32ELj1ELj32ELb1ELb1ELb1EEEvllPKT_S7_PKT0_SA_PS5_SB_,comdat
	.globl	_ZN2at6native12_GLOBAL__N_135GammaBetaBackwardCUDAKernelTemplateIN3c104HalfEfLj32ELj1ELj32ELb1ELb1ELb1EEEvllPKT_S7_PKT0_SA_PS5_SB_ ; -- Begin function _ZN2at6native12_GLOBAL__N_135GammaBetaBackwardCUDAKernelTemplateIN3c104HalfEfLj32ELj1ELj32ELb1ELb1ELb1EEEvllPKT_S7_PKT0_SA_PS5_SB_
	.p2align	8
	.type	_ZN2at6native12_GLOBAL__N_135GammaBetaBackwardCUDAKernelTemplateIN3c104HalfEfLj32ELj1ELj32ELb1ELb1ELb1EEEvllPKT_S7_PKT0_SA_PS5_SB_,@function
_ZN2at6native12_GLOBAL__N_135GammaBetaBackwardCUDAKernelTemplateIN3c104HalfEfLj32ELj1ELj32ELb1ELb1ELb1EEEvllPKT_S7_PKT0_SA_PS5_SB_: ; @_ZN2at6native12_GLOBAL__N_135GammaBetaBackwardCUDAKernelTemplateIN3c104HalfEfLj32ELj1ELj32ELb1ELb1ELb1EEEvllPKT_S7_PKT0_SA_PS5_SB_
; %bb.0:
	s_load_dwordx4 s[8:11], s[0:1], 0x0
	s_load_dwordx2 s[16:17], s[0:1], 0x30
	s_lshl_b32 s18, s3, 5
	s_mov_b32 s19, 0
	v_mov_b64_e32 v[2:3], s[18:19]
	s_waitcnt lgkmcnt(0)
	v_cmp_le_i64_e32 vcc, s[8:9], v[2:3]
	s_mov_b32 s6, s3
	v_mov_b32_e32 v1, 0
	v_bfe_u32 v2, v0, 10, 10
	s_cbranch_vccnz .LBB175_8
; %bb.1:
	s_load_dword s3, s[0:1], 0x4c
	s_load_dword s7, s[0:1], 0x44
	s_load_dwordx4 s[12:15], s[0:1], 0x10
	s_load_dwordx2 s[22:23], s[0:1], 0x28
	v_and_b32_e32 v1, 0x3ff, v0
	s_waitcnt lgkmcnt(0)
	s_and_b32 s3, s3, 0xffff
	v_mad_u32_u24 v3, v2, s3, v1
	v_lshlrev_b32_e32 v12, 5, v2
	v_mov_b32_e32 v13, 0
	v_lshl_or_b32 v8, s2, 5, v1
	v_mbcnt_lo_u32_b32 v1, -1, 0
	v_and_b32_e32 v4, 63, v3
	v_mov_b32_e32 v5, v13
	v_mbcnt_hi_u32_b32 v1, -1, v1
	s_lshl_b32 s20, s7, 5
	v_lshl_add_u64 v[10:11], v[12:13], 0, s[18:19]
	v_cmp_gt_u32_e64 s[4:5], 32, v4
	v_mov_b32_e32 v9, v13
	v_lshlrev_b32_e32 v1, 2, v1
	v_lshl_add_u64 v[4:5], v[10:11], 0, v[4:5]
	v_mul_lo_u32 v12, s11, v10
	v_mul_lo_u32 v44, s10, v11
	v_mad_u64_u32 v[10:11], s[24:25], s10, v10, 0
	s_mul_i32 s3, s11, s20
	s_mul_hi_u32 s7, s10, s20
	v_and_b32_e32 v1, 0x100, v1
	s_mov_b32 s21, s19
	v_add3_u32 v11, v11, v44, v12
	v_lshlrev_b64 v[8:9], 1, v[8:9]
	s_add_i32 s25, s7, s3
	s_mul_i32 s24, s10, s20
	v_or_b32_e32 v3, 4, v1
	v_or_b32_e32 v14, 8, v1
	;; [unrolled: 1-line block ×31, first 2 shown]
	v_lshl_add_u64 v[6:7], v[4:5], 2, s[22:23]
	s_lshl_b64 s[22:23], s[20:21], 2
	v_lshl_add_u64 v[8:9], v[10:11], 1, v[8:9]
	s_lshl_b64 s[24:25], s[24:25], 1
	s_lshl_b64 s[26:27], s[10:11], 1
	v_mov_b64_e32 v[10:11], s[8:9]
	s_branch .LBB175_4
.LBB175_2:                              ;   in Loop: Header=BB175_4 Depth=1
	s_or_b64 exec, exec, s[30:31]
.LBB175_3:                              ;   in Loop: Header=BB175_4 Depth=1
	s_or_b64 exec, exec, s[28:29]
	v_lshl_add_u64 v[44:45], s[12:13], 0, v[8:9]
	v_lshl_add_u64 v[46:47], s[14:15], 0, v[8:9]
	global_load_ushort v48, v[44:45], off
	global_load_ushort v49, v[46:47], off
	v_lshl_add_u64 v[44:45], v[44:45], 0, s[26:27]
	v_lshl_add_u64 v[46:47], v[46:47], 0, s[26:27]
	global_load_ushort v50, v[44:45], off
	global_load_ushort v51, v[46:47], off
	;; [unrolled: 4-line block ×6, first 2 shown]
	s_waitcnt vmcnt(12)
	ds_bpermute_b32 v60, v1, v12
	v_lshl_add_u64 v[44:45], v[44:45], 0, s[26:27]
	v_lshl_add_u64 v[46:47], v[46:47], 0, s[26:27]
	s_add_u32 s18, s18, s20
	s_addc_u32 s19, s19, 0
	v_cmp_lt_i64_e32 vcc, s[18:19], v[10:11]
	v_lshl_add_u64 v[6:7], v[6:7], 0, s[22:23]
	v_lshl_add_u64 v[4:5], v[4:5], 0, s[20:21]
	;; [unrolled: 1-line block ×3, first 2 shown]
	s_and_b64 vcc, exec, vcc
	s_waitcnt vmcnt(11)
	v_cvt_f32_f16_e32 v48, v48
	s_waitcnt vmcnt(10)
	v_cvt_f32_f16_e32 v49, v49
	;; [unrolled: 2-line block ×4, first 2 shown]
	v_mul_f32_e32 v48, v48, v49
	ds_bpermute_b32 v49, v3, v12
	s_waitcnt lgkmcnt(1)
	v_fmac_f32_e32 v13, v48, v60
	v_mul_f32_e32 v50, v50, v51
	global_load_ushort v51, v[44:45], off
	v_lshl_add_u64 v[44:45], v[44:45], 0, s[26:27]
	s_waitcnt lgkmcnt(0)
	v_fmac_f32_e32 v13, v50, v49
	global_load_ushort v49, v[46:47], off
	s_waitcnt vmcnt(9)
	v_cvt_f32_f16_e32 v50, v52
	s_waitcnt vmcnt(8)
	v_cvt_f32_f16_e32 v52, v53
	v_lshl_add_u64 v[46:47], v[46:47], 0, s[26:27]
	ds_bpermute_b32 v48, v14, v12
	global_load_ushort v53, v[44:45], off
	v_mul_f32_e32 v50, v50, v52
	global_load_ushort v52, v[46:47], off
	v_lshl_add_u64 v[44:45], v[44:45], 0, s[26:27]
	v_lshl_add_u64 v[46:47], v[46:47], 0, s[26:27]
	ds_bpermute_b32 v60, v15, v12
	s_waitcnt lgkmcnt(1)
	v_fmac_f32_e32 v13, v50, v48
	global_load_ushort v48, v[44:45], off
	s_waitcnt vmcnt(10)
	v_cvt_f32_f16_e32 v50, v54
	s_waitcnt vmcnt(9)
	v_cvt_f32_f16_e32 v54, v55
	global_load_ushort v55, v[46:47], off
	v_lshl_add_u64 v[44:45], v[44:45], 0, s[26:27]
	v_lshl_add_u64 v[46:47], v[46:47], 0, s[26:27]
	v_mul_f32_e32 v50, v50, v54
	global_load_ushort v54, v[44:45], off
	s_waitcnt lgkmcnt(0)
	v_fmac_f32_e32 v13, v50, v60
	global_load_ushort v50, v[46:47], off
	s_waitcnt vmcnt(11)
	v_cvt_f32_f16_e32 v56, v56
	s_waitcnt vmcnt(10)
	v_cvt_f32_f16_e32 v57, v57
	ds_bpermute_b32 v60, v16, v12
	v_lshl_add_u64 v[44:45], v[44:45], 0, s[26:27]
	v_lshl_add_u64 v[46:47], v[46:47], 0, s[26:27]
	v_mul_f32_e32 v56, v56, v57
	ds_bpermute_b32 v57, v17, v12
	s_waitcnt lgkmcnt(1)
	v_fmac_f32_e32 v13, v56, v60
	global_load_ushort v56, v[44:45], off
	s_waitcnt vmcnt(10)
	v_cvt_f32_f16_e32 v58, v58
	s_waitcnt vmcnt(9)
	v_cvt_f32_f16_e32 v59, v59
	global_load_ushort v60, v[46:47], off
	v_lshl_add_u64 v[44:45], v[44:45], 0, s[26:27]
	v_lshl_add_u64 v[46:47], v[46:47], 0, s[26:27]
	v_mul_f32_e32 v58, v58, v59
	global_load_ushort v59, v[44:45], off
	s_waitcnt lgkmcnt(0)
	v_fmac_f32_e32 v13, v58, v57
	global_load_ushort v57, v[46:47], off
	ds_bpermute_b32 v58, v18, v12
	v_lshl_add_u64 v[44:45], v[44:45], 0, s[26:27]
	v_lshl_add_u64 v[46:47], v[46:47], 0, s[26:27]
	s_waitcnt vmcnt(11)
	v_cvt_f32_f16_e32 v51, v51
	s_waitcnt vmcnt(10)
	v_cvt_f32_f16_e32 v49, v49
	v_mul_f32_e32 v49, v51, v49
	s_waitcnt lgkmcnt(0)
	v_fmac_f32_e32 v13, v49, v58
	s_waitcnt vmcnt(9)
	v_cvt_f32_f16_e32 v53, v53
	s_waitcnt vmcnt(8)
	v_cvt_f32_f16_e32 v52, v52
	ds_bpermute_b32 v58, v19, v12
	global_load_ushort v51, v[44:45], off
	global_load_ushort v49, v[46:47], off
	v_mul_f32_e32 v52, v53, v52
	s_waitcnt vmcnt(9)
	v_cvt_f32_f16_e32 v48, v48
	s_waitcnt lgkmcnt(0)
	v_fmac_f32_e32 v13, v52, v58
	ds_bpermute_b32 v58, v20, v12
	s_waitcnt vmcnt(8)
	v_cvt_f32_f16_e32 v55, v55
	v_lshl_add_u64 v[44:45], v[44:45], 0, s[26:27]
	v_lshl_add_u64 v[46:47], v[46:47], 0, s[26:27]
	global_load_ushort v53, v[44:45], off
	v_mul_f32_e32 v48, v48, v55
	s_waitcnt vmcnt(8)
	v_cvt_f32_f16_e32 v54, v54
	s_waitcnt vmcnt(7)
	v_cvt_f32_f16_e32 v50, v50
	global_load_ushort v52, v[46:47], off
	s_waitcnt lgkmcnt(0)
	v_fmac_f32_e32 v13, v48, v58
	ds_bpermute_b32 v58, v21, v12
	v_lshl_add_u64 v[44:45], v[44:45], 0, s[26:27]
	v_lshl_add_u64 v[46:47], v[46:47], 0, s[26:27]
	v_mul_f32_e32 v50, v54, v50
	global_load_ushort v55, v[44:45], off
	global_load_ushort v48, v[46:47], off
	s_waitcnt lgkmcnt(0)
	v_fmac_f32_e32 v13, v50, v58
	s_waitcnt vmcnt(9)
	v_cvt_f32_f16_e32 v56, v56
	v_lshl_add_u64 v[44:45], v[44:45], 0, s[26:27]
	s_waitcnt vmcnt(8)
	v_cvt_f32_f16_e32 v58, v60
	ds_bpermute_b32 v60, v22, v12
	v_lshl_add_u64 v[46:47], v[46:47], 0, s[26:27]
	global_load_ushort v54, v[44:45], off
	v_mul_f32_e32 v56, v56, v58
	global_load_ushort v50, v[46:47], off
	s_waitcnt vmcnt(9)
	v_cvt_f32_f16_e32 v59, v59
	s_waitcnt vmcnt(8)
	v_cvt_f32_f16_e32 v57, v57
	s_waitcnt lgkmcnt(0)
	v_fmac_f32_e32 v13, v56, v60
	ds_bpermute_b32 v60, v23, v12
	v_lshl_add_u64 v[44:45], v[44:45], 0, s[26:27]
	v_lshl_add_u64 v[46:47], v[46:47], 0, s[26:27]
	global_load_ushort v58, v[44:45], off
	global_load_ushort v56, v[46:47], off
	v_lshl_add_u64 v[44:45], v[44:45], 0, s[26:27]
	v_mul_f32_e32 v57, v59, v57
	v_lshl_add_u64 v[46:47], v[46:47], 0, s[26:27]
	global_load_ushort v59, v[44:45], off
	s_waitcnt lgkmcnt(0)
	v_fmac_f32_e32 v13, v57, v60
	global_load_ushort v57, v[46:47], off
	ds_bpermute_b32 v60, v24, v12
	v_lshl_add_u64 v[46:47], v[46:47], 0, s[26:27]
	v_lshl_add_u64 v[44:45], v[44:45], 0, s[26:27]
	s_waitcnt vmcnt(11)
	v_cvt_f32_f16_e32 v51, v51
	s_waitcnt vmcnt(10)
	v_cvt_f32_f16_e32 v49, v49
	v_mul_f32_e32 v49, v51, v49
	s_waitcnt lgkmcnt(0)
	v_fmac_f32_e32 v13, v49, v60
	ds_bpermute_b32 v60, v25, v12
	global_load_ushort v49, v[46:47], off
	s_waitcnt vmcnt(10)
	v_cvt_f32_f16_e32 v53, v53
	v_lshl_add_u64 v[46:47], v[46:47], 0, s[26:27]
	global_load_ushort v51, v[44:45], off
	v_lshl_add_u64 v[44:45], v[44:45], 0, s[26:27]
	s_waitcnt vmcnt(10)
	v_cvt_f32_f16_e32 v52, v52
	v_mul_f32_e32 v52, v53, v52
	s_waitcnt lgkmcnt(0)
	v_fmac_f32_e32 v13, v52, v60
	s_waitcnt vmcnt(9)
	v_cvt_f32_f16_e32 v55, v55
	s_waitcnt vmcnt(8)
	v_cvt_f32_f16_e32 v48, v48
	ds_bpermute_b32 v60, v26, v12
	global_load_ushort v52, v[46:47], off
	global_load_ushort v53, v[44:45], off
	v_mul_f32_e32 v48, v55, v48
	v_lshl_add_u64 v[44:45], v[44:45], 0, s[26:27]
	s_waitcnt lgkmcnt(0)
	v_fmac_f32_e32 v13, v48, v60
	s_waitcnt vmcnt(9)
	v_cvt_f32_f16_e32 v54, v54
	ds_bpermute_b32 v48, v27, v12
	s_waitcnt vmcnt(8)
	v_cvt_f32_f16_e32 v50, v50
	v_lshl_add_u64 v[46:47], v[46:47], 0, s[26:27]
	global_load_ushort v55, v[44:45], off
	global_load_ushort v60, v[46:47], off
	v_lshl_add_u64 v[44:45], v[44:45], 0, s[26:27]
	v_mul_f32_e32 v50, v54, v50
	v_lshl_add_u64 v[46:47], v[46:47], 0, s[26:27]
	global_load_ushort v54, v[44:45], off
	s_waitcnt lgkmcnt(0)
	v_fmac_f32_e32 v13, v50, v48
	global_load_ushort v61, v[46:47], off
	s_waitcnt vmcnt(11)
	v_cvt_f32_f16_e32 v48, v58
	s_waitcnt vmcnt(10)
	v_cvt_f32_f16_e32 v50, v56
	s_waitcnt vmcnt(9)
	v_cvt_f32_f16_e32 v56, v59
	ds_bpermute_b32 v58, v28, v12
	s_waitcnt vmcnt(8)
	v_cvt_f32_f16_e32 v57, v57
	v_lshl_add_u64 v[44:45], v[44:45], 0, s[26:27]
	global_load_ushort v59, v[44:45], off
	v_lshl_add_u64 v[44:45], v[44:45], 0, s[26:27]
	v_mul_f32_e32 v48, v48, v50
	v_lshl_add_u64 v[46:47], v[46:47], 0, s[26:27]
	v_mul_f32_e32 v50, v56, v57
	global_load_ushort v56, v[44:45], off
	s_waitcnt lgkmcnt(0)
	v_fmac_f32_e32 v13, v48, v58
	global_load_ushort v58, v[46:47], off
	v_lshl_add_u64 v[46:47], v[46:47], 0, s[26:27]
	global_load_ushort v57, v[46:47], off
	ds_bpermute_b32 v48, v29, v12
	v_lshl_add_u64 v[44:45], v[44:45], 0, s[26:27]
	v_lshl_add_u64 v[46:47], v[46:47], 0, s[26:27]
	global_load_ushort v62, v[44:45], off
	global_load_ushort v63, v[46:47], off
	s_waitcnt lgkmcnt(0)
	v_fmac_f32_e32 v13, v50, v48
	v_lshl_add_u64 v[44:45], v[44:45], 0, s[26:27]
	v_lshl_add_u64 v[46:47], v[46:47], 0, s[26:27]
	s_waitcnt vmcnt(13)
	v_cvt_f32_f16_e32 v49, v49
	s_waitcnt vmcnt(12)
	v_cvt_f32_f16_e32 v48, v51
	v_mul_f32_e32 v48, v48, v49
	s_waitcnt vmcnt(11)
	v_cvt_f32_f16_e32 v51, v52
	ds_bpermute_b32 v52, v30, v12
	s_waitcnt vmcnt(10)
	v_cvt_f32_f16_e32 v50, v53
	s_waitcnt lgkmcnt(0)
	v_fmac_f32_e32 v13, v48, v52
	ds_bpermute_b32 v52, v31, v12
	v_mul_f32_e32 v53, v50, v51
	s_waitcnt vmcnt(9)
	v_cvt_f32_f16_e32 v48, v55
	s_waitcnt vmcnt(8)
	v_cvt_f32_f16_e32 v50, v60
	global_load_ushort v55, v[46:47], off
	s_waitcnt lgkmcnt(0)
	v_fmac_f32_e32 v13, v53, v52
	ds_bpermute_b32 v52, v32, v12
	s_waitcnt vmcnt(8)
	v_cvt_f32_f16_e32 v49, v54
	global_load_ushort v54, v[44:45], off
	s_waitcnt vmcnt(8)
	v_cvt_f32_f16_e32 v51, v61
	ds_bpermute_b32 v53, v33, v12
	v_lshl_add_u64 v[44:45], v[44:45], 0, s[26:27]
	v_lshl_add_u64 v[46:47], v[46:47], 0, s[26:27]
	global_load_ushort v60, v[44:45], off
	global_load_ushort v61, v[46:47], off
	v_lshl_add_u64 v[44:45], v[44:45], 0, s[26:27]
	v_lshl_add_u64 v[46:47], v[46:47], 0, s[26:27]
	v_pk_mul_f32 v[48:49], v[48:49], v[50:51]
	global_load_ushort v64, v[44:45], off
	v_lshl_add_u64 v[44:45], v[44:45], 0, s[26:27]
	s_waitcnt lgkmcnt(0)
	v_pk_mul_f32 v[48:49], v[48:49], v[52:53]
	s_waitcnt vmcnt(9)
	v_cvt_f32_f16_e32 v51, v56
	global_load_ushort v56, v[46:47], off
	v_cvt_f32_f16_e32 v50, v59
	v_lshl_add_u64 v[46:47], v[46:47], 0, s[26:27]
	s_waitcnt vmcnt(8)
	v_cvt_f32_f16_e32 v53, v57
	global_load_ushort v57, v[44:45], off
	v_lshl_add_u64 v[44:45], v[44:45], 0, s[26:27]
	global_load_ushort v59, v[44:45], off
	v_lshl_add_u64 v[44:45], v[44:45], 0, s[26:27]
	;; [unrolled: 2-line block ×3, first 2 shown]
	v_cvt_f32_f16_e32 v52, v58
	global_load_ushort v58, v[46:47], off
	v_lshl_add_u64 v[46:47], v[46:47], 0, s[26:27]
	global_load_ushort v66, v[44:45], off
	global_load_ushort v67, v[46:47], off
	v_lshl_add_u64 v[44:45], v[46:47], 0, s[26:27]
	global_load_ushort v68, v[44:45], off
	v_lshl_add_u64 v[44:45], v[44:45], 0, s[26:27]
	global_load_ushort v69, v[44:45], off
	v_add_f32_e32 v13, v13, v48
	v_add_f32_e32 v13, v13, v49
	ds_bpermute_b32 v48, v34, v12
	ds_bpermute_b32 v49, v35, v12
	v_pk_mul_f32 v[50:51], v[50:51], v[52:53]
	s_waitcnt vmcnt(15)
	v_cvt_f32_f16_e32 v44, v62
	s_waitcnt vmcnt(14)
	v_cvt_f32_f16_e32 v46, v63
	ds_bpermute_b32 v52, v38, v12
	s_waitcnt lgkmcnt(1)
	v_pk_mul_f32 v[48:49], v[50:51], v[48:49]
	ds_bpermute_b32 v53, v39, v12
	v_add_f32_e32 v13, v13, v48
	v_add_f32_e32 v13, v13, v49
	ds_bpermute_b32 v48, v36, v12
	ds_bpermute_b32 v49, v37, v12
	s_waitcnt vmcnt(13)
	v_cvt_f32_f16_e32 v47, v55
	s_waitcnt vmcnt(12)
	v_cvt_f32_f16_e32 v45, v54
	v_pk_mul_f32 v[44:45], v[44:45], v[46:47]
	s_waitcnt vmcnt(11)
	v_cvt_f32_f16_e32 v46, v60
	s_waitcnt vmcnt(10)
	v_cvt_f32_f16_e32 v50, v61
	s_waitcnt lgkmcnt(0)
	v_pk_mul_f32 v[44:45], v[44:45], v[48:49]
	s_waitcnt vmcnt(9)
	v_cvt_f32_f16_e32 v47, v64
	v_add_f32_e32 v13, v13, v44
	v_add_f32_e32 v13, v13, v45
	s_waitcnt vmcnt(8)
	v_cvt_f32_f16_e32 v51, v56
	v_pk_mul_f32 v[44:45], v[46:47], v[50:51]
	s_nop 0
	v_pk_mul_f32 v[44:45], v[44:45], v[52:53]
	s_waitcnt vmcnt(7)
	v_cvt_f32_f16_e32 v46, v57
	s_waitcnt vmcnt(6)
	v_cvt_f32_f16_e32 v47, v59
	v_add_f32_e32 v13, v13, v44
	v_add_f32_e32 v52, v13, v45
	ds_bpermute_b32 v44, v40, v12
	s_waitcnt vmcnt(4)
	v_cvt_f32_f16_e32 v48, v58
	ds_bpermute_b32 v45, v41, v12
	s_waitcnt vmcnt(2)
	v_cvt_f32_f16_e32 v49, v67
	v_cvt_f32_f16_e32 v13, v66
	s_waitcnt vmcnt(1)
	v_cvt_f32_f16_e32 v50, v68
	v_pk_mul_f32 v[46:47], v[46:47], v[48:49]
	ds_bpermute_b32 v48, v42, v12
	ds_bpermute_b32 v49, v43, v12
	v_cvt_f32_f16_e32 v12, v65
	s_waitcnt vmcnt(0)
	v_cvt_f32_f16_e32 v51, v69
	s_waitcnt lgkmcnt(2)
	v_pk_mul_f32 v[44:45], v[46:47], v[44:45]
	v_pk_mul_f32 v[12:13], v[12:13], v[50:51]
	v_add_f32_e32 v44, v52, v44
	v_add_f32_e32 v44, v44, v45
	s_waitcnt lgkmcnt(0)
	v_pk_mul_f32 v[12:13], v[12:13], v[48:49]
	s_nop 0
	v_add_f32_e32 v12, v44, v12
	v_add_f32_e32 v13, v12, v13
	s_cbranch_vccz .LBB175_7
.LBB175_4:                              ; =>This Inner Loop Header: Depth=1
	v_mov_b32_e32 v12, 0
	s_and_saveexec_b64 s[28:29], s[4:5]
	s_cbranch_execz .LBB175_3
; %bb.5:                                ;   in Loop: Header=BB175_4 Depth=1
	v_cmp_gt_i64_e32 vcc, s[8:9], v[4:5]
	v_mov_b32_e32 v12, 0
	s_and_saveexec_b64 s[30:31], vcc
	s_cbranch_execz .LBB175_2
; %bb.6:                                ;   in Loop: Header=BB175_4 Depth=1
	global_load_dword v12, v[6:7], off
	s_branch .LBB175_2
.LBB175_7:
	v_cvt_f16_f32_e32 v1, v13
.LBB175_8:
	s_cmp_eq_u64 s[16:17], 0
	s_cbranch_scc1 .LBB175_10
; %bb.9:
	s_load_dword s0, s[0:1], 0x4c
	v_mov_b32_e32 v3, 0
	v_mov_b32_e32 v4, s6
	s_mov_b32 s3, 0
	v_and_b32_e32 v0, 0x3ff, v0
	s_waitcnt lgkmcnt(0)
	s_lshr_b32 s0, s0, 16
	v_mad_u64_u32 v[4:5], s[0:1], s0, v4, v[2:3]
	v_mul_lo_u32 v2, v5, s10
	v_mul_lo_u32 v6, v4, s11
	v_mad_u64_u32 v[4:5], s[0:1], v4, s10, 0
	v_add3_u32 v5, v5, v6, v2
	v_lshl_add_u64 v[4:5], v[4:5], 1, s[16:17]
	s_lshl_b64 s[0:1], s[2:3], 6
	v_lshl_add_u64 v[4:5], v[4:5], 0, s[0:1]
	v_lshlrev_b32_e32 v2, 1, v0
	v_lshl_add_u64 v[2:3], v[4:5], 0, v[2:3]
	global_store_short v[2:3], v1, off
.LBB175_10:
	s_endpgm
	.section	.rodata,"a",@progbits
	.p2align	6, 0x0
	.amdhsa_kernel _ZN2at6native12_GLOBAL__N_135GammaBetaBackwardCUDAKernelTemplateIN3c104HalfEfLj32ELj1ELj32ELb1ELb1ELb1EEEvllPKT_S7_PKT0_SA_PS5_SB_
		.amdhsa_group_segment_fixed_size 0
		.amdhsa_private_segment_fixed_size 0
		.amdhsa_kernarg_size 320
		.amdhsa_user_sgpr_count 2
		.amdhsa_user_sgpr_dispatch_ptr 0
		.amdhsa_user_sgpr_queue_ptr 0
		.amdhsa_user_sgpr_kernarg_segment_ptr 1
		.amdhsa_user_sgpr_dispatch_id 0
		.amdhsa_user_sgpr_kernarg_preload_length 0
		.amdhsa_user_sgpr_kernarg_preload_offset 0
		.amdhsa_user_sgpr_private_segment_size 0
		.amdhsa_uses_dynamic_stack 0
		.amdhsa_enable_private_segment 0
		.amdhsa_system_sgpr_workgroup_id_x 1
		.amdhsa_system_sgpr_workgroup_id_y 1
		.amdhsa_system_sgpr_workgroup_id_z 0
		.amdhsa_system_sgpr_workgroup_info 0
		.amdhsa_system_vgpr_workitem_id 1
		.amdhsa_next_free_vgpr 70
		.amdhsa_next_free_sgpr 32
		.amdhsa_accum_offset 72
		.amdhsa_reserve_vcc 1
		.amdhsa_float_round_mode_32 0
		.amdhsa_float_round_mode_16_64 0
		.amdhsa_float_denorm_mode_32 3
		.amdhsa_float_denorm_mode_16_64 3
		.amdhsa_dx10_clamp 1
		.amdhsa_ieee_mode 1
		.amdhsa_fp16_overflow 0
		.amdhsa_tg_split 0
		.amdhsa_exception_fp_ieee_invalid_op 0
		.amdhsa_exception_fp_denorm_src 0
		.amdhsa_exception_fp_ieee_div_zero 0
		.amdhsa_exception_fp_ieee_overflow 0
		.amdhsa_exception_fp_ieee_underflow 0
		.amdhsa_exception_fp_ieee_inexact 0
		.amdhsa_exception_int_div_zero 0
	.end_amdhsa_kernel
	.section	.text._ZN2at6native12_GLOBAL__N_135GammaBetaBackwardCUDAKernelTemplateIN3c104HalfEfLj32ELj1ELj32ELb1ELb1ELb1EEEvllPKT_S7_PKT0_SA_PS5_SB_,"axG",@progbits,_ZN2at6native12_GLOBAL__N_135GammaBetaBackwardCUDAKernelTemplateIN3c104HalfEfLj32ELj1ELj32ELb1ELb1ELb1EEEvllPKT_S7_PKT0_SA_PS5_SB_,comdat
.Lfunc_end175:
	.size	_ZN2at6native12_GLOBAL__N_135GammaBetaBackwardCUDAKernelTemplateIN3c104HalfEfLj32ELj1ELj32ELb1ELb1ELb1EEEvllPKT_S7_PKT0_SA_PS5_SB_, .Lfunc_end175-_ZN2at6native12_GLOBAL__N_135GammaBetaBackwardCUDAKernelTemplateIN3c104HalfEfLj32ELj1ELj32ELb1ELb1ELb1EEEvllPKT_S7_PKT0_SA_PS5_SB_
                                        ; -- End function
	.set _ZN2at6native12_GLOBAL__N_135GammaBetaBackwardCUDAKernelTemplateIN3c104HalfEfLj32ELj1ELj32ELb1ELb1ELb1EEEvllPKT_S7_PKT0_SA_PS5_SB_.num_vgpr, 70
	.set _ZN2at6native12_GLOBAL__N_135GammaBetaBackwardCUDAKernelTemplateIN3c104HalfEfLj32ELj1ELj32ELb1ELb1ELb1EEEvllPKT_S7_PKT0_SA_PS5_SB_.num_agpr, 0
	.set _ZN2at6native12_GLOBAL__N_135GammaBetaBackwardCUDAKernelTemplateIN3c104HalfEfLj32ELj1ELj32ELb1ELb1ELb1EEEvllPKT_S7_PKT0_SA_PS5_SB_.numbered_sgpr, 32
	.set _ZN2at6native12_GLOBAL__N_135GammaBetaBackwardCUDAKernelTemplateIN3c104HalfEfLj32ELj1ELj32ELb1ELb1ELb1EEEvllPKT_S7_PKT0_SA_PS5_SB_.num_named_barrier, 0
	.set _ZN2at6native12_GLOBAL__N_135GammaBetaBackwardCUDAKernelTemplateIN3c104HalfEfLj32ELj1ELj32ELb1ELb1ELb1EEEvllPKT_S7_PKT0_SA_PS5_SB_.private_seg_size, 0
	.set _ZN2at6native12_GLOBAL__N_135GammaBetaBackwardCUDAKernelTemplateIN3c104HalfEfLj32ELj1ELj32ELb1ELb1ELb1EEEvllPKT_S7_PKT0_SA_PS5_SB_.uses_vcc, 1
	.set _ZN2at6native12_GLOBAL__N_135GammaBetaBackwardCUDAKernelTemplateIN3c104HalfEfLj32ELj1ELj32ELb1ELb1ELb1EEEvllPKT_S7_PKT0_SA_PS5_SB_.uses_flat_scratch, 0
	.set _ZN2at6native12_GLOBAL__N_135GammaBetaBackwardCUDAKernelTemplateIN3c104HalfEfLj32ELj1ELj32ELb1ELb1ELb1EEEvllPKT_S7_PKT0_SA_PS5_SB_.has_dyn_sized_stack, 0
	.set _ZN2at6native12_GLOBAL__N_135GammaBetaBackwardCUDAKernelTemplateIN3c104HalfEfLj32ELj1ELj32ELb1ELb1ELb1EEEvllPKT_S7_PKT0_SA_PS5_SB_.has_recursion, 0
	.set _ZN2at6native12_GLOBAL__N_135GammaBetaBackwardCUDAKernelTemplateIN3c104HalfEfLj32ELj1ELj32ELb1ELb1ELb1EEEvllPKT_S7_PKT0_SA_PS5_SB_.has_indirect_call, 0
	.section	.AMDGPU.csdata,"",@progbits
; Kernel info:
; codeLenInByte = 2896
; TotalNumSgprs: 38
; NumVgprs: 70
; NumAgprs: 0
; TotalNumVgprs: 70
; ScratchSize: 0
; MemoryBound: 0
; FloatMode: 240
; IeeeMode: 1
; LDSByteSize: 0 bytes/workgroup (compile time only)
; SGPRBlocks: 4
; VGPRBlocks: 8
; NumSGPRsForWavesPerEU: 38
; NumVGPRsForWavesPerEU: 70
; AccumOffset: 72
; Occupancy: 7
; WaveLimiterHint : 0
; COMPUTE_PGM_RSRC2:SCRATCH_EN: 0
; COMPUTE_PGM_RSRC2:USER_SGPR: 2
; COMPUTE_PGM_RSRC2:TRAP_HANDLER: 0
; COMPUTE_PGM_RSRC2:TGID_X_EN: 1
; COMPUTE_PGM_RSRC2:TGID_Y_EN: 1
; COMPUTE_PGM_RSRC2:TGID_Z_EN: 0
; COMPUTE_PGM_RSRC2:TIDIG_COMP_CNT: 1
; COMPUTE_PGM_RSRC3_GFX90A:ACCUM_OFFSET: 17
; COMPUTE_PGM_RSRC3_GFX90A:TG_SPLIT: 0
	.section	.text._ZN2at6native12_GLOBAL__N_135GammaBetaBackwardCUDAKernelTemplateIN3c104HalfEfLj32ELj1ELj32ELb1ELb0ELb1EEEvllPKT_S7_PKT0_SA_PS5_SB_,"axG",@progbits,_ZN2at6native12_GLOBAL__N_135GammaBetaBackwardCUDAKernelTemplateIN3c104HalfEfLj32ELj1ELj32ELb1ELb0ELb1EEEvllPKT_S7_PKT0_SA_PS5_SB_,comdat
	.globl	_ZN2at6native12_GLOBAL__N_135GammaBetaBackwardCUDAKernelTemplateIN3c104HalfEfLj32ELj1ELj32ELb1ELb0ELb1EEEvllPKT_S7_PKT0_SA_PS5_SB_ ; -- Begin function _ZN2at6native12_GLOBAL__N_135GammaBetaBackwardCUDAKernelTemplateIN3c104HalfEfLj32ELj1ELj32ELb1ELb0ELb1EEEvllPKT_S7_PKT0_SA_PS5_SB_
	.p2align	8
	.type	_ZN2at6native12_GLOBAL__N_135GammaBetaBackwardCUDAKernelTemplateIN3c104HalfEfLj32ELj1ELj32ELb1ELb0ELb1EEEvllPKT_S7_PKT0_SA_PS5_SB_,@function
_ZN2at6native12_GLOBAL__N_135GammaBetaBackwardCUDAKernelTemplateIN3c104HalfEfLj32ELj1ELj32ELb1ELb0ELb1EEEvllPKT_S7_PKT0_SA_PS5_SB_: ; @_ZN2at6native12_GLOBAL__N_135GammaBetaBackwardCUDAKernelTemplateIN3c104HalfEfLj32ELj1ELj32ELb1ELb0ELb1EEEvllPKT_S7_PKT0_SA_PS5_SB_
; %bb.0:
	s_load_dwordx8 s[12:19], s[0:1], 0x0
	s_load_dwordx2 s[10:11], s[0:1], 0x28
	s_mov_b32 s8, s3
	s_lshl_b32 s3, s2, 5
	s_mov_b32 s21, 0
	s_lshl_b32 s20, s8, 5
	v_mov_b32_e32 v206, v0
	s_or_b32 s4, s3, 31
	v_mov_b64_e32 v[0:1], s[20:21]
	v_mov_b32_e32 v2, s4
	v_mov_b32_e32 v3, 0
	s_waitcnt lgkmcnt(0)
	v_cmp_gt_i64_e64 s[4:5], s[12:13], v[0:1]
	v_cmp_le_i64_e32 vcc, s[14:15], v[2:3]
	s_nop 0
	v_cndmask_b32_e64 v0, 0, 1, s[4:5]
	v_cmp_ne_u32_e64 s[4:5], 1, v0
	s_cbranch_vccz .LBB176_145
; %bb.1:
	s_and_b64 vcc, exec, s[4:5]
	s_cbranch_vccnz .LBB176_146
; %bb.2:
	v_and_b32_e32 v180, 0x3ff, v206
	v_mov_b32_e32 v2, 0
	v_bfe_u32 v181, v206, 10, 10
	v_add_u32_e32 v4, s3, v180
	v_mov_b32_e32 v5, v2
	v_lshlrev_b32_e32 v0, 5, v181
	v_mov_b32_e32 v1, v2
	v_cmp_gt_i64_e64 s[6:7], s[14:15], v[4:5]
	v_lshlrev_b64 v[36:37], 1, v[4:5]
	v_lshl_add_u64 v[4:5], v[0:1], 0, s[20:21]
	v_mul_lo_u32 v3, s15, v4
	v_mul_lo_u32 v8, s14, v5
	v_mad_u64_u32 v[6:7], s[26:27], s14, v4, 0
	v_add3_u32 v7, v7, v8, v3
	v_lshlrev_b64 v[6:7], 1, v[6:7]
	v_lshl_add_u64 v[38:39], s[16:17], 0, v[6:7]
	v_lshl_add_u64 v[40:41], s[18:19], 0, v[6:7]
	v_lshl_add_u64 v[6:7], v[4:5], 0, 31
	v_mul_lo_u32 v9, s15, v6
	v_mul_lo_u32 v10, s14, v7
	v_mad_u64_u32 v[6:7], s[30:31], s14, v6, 0
	v_add3_u32 v7, v7, v10, v9
	v_lshlrev_b64 v[6:7], 1, v[6:7]
	v_lshl_add_u64 v[42:43], s[16:17], 0, v[6:7]
	v_lshl_add_u64 v[44:45], s[18:19], 0, v[6:7]
	;; [unrolled: 8-line block ×30, first 2 shown]
	v_lshl_add_u64 v[6:7], v[4:5], 0, 2
	s_load_dword s9, s[0:1], 0x44
	v_mul_lo_u32 v5, s15, v6
	v_mul_lo_u32 v9, s14, v7
	v_mad_u64_u32 v[6:7], s[30:31], s14, v6, 0
	v_add3_u32 v7, v7, v9, v5
	v_lshlrev_b64 v[6:7], 1, v[6:7]
	v_lshl_add_u64 v[158:159], s[16:17], 0, v[6:7]
	v_lshl_add_u64 v[160:161], s[18:19], 0, v[6:7]
	v_mov_b64_e32 v[6:7], s[14:15]
	s_add_u32 s24, s0, 64
	v_mad_u64_u32 v[4:5], s[30:31], s14, v4, v[6:7]
	s_addc_u32 s25, s1, 0
	s_waitcnt lgkmcnt(0)
	s_lshl_b32 s22, s9, 5
	v_add3_u32 v5, v3, v5, v8
	v_mbcnt_lo_u32_b32 v3, -1, 0
	s_mul_i32 s9, s15, s22
	s_mul_hi_u32 s26, s14, s22
	v_mbcnt_hi_u32_b32 v3, -1, v3
	s_add_i32 s27, s26, s9
	s_mul_i32 s26, s14, s22
	v_lshlrev_b64 v[4:5], 1, v[4:5]
	v_lshlrev_b32_e32 v3, 2, v3
	s_mov_b32 s23, 0
	s_lshl_b64 s[26:27], s[26:27], 1
	s_mov_b64 s[28:29], 31
	v_lshl_add_u64 v[162:163], s[16:17], 0, v[4:5]
	v_lshl_add_u64 v[164:165], s[18:19], 0, v[4:5]
	v_and_b32_e32 v182, 0x100, v3
	s_mov_b64 s[30:31], s[20:21]
	v_mov_b32_e32 v183, 0
.LBB176_3:                              ; =>This Inner Loop Header: Depth=1
	s_add_u32 s34, s20, s28
	s_addc_u32 s35, 0, s29
	v_mov_b64_e32 v[4:5], s[12:13]
	v_cmp_ge_i64_e32 vcc, s[34:35], v[4:5]
	v_lshl_add_u64 v[166:167], s[20:21], 0, v[0:1]
	s_mov_b64 s[34:35], -1
	s_and_b64 vcc, exec, vcc
                                        ; implicit-def: $vgpr4_vgpr5_vgpr6_vgpr7_vgpr8_vgpr9_vgpr10_vgpr11_vgpr12_vgpr13_vgpr14_vgpr15_vgpr16_vgpr17_vgpr18_vgpr19_vgpr20_vgpr21_vgpr22_vgpr23_vgpr24_vgpr25_vgpr26_vgpr27_vgpr28_vgpr29_vgpr30_vgpr31_vgpr32_vgpr33_vgpr34_vgpr35
                                        ; implicit-def: $vgpr3
                                        ; implicit-def: $vgpr203
                                        ; implicit-def: $vgpr4
	s_cbranch_vccz .LBB176_73
; %bb.4:                                ;   in Loop: Header=BB176_3 Depth=1
	s_load_dword s9, s[24:25], 0xc
	v_mov_b32_e32 v185, 0
	v_mov_b32_e32 v184, 0
	s_waitcnt lgkmcnt(0)
	s_and_b32 s9, s9, 0xffff
	v_mad_u32_u24 v3, v181, s9, v180
	v_and_b32_e32 v4, 63, v3
	v_cmp_gt_u32_e32 vcc, 32, v4
	s_and_saveexec_b64 s[34:35], vcc
	s_cbranch_execz .LBB176_8
; %bb.5:                                ;   in Loop: Header=BB176_3 Depth=1
	v_mov_b32_e32 v5, v2
	v_lshl_add_u64 v[4:5], v[166:167], 0, v[4:5]
	v_cmp_gt_i64_e32 vcc, s[12:13], v[4:5]
	v_mov_b32_e32 v184, 0
	s_and_saveexec_b64 s[36:37], vcc
	s_cbranch_execz .LBB176_7
; %bb.6:                                ;   in Loop: Header=BB176_3 Depth=1
	v_lshl_add_u64 v[4:5], v[4:5], 2, s[10:11]
	global_load_dword v184, v[4:5], off
.LBB176_7:                              ;   in Loop: Header=BB176_3 Depth=1
	s_or_b64 exec, exec, s[36:37]
.LBB176_8:                              ;   in Loop: Header=BB176_3 Depth=1
	s_or_b64 exec, exec, s[34:35]
	v_mov_b32_e32 v4, v2
	v_mov_b32_e32 v5, v2
	;; [unrolled: 1-line block ×30, first 2 shown]
	v_cmp_gt_i64_e32 vcc, s[12:13], v[166:167]
	v_mov_b32_e32 v3, v2
	v_mov_b64_e32 v[34:35], v[32:33]
	s_and_b64 s[36:37], s[6:7], vcc
	v_mov_b64_e32 v[32:33], v[30:31]
	v_mov_b64_e32 v[30:31], v[28:29]
	;; [unrolled: 1-line block ×15, first 2 shown]
	s_and_saveexec_b64 s[34:35], s[36:37]
	s_cbranch_execz .LBB176_10
; %bb.9:                                ;   in Loop: Header=BB176_3 Depth=1
	v_lshl_add_u64 v[4:5], v[38:39], 0, v[36:37]
	global_load_ushort v3, v[4:5], off
	v_lshl_add_u64 v[4:5], v[40:41], 0, v[36:37]
	global_load_ushort v33, v[4:5], off
	v_mov_b32_e32 v5, v2
	v_mov_b32_e32 v6, v2
	;; [unrolled: 1-line block ×30, first 2 shown]
	s_waitcnt vmcnt(1)
	v_cvt_f32_f16_e32 v4, v3
	s_waitcnt vmcnt(0)
	v_cvt_f32_f16_e32 v185, v33
	v_mov_b32_e32 v33, v2
.LBB176_10:                             ;   in Loop: Header=BB176_3 Depth=1
	s_or_b64 exec, exec, s[34:35]
	v_lshl_add_u64 v[168:169], v[166:167], 0, 1
	v_cmp_gt_i64_e32 vcc, s[12:13], v[168:169]
	s_and_b64 s[36:37], s[6:7], vcc
	v_mov_b32_e32 v3, 0
	v_mov_b32_e32 v186, 0
	s_and_saveexec_b64 s[34:35], s[36:37]
	s_cbranch_execz .LBB176_12
; %bb.11:                               ;   in Loop: Header=BB176_3 Depth=1
	v_lshl_add_u64 v[168:169], v[162:163], 0, v[36:37]
	global_load_ushort v5, v[168:169], off
	v_lshl_add_u64 v[168:169], v[164:165], 0, v[36:37]
	global_load_ushort v168, v[168:169], off
	s_waitcnt vmcnt(1)
	v_cvt_f32_f16_e32 v5, v5
	s_waitcnt vmcnt(0)
	v_cvt_f32_f16_e32 v186, v168
.LBB176_12:                             ;   in Loop: Header=BB176_3 Depth=1
	s_or_b64 exec, exec, s[34:35]
	v_lshl_add_u64 v[168:169], v[166:167], 0, 2
	v_cmp_gt_i64_e32 vcc, s[12:13], v[168:169]
	s_and_b64 s[36:37], s[6:7], vcc
	s_and_saveexec_b64 s[34:35], s[36:37]
	s_cbranch_execz .LBB176_14
; %bb.13:                               ;   in Loop: Header=BB176_3 Depth=1
	v_lshl_add_u64 v[168:169], v[158:159], 0, v[36:37]
	global_load_ushort v3, v[168:169], off
	v_lshl_add_u64 v[168:169], v[160:161], 0, v[36:37]
	global_load_ushort v168, v[168:169], off
	s_waitcnt vmcnt(1)
	v_cvt_f32_f16_e32 v6, v3
	s_waitcnt vmcnt(0)
	v_cvt_f32_f16_e32 v3, v168
.LBB176_14:                             ;   in Loop: Header=BB176_3 Depth=1
	s_or_b64 exec, exec, s[34:35]
	v_lshl_add_u64 v[168:169], v[166:167], 0, 3
	v_cmp_gt_i64_e32 vcc, s[12:13], v[168:169]
	s_and_b64 s[36:37], s[6:7], vcc
	v_mov_b32_e32 v187, 0
	v_mov_b32_e32 v188, 0
	s_and_saveexec_b64 s[34:35], s[36:37]
	s_cbranch_execz .LBB176_16
; %bb.15:                               ;   in Loop: Header=BB176_3 Depth=1
	v_lshl_add_u64 v[168:169], v[154:155], 0, v[36:37]
	global_load_ushort v7, v[168:169], off
	v_lshl_add_u64 v[168:169], v[156:157], 0, v[36:37]
	global_load_ushort v168, v[168:169], off
	s_waitcnt vmcnt(1)
	v_cvt_f32_f16_e32 v7, v7
	s_waitcnt vmcnt(0)
	v_cvt_f32_f16_e32 v188, v168
.LBB176_16:                             ;   in Loop: Header=BB176_3 Depth=1
	s_or_b64 exec, exec, s[34:35]
	v_lshl_add_u64 v[168:169], v[166:167], 0, 4
	v_cmp_gt_i64_e32 vcc, s[12:13], v[168:169]
	s_and_b64 s[36:37], s[6:7], vcc
	s_and_saveexec_b64 s[34:35], s[36:37]
	s_cbranch_execz .LBB176_18
; %bb.17:                               ;   in Loop: Header=BB176_3 Depth=1
	v_lshl_add_u64 v[168:169], v[150:151], 0, v[36:37]
	global_load_ushort v8, v[168:169], off
	v_lshl_add_u64 v[168:169], v[152:153], 0, v[36:37]
	global_load_ushort v168, v[168:169], off
	s_waitcnt vmcnt(1)
	v_cvt_f32_f16_e32 v8, v8
	s_waitcnt vmcnt(0)
	v_cvt_f32_f16_e32 v187, v168
.LBB176_18:                             ;   in Loop: Header=BB176_3 Depth=1
	s_or_b64 exec, exec, s[34:35]
	v_lshl_add_u64 v[168:169], v[166:167], 0, 5
	v_cmp_gt_i64_e32 vcc, s[12:13], v[168:169]
	s_and_b64 s[36:37], s[6:7], vcc
	v_mov_b32_e32 v189, 0
	v_mov_b32_e32 v190, 0
	s_and_saveexec_b64 s[34:35], s[36:37]
	s_cbranch_execz .LBB176_20
; %bb.19:                               ;   in Loop: Header=BB176_3 Depth=1
	v_lshl_add_u64 v[168:169], v[146:147], 0, v[36:37]
	global_load_ushort v9, v[168:169], off
	v_lshl_add_u64 v[168:169], v[148:149], 0, v[36:37]
	global_load_ushort v168, v[168:169], off
	s_waitcnt vmcnt(1)
	v_cvt_f32_f16_e32 v9, v9
	s_waitcnt vmcnt(0)
	v_cvt_f32_f16_e32 v190, v168
.LBB176_20:                             ;   in Loop: Header=BB176_3 Depth=1
	s_or_b64 exec, exec, s[34:35]
	v_lshl_add_u64 v[168:169], v[166:167], 0, 6
	v_cmp_gt_i64_e32 vcc, s[12:13], v[168:169]
	s_and_b64 s[36:37], s[6:7], vcc
	s_and_saveexec_b64 s[34:35], s[36:37]
	s_cbranch_execz .LBB176_22
; %bb.21:                               ;   in Loop: Header=BB176_3 Depth=1
	v_lshl_add_u64 v[168:169], v[142:143], 0, v[36:37]
	global_load_ushort v10, v[168:169], off
	v_lshl_add_u64 v[168:169], v[144:145], 0, v[36:37]
	global_load_ushort v168, v[168:169], off
	s_waitcnt vmcnt(1)
	v_cvt_f32_f16_e32 v10, v10
	s_waitcnt vmcnt(0)
	v_cvt_f32_f16_e32 v189, v168
.LBB176_22:                             ;   in Loop: Header=BB176_3 Depth=1
	s_or_b64 exec, exec, s[34:35]
	v_lshl_add_u64 v[168:169], v[166:167], 0, 7
	v_cmp_gt_i64_e32 vcc, s[12:13], v[168:169]
	s_and_b64 s[36:37], s[6:7], vcc
	v_mov_b32_e32 v191, 0
	v_mov_b32_e32 v192, 0
	s_and_saveexec_b64 s[34:35], s[36:37]
	s_cbranch_execz .LBB176_24
; %bb.23:                               ;   in Loop: Header=BB176_3 Depth=1
	v_lshl_add_u64 v[168:169], v[138:139], 0, v[36:37]
	global_load_ushort v11, v[168:169], off
	v_lshl_add_u64 v[168:169], v[140:141], 0, v[36:37]
	global_load_ushort v168, v[168:169], off
	s_waitcnt vmcnt(1)
	v_cvt_f32_f16_e32 v11, v11
	s_waitcnt vmcnt(0)
	v_cvt_f32_f16_e32 v192, v168
.LBB176_24:                             ;   in Loop: Header=BB176_3 Depth=1
	s_or_b64 exec, exec, s[34:35]
	v_lshl_add_u64 v[168:169], v[166:167], 0, 8
	v_cmp_gt_i64_e32 vcc, s[12:13], v[168:169]
	s_and_b64 s[36:37], s[6:7], vcc
	s_and_saveexec_b64 s[34:35], s[36:37]
	s_cbranch_execz .LBB176_26
; %bb.25:                               ;   in Loop: Header=BB176_3 Depth=1
	v_lshl_add_u64 v[168:169], v[134:135], 0, v[36:37]
	global_load_ushort v12, v[168:169], off
	v_lshl_add_u64 v[168:169], v[136:137], 0, v[36:37]
	global_load_ushort v168, v[168:169], off
	s_waitcnt vmcnt(1)
	v_cvt_f32_f16_e32 v12, v12
	s_waitcnt vmcnt(0)
	v_cvt_f32_f16_e32 v191, v168
.LBB176_26:                             ;   in Loop: Header=BB176_3 Depth=1
	s_or_b64 exec, exec, s[34:35]
	v_lshl_add_u64 v[168:169], v[166:167], 0, 9
	v_cmp_gt_i64_e32 vcc, s[12:13], v[168:169]
	s_and_b64 s[36:37], s[6:7], vcc
	v_mov_b32_e32 v193, 0
	v_mov_b32_e32 v194, 0
	s_and_saveexec_b64 s[34:35], s[36:37]
	s_cbranch_execz .LBB176_28
; %bb.27:                               ;   in Loop: Header=BB176_3 Depth=1
	v_lshl_add_u64 v[168:169], v[130:131], 0, v[36:37]
	global_load_ushort v13, v[168:169], off
	v_lshl_add_u64 v[168:169], v[132:133], 0, v[36:37]
	global_load_ushort v168, v[168:169], off
	s_waitcnt vmcnt(1)
	v_cvt_f32_f16_e32 v13, v13
	s_waitcnt vmcnt(0)
	v_cvt_f32_f16_e32 v194, v168
.LBB176_28:                             ;   in Loop: Header=BB176_3 Depth=1
	s_or_b64 exec, exec, s[34:35]
	v_lshl_add_u64 v[168:169], v[166:167], 0, 10
	v_cmp_gt_i64_e32 vcc, s[12:13], v[168:169]
	s_and_b64 s[36:37], s[6:7], vcc
	s_and_saveexec_b64 s[34:35], s[36:37]
	s_cbranch_execz .LBB176_30
; %bb.29:                               ;   in Loop: Header=BB176_3 Depth=1
	v_lshl_add_u64 v[168:169], v[126:127], 0, v[36:37]
	global_load_ushort v14, v[168:169], off
	v_lshl_add_u64 v[168:169], v[128:129], 0, v[36:37]
	global_load_ushort v168, v[168:169], off
	s_waitcnt vmcnt(1)
	v_cvt_f32_f16_e32 v14, v14
	s_waitcnt vmcnt(0)
	v_cvt_f32_f16_e32 v193, v168
.LBB176_30:                             ;   in Loop: Header=BB176_3 Depth=1
	s_or_b64 exec, exec, s[34:35]
	v_lshl_add_u64 v[168:169], v[166:167], 0, 11
	v_cmp_gt_i64_e32 vcc, s[12:13], v[168:169]
	s_and_b64 s[36:37], s[6:7], vcc
	v_mov_b32_e32 v195, 0
	v_mov_b32_e32 v196, 0
	s_and_saveexec_b64 s[34:35], s[36:37]
	s_cbranch_execz .LBB176_32
; %bb.31:                               ;   in Loop: Header=BB176_3 Depth=1
	v_lshl_add_u64 v[168:169], v[122:123], 0, v[36:37]
	global_load_ushort v15, v[168:169], off
	v_lshl_add_u64 v[168:169], v[124:125], 0, v[36:37]
	global_load_ushort v168, v[168:169], off
	s_waitcnt vmcnt(1)
	v_cvt_f32_f16_e32 v15, v15
	s_waitcnt vmcnt(0)
	v_cvt_f32_f16_e32 v196, v168
.LBB176_32:                             ;   in Loop: Header=BB176_3 Depth=1
	s_or_b64 exec, exec, s[34:35]
	v_lshl_add_u64 v[168:169], v[166:167], 0, 12
	v_cmp_gt_i64_e32 vcc, s[12:13], v[168:169]
	s_and_b64 s[36:37], s[6:7], vcc
	s_and_saveexec_b64 s[34:35], s[36:37]
	s_cbranch_execz .LBB176_34
; %bb.33:                               ;   in Loop: Header=BB176_3 Depth=1
	v_lshl_add_u64 v[168:169], v[118:119], 0, v[36:37]
	global_load_ushort v16, v[168:169], off
	v_lshl_add_u64 v[168:169], v[120:121], 0, v[36:37]
	global_load_ushort v168, v[168:169], off
	s_waitcnt vmcnt(1)
	v_cvt_f32_f16_e32 v16, v16
	s_waitcnt vmcnt(0)
	v_cvt_f32_f16_e32 v195, v168
.LBB176_34:                             ;   in Loop: Header=BB176_3 Depth=1
	s_or_b64 exec, exec, s[34:35]
	v_lshl_add_u64 v[168:169], v[166:167], 0, 13
	v_cmp_gt_i64_e32 vcc, s[12:13], v[168:169]
	s_and_b64 s[36:37], s[6:7], vcc
	v_mov_b32_e32 v197, 0
	v_mov_b32_e32 v198, 0
	s_and_saveexec_b64 s[34:35], s[36:37]
	s_cbranch_execz .LBB176_36
; %bb.35:                               ;   in Loop: Header=BB176_3 Depth=1
	v_lshl_add_u64 v[168:169], v[114:115], 0, v[36:37]
	global_load_ushort v17, v[168:169], off
	v_lshl_add_u64 v[168:169], v[116:117], 0, v[36:37]
	global_load_ushort v168, v[168:169], off
	s_waitcnt vmcnt(1)
	v_cvt_f32_f16_e32 v17, v17
	s_waitcnt vmcnt(0)
	v_cvt_f32_f16_e32 v198, v168
.LBB176_36:                             ;   in Loop: Header=BB176_3 Depth=1
	s_or_b64 exec, exec, s[34:35]
	v_lshl_add_u64 v[168:169], v[166:167], 0, 14
	v_cmp_gt_i64_e32 vcc, s[12:13], v[168:169]
	s_and_b64 s[36:37], s[6:7], vcc
	s_and_saveexec_b64 s[34:35], s[36:37]
	s_cbranch_execz .LBB176_38
; %bb.37:                               ;   in Loop: Header=BB176_3 Depth=1
	v_lshl_add_u64 v[168:169], v[110:111], 0, v[36:37]
	global_load_ushort v18, v[168:169], off
	v_lshl_add_u64 v[168:169], v[112:113], 0, v[36:37]
	global_load_ushort v168, v[168:169], off
	s_waitcnt vmcnt(1)
	v_cvt_f32_f16_e32 v18, v18
	s_waitcnt vmcnt(0)
	v_cvt_f32_f16_e32 v197, v168
.LBB176_38:                             ;   in Loop: Header=BB176_3 Depth=1
	s_or_b64 exec, exec, s[34:35]
	v_lshl_add_u64 v[168:169], v[166:167], 0, 15
	v_cmp_gt_i64_e32 vcc, s[12:13], v[168:169]
	s_and_b64 s[36:37], s[6:7], vcc
	v_mov_b32_e32 v199, 0
	v_mov_b32_e32 v200, 0
	s_and_saveexec_b64 s[34:35], s[36:37]
	s_cbranch_execz .LBB176_40
; %bb.39:                               ;   in Loop: Header=BB176_3 Depth=1
	v_lshl_add_u64 v[168:169], v[106:107], 0, v[36:37]
	global_load_ushort v19, v[168:169], off
	v_lshl_add_u64 v[168:169], v[108:109], 0, v[36:37]
	global_load_ushort v168, v[168:169], off
	s_waitcnt vmcnt(1)
	v_cvt_f32_f16_e32 v19, v19
	s_waitcnt vmcnt(0)
	v_cvt_f32_f16_e32 v200, v168
.LBB176_40:                             ;   in Loop: Header=BB176_3 Depth=1
	s_or_b64 exec, exec, s[34:35]
	v_lshl_add_u64 v[168:169], v[166:167], 0, 16
	v_cmp_gt_i64_e32 vcc, s[12:13], v[168:169]
	s_and_b64 s[36:37], s[6:7], vcc
	s_and_saveexec_b64 s[34:35], s[36:37]
	s_cbranch_execz .LBB176_42
; %bb.41:                               ;   in Loop: Header=BB176_3 Depth=1
	v_lshl_add_u64 v[168:169], v[102:103], 0, v[36:37]
	global_load_ushort v20, v[168:169], off
	v_lshl_add_u64 v[168:169], v[104:105], 0, v[36:37]
	global_load_ushort v168, v[168:169], off
	s_waitcnt vmcnt(1)
	v_cvt_f32_f16_e32 v20, v20
	s_waitcnt vmcnt(0)
	v_cvt_f32_f16_e32 v199, v168
.LBB176_42:                             ;   in Loop: Header=BB176_3 Depth=1
	s_or_b64 exec, exec, s[34:35]
	v_lshl_add_u64 v[168:169], v[166:167], 0, 17
	v_cmp_gt_i64_e32 vcc, s[12:13], v[168:169]
	s_and_b64 s[36:37], s[6:7], vcc
	v_mov_b32_e32 v201, 0
	v_mov_b32_e32 v202, 0
	s_and_saveexec_b64 s[34:35], s[36:37]
	s_cbranch_execz .LBB176_44
; %bb.43:                               ;   in Loop: Header=BB176_3 Depth=1
	v_lshl_add_u64 v[168:169], v[98:99], 0, v[36:37]
	global_load_ushort v21, v[168:169], off
	v_lshl_add_u64 v[168:169], v[100:101], 0, v[36:37]
	global_load_ushort v168, v[168:169], off
	s_waitcnt vmcnt(1)
	v_cvt_f32_f16_e32 v21, v21
	s_waitcnt vmcnt(0)
	v_cvt_f32_f16_e32 v202, v168
.LBB176_44:                             ;   in Loop: Header=BB176_3 Depth=1
	s_or_b64 exec, exec, s[34:35]
	v_lshl_add_u64 v[168:169], v[166:167], 0, 18
	v_cmp_gt_i64_e32 vcc, s[12:13], v[168:169]
	s_and_b64 s[36:37], s[6:7], vcc
	s_and_saveexec_b64 s[34:35], s[36:37]
	s_cbranch_execz .LBB176_46
; %bb.45:                               ;   in Loop: Header=BB176_3 Depth=1
	v_lshl_add_u64 v[168:169], v[94:95], 0, v[36:37]
	global_load_ushort v22, v[168:169], off
	v_lshl_add_u64 v[168:169], v[96:97], 0, v[36:37]
	global_load_ushort v168, v[168:169], off
	s_waitcnt vmcnt(1)
	v_cvt_f32_f16_e32 v22, v22
	s_waitcnt vmcnt(0)
	v_cvt_f32_f16_e32 v201, v168
.LBB176_46:                             ;   in Loop: Header=BB176_3 Depth=1
	s_or_b64 exec, exec, s[34:35]
	v_lshl_add_u64 v[168:169], v[166:167], 0, 19
	v_cmp_gt_i64_e32 vcc, s[12:13], v[168:169]
	s_and_b64 s[36:37], s[6:7], vcc
	v_mov_b32_e32 v169, 0
	v_mov_b32_e32 v168, 0
	s_and_saveexec_b64 s[34:35], s[36:37]
	s_cbranch_execz .LBB176_48
; %bb.47:                               ;   in Loop: Header=BB176_3 Depth=1
	v_lshl_add_u64 v[170:171], v[90:91], 0, v[36:37]
	global_load_ushort v23, v[170:171], off
	v_lshl_add_u64 v[170:171], v[92:93], 0, v[36:37]
	global_load_ushort v168, v[170:171], off
	s_waitcnt vmcnt(1)
	v_cvt_f32_f16_e32 v23, v23
	s_waitcnt vmcnt(0)
	v_cvt_f32_f16_e32 v168, v168
.LBB176_48:                             ;   in Loop: Header=BB176_3 Depth=1
	s_or_b64 exec, exec, s[34:35]
	v_lshl_add_u64 v[170:171], v[166:167], 0, 20
	v_cmp_gt_i64_e32 vcc, s[12:13], v[170:171]
	s_and_b64 s[36:37], s[6:7], vcc
	s_and_saveexec_b64 s[34:35], s[36:37]
	s_cbranch_execz .LBB176_50
; %bb.49:                               ;   in Loop: Header=BB176_3 Depth=1
	v_lshl_add_u64 v[170:171], v[86:87], 0, v[36:37]
	global_load_ushort v24, v[170:171], off
	v_lshl_add_u64 v[170:171], v[88:89], 0, v[36:37]
	global_load_ushort v169, v[170:171], off
	s_waitcnt vmcnt(1)
	v_cvt_f32_f16_e32 v24, v24
	s_waitcnt vmcnt(0)
	v_cvt_f32_f16_e32 v169, v169
.LBB176_50:                             ;   in Loop: Header=BB176_3 Depth=1
	s_or_b64 exec, exec, s[34:35]
	v_lshl_add_u64 v[170:171], v[166:167], 0, 21
	v_cmp_gt_i64_e32 vcc, s[12:13], v[170:171]
	s_and_b64 s[36:37], s[6:7], vcc
	v_mov_b32_e32 v171, 0
	v_mov_b32_e32 v170, 0
	s_and_saveexec_b64 s[34:35], s[36:37]
	s_cbranch_execz .LBB176_52
; %bb.51:                               ;   in Loop: Header=BB176_3 Depth=1
	v_lshl_add_u64 v[172:173], v[82:83], 0, v[36:37]
	global_load_ushort v25, v[172:173], off
	v_lshl_add_u64 v[172:173], v[84:85], 0, v[36:37]
	global_load_ushort v170, v[172:173], off
	s_waitcnt vmcnt(1)
	v_cvt_f32_f16_e32 v25, v25
	s_waitcnt vmcnt(0)
	v_cvt_f32_f16_e32 v170, v170
.LBB176_52:                             ;   in Loop: Header=BB176_3 Depth=1
	s_or_b64 exec, exec, s[34:35]
	v_lshl_add_u64 v[172:173], v[166:167], 0, 22
	v_cmp_gt_i64_e32 vcc, s[12:13], v[172:173]
	s_and_b64 s[36:37], s[6:7], vcc
	s_and_saveexec_b64 s[34:35], s[36:37]
	s_cbranch_execz .LBB176_54
; %bb.53:                               ;   in Loop: Header=BB176_3 Depth=1
	v_lshl_add_u64 v[172:173], v[78:79], 0, v[36:37]
	global_load_ushort v26, v[172:173], off
	v_lshl_add_u64 v[172:173], v[80:81], 0, v[36:37]
	global_load_ushort v171, v[172:173], off
	s_waitcnt vmcnt(1)
	v_cvt_f32_f16_e32 v26, v26
	s_waitcnt vmcnt(0)
	v_cvt_f32_f16_e32 v171, v171
.LBB176_54:                             ;   in Loop: Header=BB176_3 Depth=1
	s_or_b64 exec, exec, s[34:35]
	v_lshl_add_u64 v[172:173], v[166:167], 0, 23
	v_cmp_gt_i64_e32 vcc, s[12:13], v[172:173]
	s_and_b64 s[36:37], s[6:7], vcc
	v_mov_b32_e32 v173, 0
	v_mov_b32_e32 v172, 0
	s_and_saveexec_b64 s[34:35], s[36:37]
	s_cbranch_execz .LBB176_56
; %bb.55:                               ;   in Loop: Header=BB176_3 Depth=1
	v_lshl_add_u64 v[174:175], v[74:75], 0, v[36:37]
	global_load_ushort v27, v[174:175], off
	v_lshl_add_u64 v[174:175], v[76:77], 0, v[36:37]
	global_load_ushort v172, v[174:175], off
	s_waitcnt vmcnt(1)
	v_cvt_f32_f16_e32 v27, v27
	s_waitcnt vmcnt(0)
	v_cvt_f32_f16_e32 v172, v172
.LBB176_56:                             ;   in Loop: Header=BB176_3 Depth=1
	s_or_b64 exec, exec, s[34:35]
	v_lshl_add_u64 v[174:175], v[166:167], 0, 24
	v_cmp_gt_i64_e32 vcc, s[12:13], v[174:175]
	s_and_b64 s[36:37], s[6:7], vcc
	s_and_saveexec_b64 s[34:35], s[36:37]
	s_cbranch_execz .LBB176_58
; %bb.57:                               ;   in Loop: Header=BB176_3 Depth=1
	v_lshl_add_u64 v[174:175], v[70:71], 0, v[36:37]
	global_load_ushort v28, v[174:175], off
	v_lshl_add_u64 v[174:175], v[72:73], 0, v[36:37]
	global_load_ushort v173, v[174:175], off
	s_waitcnt vmcnt(1)
	v_cvt_f32_f16_e32 v28, v28
	s_waitcnt vmcnt(0)
	v_cvt_f32_f16_e32 v173, v173
.LBB176_58:                             ;   in Loop: Header=BB176_3 Depth=1
	s_or_b64 exec, exec, s[34:35]
	v_lshl_add_u64 v[174:175], v[166:167], 0, 25
	v_cmp_gt_i64_e32 vcc, s[12:13], v[174:175]
	s_and_b64 s[36:37], s[6:7], vcc
	v_mov_b32_e32 v175, 0
	v_mov_b32_e32 v174, 0
	s_and_saveexec_b64 s[34:35], s[36:37]
	s_cbranch_execz .LBB176_60
; %bb.59:                               ;   in Loop: Header=BB176_3 Depth=1
	v_lshl_add_u64 v[176:177], v[66:67], 0, v[36:37]
	global_load_ushort v29, v[176:177], off
	v_lshl_add_u64 v[176:177], v[68:69], 0, v[36:37]
	global_load_ushort v174, v[176:177], off
	s_waitcnt vmcnt(1)
	v_cvt_f32_f16_e32 v29, v29
	s_waitcnt vmcnt(0)
	v_cvt_f32_f16_e32 v174, v174
.LBB176_60:                             ;   in Loop: Header=BB176_3 Depth=1
	s_or_b64 exec, exec, s[34:35]
	v_lshl_add_u64 v[176:177], v[166:167], 0, 26
	v_cmp_gt_i64_e32 vcc, s[12:13], v[176:177]
	s_and_b64 s[36:37], s[6:7], vcc
	s_and_saveexec_b64 s[34:35], s[36:37]
	s_cbranch_execz .LBB176_62
; %bb.61:                               ;   in Loop: Header=BB176_3 Depth=1
	v_lshl_add_u64 v[176:177], v[62:63], 0, v[36:37]
	global_load_ushort v30, v[176:177], off
	v_lshl_add_u64 v[176:177], v[64:65], 0, v[36:37]
	global_load_ushort v175, v[176:177], off
	s_waitcnt vmcnt(1)
	v_cvt_f32_f16_e32 v30, v30
	s_waitcnt vmcnt(0)
	v_cvt_f32_f16_e32 v175, v175
.LBB176_62:                             ;   in Loop: Header=BB176_3 Depth=1
	s_or_b64 exec, exec, s[34:35]
	v_lshl_add_u64 v[176:177], v[166:167], 0, 27
	v_cmp_gt_i64_e32 vcc, s[12:13], v[176:177]
	s_and_b64 s[36:37], s[6:7], vcc
	v_mov_b32_e32 v177, 0
	v_mov_b32_e32 v176, 0
	s_and_saveexec_b64 s[34:35], s[36:37]
	s_cbranch_execz .LBB176_64
; %bb.63:                               ;   in Loop: Header=BB176_3 Depth=1
	v_lshl_add_u64 v[178:179], v[58:59], 0, v[36:37]
	global_load_ushort v31, v[178:179], off
	v_lshl_add_u64 v[178:179], v[60:61], 0, v[36:37]
	global_load_ushort v176, v[178:179], off
	s_waitcnt vmcnt(1)
	v_cvt_f32_f16_e32 v31, v31
	s_waitcnt vmcnt(0)
	v_cvt_f32_f16_e32 v176, v176
.LBB176_64:                             ;   in Loop: Header=BB176_3 Depth=1
	s_or_b64 exec, exec, s[34:35]
	v_lshl_add_u64 v[178:179], v[166:167], 0, 28
	v_cmp_gt_i64_e32 vcc, s[12:13], v[178:179]
	s_and_b64 s[36:37], s[6:7], vcc
	s_and_saveexec_b64 s[34:35], s[36:37]
	s_cbranch_execz .LBB176_66
; %bb.65:                               ;   in Loop: Header=BB176_3 Depth=1
	v_lshl_add_u64 v[178:179], v[54:55], 0, v[36:37]
	global_load_ushort v32, v[178:179], off
	v_lshl_add_u64 v[178:179], v[56:57], 0, v[36:37]
	global_load_ushort v177, v[178:179], off
	s_waitcnt vmcnt(1)
	v_cvt_f32_f16_e32 v32, v32
	s_waitcnt vmcnt(0)
	v_cvt_f32_f16_e32 v177, v177
.LBB176_66:                             ;   in Loop: Header=BB176_3 Depth=1
	s_or_b64 exec, exec, s[34:35]
	v_lshl_add_u64 v[178:179], v[166:167], 0, 29
	v_cmp_gt_i64_e32 vcc, s[12:13], v[178:179]
	s_and_b64 s[36:37], s[6:7], vcc
	v_mov_b32_e32 v179, 0
	v_mov_b32_e32 v178, 0
	s_and_saveexec_b64 s[34:35], s[36:37]
	s_cbranch_execz .LBB176_68
; %bb.67:                               ;   in Loop: Header=BB176_3 Depth=1
	v_lshl_add_u64 v[204:205], v[50:51], 0, v[36:37]
	global_load_ushort v33, v[204:205], off
	v_lshl_add_u64 v[204:205], v[52:53], 0, v[36:37]
	global_load_ushort v178, v[204:205], off
	s_waitcnt vmcnt(1)
	v_cvt_f32_f16_e32 v33, v33
	s_waitcnt vmcnt(0)
	v_cvt_f32_f16_e32 v178, v178
.LBB176_68:                             ;   in Loop: Header=BB176_3 Depth=1
	s_or_b64 exec, exec, s[34:35]
	v_lshl_add_u64 v[204:205], v[166:167], 0, 30
	v_cmp_gt_i64_e32 vcc, s[12:13], v[204:205]
	s_and_b64 s[36:37], s[6:7], vcc
	s_and_saveexec_b64 s[34:35], s[36:37]
	s_cbranch_execz .LBB176_70
; %bb.69:                               ;   in Loop: Header=BB176_3 Depth=1
	v_lshl_add_u64 v[204:205], v[46:47], 0, v[36:37]
	global_load_ushort v34, v[204:205], off
	v_lshl_add_u64 v[204:205], v[48:49], 0, v[36:37]
	global_load_ushort v179, v[204:205], off
	s_waitcnt vmcnt(1)
	v_cvt_f32_f16_e32 v34, v34
	s_waitcnt vmcnt(0)
	v_cvt_f32_f16_e32 v179, v179
.LBB176_70:                             ;   in Loop: Header=BB176_3 Depth=1
	s_or_b64 exec, exec, s[34:35]
	v_lshl_add_u64 v[204:205], v[166:167], 0, 31
	v_cmp_gt_i64_e32 vcc, s[12:13], v[204:205]
	s_and_b64 s[36:37], s[6:7], vcc
	v_mov_b32_e32 v203, 0
	s_and_saveexec_b64 s[34:35], s[36:37]
	s_cbranch_execz .LBB176_72
; %bb.71:                               ;   in Loop: Header=BB176_3 Depth=1
	v_lshl_add_u64 v[204:205], v[42:43], 0, v[36:37]
	global_load_ushort v35, v[204:205], off
	v_lshl_add_u64 v[204:205], v[44:45], 0, v[36:37]
	global_load_ushort v203, v[204:205], off
	s_waitcnt vmcnt(1)
	v_cvt_f32_f16_e32 v35, v35
	s_waitcnt vmcnt(0)
	v_cvt_f32_f16_e32 v203, v203
.LBB176_72:                             ;   in Loop: Header=BB176_3 Depth=1
	s_or_b64 exec, exec, s[34:35]
	s_waitcnt vmcnt(0)
	ds_bpermute_b32 v204, v182, v184
	ds_bpermute_b32 v205, v182, v184 offset:4
	v_mul_f32_e32 v4, v185, v4
	ds_bpermute_b32 v185, v182, v184 offset:8
	v_mul_f32_e32 v5, v186, v5
	s_waitcnt lgkmcnt(2)
	v_fma_f32 v186, v4, v204, v183
	ds_bpermute_b32 v4, v182, v184 offset:12
	s_waitcnt lgkmcnt(2)
	v_fmac_f32_e32 v186, v5, v205
	v_mul_f32_e32 v3, v3, v6
	s_waitcnt lgkmcnt(1)
	v_fmac_f32_e32 v186, v3, v185
	ds_bpermute_b32 v3, v182, v184 offset:16
	v_mul_f32_e32 v5, v188, v7
	s_waitcnt lgkmcnt(1)
	v_fmac_f32_e32 v186, v5, v4
	ds_bpermute_b32 v4, v182, v184 offset:20
	;; [unrolled: 4-line block ×14, first 2 shown]
	v_mul_f32_e32 v5, v199, v20
	ds_bpermute_b32 v6, v182, v184 offset:72
	s_waitcnt lgkmcnt(2)
	v_fmac_f32_e32 v186, v5, v3
	v_mul_f32_e32 v3, v202, v21
	s_waitcnt lgkmcnt(1)
	v_fmac_f32_e32 v186, v3, v4
	ds_bpermute_b32 v4, v182, v184 offset:76
	ds_bpermute_b32 v5, v182, v184 offset:80
	v_mul_f32_e32 v3, v201, v22
	s_waitcnt lgkmcnt(2)
	v_fmac_f32_e32 v186, v3, v6
	v_mov_b32_e32 v6, v23
	v_mov_b32_e32 v7, v24
	v_pk_mul_f32 v[6:7], v[168:169], v[6:7]
	s_mov_b64 s[34:35], 0
	s_waitcnt lgkmcnt(0)
	v_pk_mul_f32 v[4:5], v[6:7], v[4:5]
	ds_bpermute_b32 v6, v182, v184 offset:84
	ds_bpermute_b32 v7, v182, v184 offset:88
	v_add_f32_e32 v3, v186, v4
	v_add_f32_e32 v3, v3, v5
	v_mov_b32_e32 v4, v25
	v_mov_b32_e32 v5, v26
	v_pk_mul_f32 v[4:5], v[170:171], v[4:5]
	s_waitcnt lgkmcnt(0)
	v_pk_mul_f32 v[4:5], v[4:5], v[6:7]
	ds_bpermute_b32 v6, v182, v184 offset:92
	ds_bpermute_b32 v7, v182, v184 offset:96
	v_add_f32_e32 v3, v3, v4
	v_add_f32_e32 v3, v3, v5
	v_mov_b32_e32 v4, v27
	v_mov_b32_e32 v5, v28
	v_pk_mul_f32 v[4:5], v[172:173], v[4:5]
	;; [unrolled: 9-line block ×5, first 2 shown]
	ds_bpermute_b32 v4, v182, v184 offset:124
	s_waitcnt lgkmcnt(1)
	v_pk_mul_f32 v[6:7], v[8:9], v[6:7]
	s_nop 0
	v_add_f32_e32 v3, v3, v6
	v_add_f32_e32 v3, v3, v7
.LBB176_73:                             ;   in Loop: Header=BB176_3 Depth=1
	s_and_b64 vcc, exec, s[34:35]
	s_cbranch_vccz .LBB176_141
; %bb.74:                               ;   in Loop: Header=BB176_3 Depth=1
	s_load_dword s9, s[24:25], 0x0
	v_mov_b32_e32 v179, 0
	v_mov_b32_e32 v178, 0
	s_waitcnt lgkmcnt(0)
	s_cmp_lt_u32 s2, s9
	s_cselect_b32 s9, 12, 18
	s_add_u32 s34, s24, s9
	s_addc_u32 s35, s25, 0
	global_load_ushort v3, v2, s[34:35]
	s_waitcnt vmcnt(0)
	v_mad_u32_u24 v3, v181, v3, v180
	v_and_b32_e32 v4, 63, v3
	v_cmp_gt_u32_e32 vcc, 32, v4
	s_and_saveexec_b64 s[34:35], vcc
	s_cbranch_execz .LBB176_78
; %bb.75:                               ;   in Loop: Header=BB176_3 Depth=1
	v_mov_b32_e32 v5, v2
	v_lshl_add_u64 v[4:5], v[166:167], 0, v[4:5]
	v_cmp_gt_i64_e32 vcc, s[12:13], v[4:5]
	v_mov_b32_e32 v178, 0
	s_and_saveexec_b64 s[36:37], vcc
	s_cbranch_execz .LBB176_77
; %bb.76:                               ;   in Loop: Header=BB176_3 Depth=1
	v_lshl_add_u64 v[4:5], v[4:5], 2, s[10:11]
	global_load_dword v178, v[4:5], off
.LBB176_77:                             ;   in Loop: Header=BB176_3 Depth=1
	s_or_b64 exec, exec, s[36:37]
.LBB176_78:                             ;   in Loop: Header=BB176_3 Depth=1
	s_or_b64 exec, exec, s[34:35]
	v_mov_b32_e32 v4, v2
	v_mov_b32_e32 v5, v2
	;; [unrolled: 1-line block ×31, first 2 shown]
	v_mov_b64_e32 v[34:35], v[32:33]
	v_mov_b64_e32 v[32:33], v[30:31]
	;; [unrolled: 1-line block ×16, first 2 shown]
	s_and_saveexec_b64 s[34:35], s[6:7]
	s_cbranch_execz .LBB176_80
; %bb.79:                               ;   in Loop: Header=BB176_3 Depth=1
	v_lshl_add_u64 v[4:5], v[38:39], 0, v[36:37]
	global_load_ushort v3, v[4:5], off
	v_lshl_add_u64 v[4:5], v[40:41], 0, v[36:37]
	global_load_ushort v33, v[4:5], off
	v_mov_b32_e32 v5, v2
	v_mov_b32_e32 v6, v2
	;; [unrolled: 1-line block ×30, first 2 shown]
	s_waitcnt vmcnt(1)
	v_cvt_f32_f16_e32 v4, v3
	s_waitcnt vmcnt(0)
	v_cvt_f32_f16_e32 v179, v33
	v_mov_b32_e32 v33, v2
.LBB176_80:                             ;   in Loop: Header=BB176_3 Depth=1
	s_or_b64 exec, exec, s[34:35]
	v_mov_b32_e32 v3, 0
	v_mov_b32_e32 v184, 0
	s_and_saveexec_b64 s[34:35], s[6:7]
	s_cbranch_execz .LBB176_82
; %bb.81:                               ;   in Loop: Header=BB176_3 Depth=1
	v_lshl_add_u64 v[166:167], v[162:163], 0, v[36:37]
	global_load_ushort v5, v[166:167], off
	v_lshl_add_u64 v[166:167], v[164:165], 0, v[36:37]
	global_load_ushort v166, v[166:167], off
	s_waitcnt vmcnt(1)
	v_cvt_f32_f16_e32 v5, v5
	s_waitcnt vmcnt(0)
	v_cvt_f32_f16_e32 v184, v166
.LBB176_82:                             ;   in Loop: Header=BB176_3 Depth=1
	s_or_b64 exec, exec, s[34:35]
	s_and_saveexec_b64 s[34:35], s[6:7]
	s_cbranch_execz .LBB176_84
; %bb.83:                               ;   in Loop: Header=BB176_3 Depth=1
	v_lshl_add_u64 v[166:167], v[158:159], 0, v[36:37]
	global_load_ushort v3, v[166:167], off
	v_lshl_add_u64 v[166:167], v[160:161], 0, v[36:37]
	global_load_ushort v166, v[166:167], off
	s_waitcnt vmcnt(1)
	v_cvt_f32_f16_e32 v6, v3
	s_waitcnt vmcnt(0)
	v_cvt_f32_f16_e32 v3, v166
.LBB176_84:                             ;   in Loop: Header=BB176_3 Depth=1
	s_or_b64 exec, exec, s[34:35]
	v_mov_b32_e32 v185, 0
	v_mov_b32_e32 v186, 0
	s_and_saveexec_b64 s[34:35], s[6:7]
	s_cbranch_execz .LBB176_86
; %bb.85:                               ;   in Loop: Header=BB176_3 Depth=1
	v_lshl_add_u64 v[166:167], v[154:155], 0, v[36:37]
	global_load_ushort v7, v[166:167], off
	v_lshl_add_u64 v[166:167], v[156:157], 0, v[36:37]
	global_load_ushort v166, v[166:167], off
	s_waitcnt vmcnt(1)
	v_cvt_f32_f16_e32 v7, v7
	s_waitcnt vmcnt(0)
	v_cvt_f32_f16_e32 v186, v166
.LBB176_86:                             ;   in Loop: Header=BB176_3 Depth=1
	s_or_b64 exec, exec, s[34:35]
	s_and_saveexec_b64 s[34:35], s[6:7]
	s_cbranch_execz .LBB176_88
; %bb.87:                               ;   in Loop: Header=BB176_3 Depth=1
	v_lshl_add_u64 v[166:167], v[150:151], 0, v[36:37]
	global_load_ushort v8, v[166:167], off
	v_lshl_add_u64 v[166:167], v[152:153], 0, v[36:37]
	global_load_ushort v166, v[166:167], off
	s_waitcnt vmcnt(1)
	v_cvt_f32_f16_e32 v8, v8
	s_waitcnt vmcnt(0)
	v_cvt_f32_f16_e32 v185, v166
.LBB176_88:                             ;   in Loop: Header=BB176_3 Depth=1
	;; [unrolled: 28-line block ×4, first 2 shown]
	s_or_b64 exec, exec, s[34:35]
	v_mov_b32_e32 v191, 0
	v_mov_b32_e32 v192, 0
	s_and_saveexec_b64 s[34:35], s[6:7]
	s_cbranch_execz .LBB176_98
; %bb.97:                               ;   in Loop: Header=BB176_3 Depth=1
	v_lshl_add_u64 v[166:167], v[130:131], 0, v[36:37]
	global_load_ushort v13, v[166:167], off
	v_lshl_add_u64 v[166:167], v[132:133], 0, v[36:37]
	global_load_ushort v166, v[166:167], off
	s_waitcnt vmcnt(1)
	v_cvt_f32_f16_e32 v13, v13
	s_waitcnt vmcnt(0)
	v_cvt_f32_f16_e32 v192, v166
.LBB176_98:                             ;   in Loop: Header=BB176_3 Depth=1
	s_or_b64 exec, exec, s[34:35]
	s_and_saveexec_b64 s[34:35], s[6:7]
	s_cbranch_execz .LBB176_100
; %bb.99:                               ;   in Loop: Header=BB176_3 Depth=1
	v_lshl_add_u64 v[166:167], v[126:127], 0, v[36:37]
	global_load_ushort v14, v[166:167], off
	v_lshl_add_u64 v[166:167], v[128:129], 0, v[36:37]
	global_load_ushort v166, v[166:167], off
	s_waitcnt vmcnt(1)
	v_cvt_f32_f16_e32 v14, v14
	s_waitcnt vmcnt(0)
	v_cvt_f32_f16_e32 v191, v166
.LBB176_100:                            ;   in Loop: Header=BB176_3 Depth=1
	s_or_b64 exec, exec, s[34:35]
	v_mov_b32_e32 v193, 0
	v_mov_b32_e32 v194, 0
	s_and_saveexec_b64 s[34:35], s[6:7]
	s_cbranch_execz .LBB176_102
; %bb.101:                              ;   in Loop: Header=BB176_3 Depth=1
	v_lshl_add_u64 v[166:167], v[122:123], 0, v[36:37]
	global_load_ushort v15, v[166:167], off
	v_lshl_add_u64 v[166:167], v[124:125], 0, v[36:37]
	global_load_ushort v166, v[166:167], off
	s_waitcnt vmcnt(1)
	v_cvt_f32_f16_e32 v15, v15
	s_waitcnt vmcnt(0)
	v_cvt_f32_f16_e32 v194, v166
.LBB176_102:                            ;   in Loop: Header=BB176_3 Depth=1
	s_or_b64 exec, exec, s[34:35]
	s_and_saveexec_b64 s[34:35], s[6:7]
	s_cbranch_execz .LBB176_104
; %bb.103:                              ;   in Loop: Header=BB176_3 Depth=1
	v_lshl_add_u64 v[166:167], v[118:119], 0, v[36:37]
	global_load_ushort v16, v[166:167], off
	v_lshl_add_u64 v[166:167], v[120:121], 0, v[36:37]
	global_load_ushort v166, v[166:167], off
	s_waitcnt vmcnt(1)
	v_cvt_f32_f16_e32 v16, v16
	s_waitcnt vmcnt(0)
	v_cvt_f32_f16_e32 v193, v166
.LBB176_104:                            ;   in Loop: Header=BB176_3 Depth=1
	s_or_b64 exec, exec, s[34:35]
	v_mov_b32_e32 v195, 0
	v_mov_b32_e32 v196, 0
	s_and_saveexec_b64 s[34:35], s[6:7]
	s_cbranch_execz .LBB176_106
; %bb.105:                              ;   in Loop: Header=BB176_3 Depth=1
	v_lshl_add_u64 v[166:167], v[114:115], 0, v[36:37]
	global_load_ushort v17, v[166:167], off
	v_lshl_add_u64 v[166:167], v[116:117], 0, v[36:37]
	global_load_ushort v166, v[166:167], off
	s_waitcnt vmcnt(1)
	v_cvt_f32_f16_e32 v17, v17
	s_waitcnt vmcnt(0)
	v_cvt_f32_f16_e32 v196, v166
.LBB176_106:                            ;   in Loop: Header=BB176_3 Depth=1
	s_or_b64 exec, exec, s[34:35]
	s_and_saveexec_b64 s[34:35], s[6:7]
	s_cbranch_execz .LBB176_108
; %bb.107:                              ;   in Loop: Header=BB176_3 Depth=1
	v_lshl_add_u64 v[166:167], v[110:111], 0, v[36:37]
	global_load_ushort v18, v[166:167], off
	v_lshl_add_u64 v[166:167], v[112:113], 0, v[36:37]
	global_load_ushort v166, v[166:167], off
	s_waitcnt vmcnt(1)
	v_cvt_f32_f16_e32 v18, v18
	s_waitcnt vmcnt(0)
	v_cvt_f32_f16_e32 v195, v166
.LBB176_108:                            ;   in Loop: Header=BB176_3 Depth=1
	;; [unrolled: 28-line block ×9, first 2 shown]
	s_or_b64 exec, exec, s[34:35]
	v_mov_b32_e32 v177, 0
	v_mov_b32_e32 v176, 0
	s_and_saveexec_b64 s[34:35], s[6:7]
	s_cbranch_execnz .LBB176_143
; %bb.137:                              ;   in Loop: Header=BB176_3 Depth=1
	s_or_b64 exec, exec, s[34:35]
	s_and_saveexec_b64 s[34:35], s[6:7]
	s_cbranch_execnz .LBB176_144
.LBB176_138:                            ;   in Loop: Header=BB176_3 Depth=1
	s_or_b64 exec, exec, s[34:35]
	v_mov_b32_e32 v203, 0
	s_and_saveexec_b64 s[34:35], s[6:7]
	s_cbranch_execz .LBB176_140
.LBB176_139:                            ;   in Loop: Header=BB176_3 Depth=1
	v_lshl_add_u64 v[202:203], v[42:43], 0, v[36:37]
	global_load_ushort v35, v[202:203], off
	v_lshl_add_u64 v[202:203], v[44:45], 0, v[36:37]
	global_load_ushort v201, v[202:203], off
	s_waitcnt vmcnt(1)
	v_cvt_f32_f16_e32 v35, v35
	s_waitcnt vmcnt(0)
	v_cvt_f32_f16_e32 v203, v201
.LBB176_140:                            ;   in Loop: Header=BB176_3 Depth=1
	s_or_b64 exec, exec, s[34:35]
	s_waitcnt vmcnt(0)
	ds_bpermute_b32 v201, v182, v178
	ds_bpermute_b32 v202, v182, v178 offset:4
	v_mul_f32_e32 v4, v179, v4
	ds_bpermute_b32 v179, v182, v178 offset:8
	v_mul_f32_e32 v5, v184, v5
	s_waitcnt lgkmcnt(2)
	v_fmac_f32_e32 v183, v4, v201
	ds_bpermute_b32 v4, v182, v178 offset:12
	s_waitcnt lgkmcnt(2)
	v_fmac_f32_e32 v183, v5, v202
	v_mul_f32_e32 v3, v3, v6
	s_waitcnt lgkmcnt(1)
	v_fmac_f32_e32 v183, v3, v179
	ds_bpermute_b32 v3, v182, v178 offset:16
	v_mul_f32_e32 v5, v186, v7
	s_waitcnt lgkmcnt(1)
	v_fmac_f32_e32 v183, v5, v4
	ds_bpermute_b32 v4, v182, v178 offset:20
	;; [unrolled: 4-line block ×14, first 2 shown]
	v_mul_f32_e32 v5, v197, v20
	ds_bpermute_b32 v6, v182, v178 offset:72
	s_waitcnt lgkmcnt(2)
	v_fmac_f32_e32 v183, v5, v3
	v_mul_f32_e32 v3, v200, v21
	s_waitcnt lgkmcnt(1)
	v_fmac_f32_e32 v183, v3, v4
	ds_bpermute_b32 v4, v182, v178 offset:76
	ds_bpermute_b32 v5, v182, v178 offset:80
	v_mul_f32_e32 v3, v199, v22
	s_waitcnt lgkmcnt(2)
	v_fmac_f32_e32 v183, v3, v6
	v_mov_b32_e32 v6, v23
	v_mov_b32_e32 v7, v24
	v_pk_mul_f32 v[6:7], v[166:167], v[6:7]
	v_mov_b32_e32 v8, v33
	s_waitcnt lgkmcnt(0)
	v_pk_mul_f32 v[4:5], v[6:7], v[4:5]
	ds_bpermute_b32 v6, v182, v178 offset:84
	ds_bpermute_b32 v7, v182, v178 offset:88
	v_add_f32_e32 v3, v183, v4
	v_add_f32_e32 v3, v3, v5
	v_mov_b32_e32 v4, v25
	v_mov_b32_e32 v5, v26
	v_pk_mul_f32 v[4:5], v[168:169], v[4:5]
	v_mov_b32_e32 v9, v34
	s_waitcnt lgkmcnt(0)
	v_pk_mul_f32 v[4:5], v[4:5], v[6:7]
	ds_bpermute_b32 v6, v182, v178 offset:92
	ds_bpermute_b32 v7, v182, v178 offset:96
	v_add_f32_e32 v3, v3, v4
	v_add_f32_e32 v3, v3, v5
	v_mov_b32_e32 v4, v27
	v_mov_b32_e32 v5, v28
	v_pk_mul_f32 v[4:5], v[170:171], v[4:5]
	v_pk_mul_f32 v[8:9], v[176:177], v[8:9]
	s_waitcnt lgkmcnt(0)
	v_pk_mul_f32 v[4:5], v[4:5], v[6:7]
	ds_bpermute_b32 v6, v182, v178 offset:100
	ds_bpermute_b32 v7, v182, v178 offset:104
	v_add_f32_e32 v3, v3, v4
	v_add_f32_e32 v3, v3, v5
	v_mov_b32_e32 v4, v29
	v_mov_b32_e32 v5, v30
	v_pk_mul_f32 v[4:5], v[172:173], v[4:5]
	s_waitcnt lgkmcnt(0)
	v_pk_mul_f32 v[4:5], v[4:5], v[6:7]
	ds_bpermute_b32 v6, v182, v178 offset:108
	ds_bpermute_b32 v7, v182, v178 offset:112
	v_add_f32_e32 v3, v3, v4
	v_add_f32_e32 v3, v3, v5
	v_mov_b32_e32 v4, v31
	v_mov_b32_e32 v5, v32
	v_pk_mul_f32 v[4:5], v[174:175], v[4:5]
	s_waitcnt lgkmcnt(0)
	v_pk_mul_f32 v[4:5], v[4:5], v[6:7]
	ds_bpermute_b32 v6, v182, v178 offset:116
	ds_bpermute_b32 v7, v182, v178 offset:120
	v_add_f32_e32 v3, v3, v4
	ds_bpermute_b32 v4, v182, v178 offset:124
	v_add_f32_e32 v3, v3, v5
	s_waitcnt lgkmcnt(1)
	v_pk_mul_f32 v[6:7], v[8:9], v[6:7]
	s_nop 0
	v_add_f32_e32 v3, v3, v6
	v_add_f32_e32 v3, v3, v7
.LBB176_141:                            ;   in Loop: Header=BB176_3 Depth=1
	v_mul_f32_e32 v5, v203, v35
	s_add_u32 s30, s30, s22
	s_waitcnt lgkmcnt(0)
	v_fmac_f32_e32 v3, v5, v4
	s_addc_u32 s31, s31, 0
	v_mov_b64_e32 v[4:5], s[12:13]
	s_add_u32 s28, s28, s22
	v_cmp_lt_i64_e32 vcc, s[30:31], v[4:5]
	v_lshl_add_u64 v[38:39], v[38:39], 0, s[26:27]
	v_lshl_add_u64 v[40:41], v[40:41], 0, s[26:27]
	;; [unrolled: 1-line block ×65, first 2 shown]
	s_addc_u32 s29, 0, s29
	s_cbranch_vccz .LBB176_146
; %bb.142:                              ;   in Loop: Header=BB176_3 Depth=1
	v_mov_b32_e32 v183, v3
	s_branch .LBB176_3
.LBB176_143:                            ;   in Loop: Header=BB176_3 Depth=1
	v_lshl_add_u64 v[202:203], v[50:51], 0, v[36:37]
	global_load_ushort v33, v[202:203], off
	v_lshl_add_u64 v[202:203], v[52:53], 0, v[36:37]
	global_load_ushort v176, v[202:203], off
	s_waitcnt vmcnt(1)
	v_cvt_f32_f16_e32 v33, v33
	s_waitcnt vmcnt(0)
	v_cvt_f32_f16_e32 v176, v176
	s_or_b64 exec, exec, s[34:35]
	s_and_saveexec_b64 s[34:35], s[6:7]
	s_cbranch_execz .LBB176_138
.LBB176_144:                            ;   in Loop: Header=BB176_3 Depth=1
	v_lshl_add_u64 v[202:203], v[46:47], 0, v[36:37]
	global_load_ushort v34, v[202:203], off
	v_lshl_add_u64 v[202:203], v[48:49], 0, v[36:37]
	global_load_ushort v177, v[202:203], off
	s_waitcnt vmcnt(1)
	v_cvt_f32_f16_e32 v34, v34
	s_waitcnt vmcnt(0)
	v_cvt_f32_f16_e32 v177, v177
	s_or_b64 exec, exec, s[34:35]
	v_mov_b32_e32 v203, 0
	s_and_saveexec_b64 s[34:35], s[6:7]
	s_cbranch_execnz .LBB176_139
	s_branch .LBB176_140
.LBB176_145:
                                        ; implicit-def: $vgpr3
	s_load_dwordx2 s[6:7], s[0:1], 0x30
	s_branch .LBB176_147
.LBB176_146:
	s_load_dwordx2 s[6:7], s[0:1], 0x30
	s_cbranch_execnz .LBB176_228
.LBB176_147:
	s_and_b64 vcc, exec, s[4:5]
	v_mov_b32_e32 v3, 0
	s_cbranch_vccnz .LBB176_228
; %bb.148:
	v_mov_b32_e32 v2, 0
	v_bfe_u32 v18, v206, 10, 10
	v_lshlrev_b32_e32 v0, 6, v18
	v_mov_b32_e32 v1, v2
	v_lshl_add_u64 v[0:1], s[20:21], 1, v[0:1]
	v_lshl_add_u64 v[8:9], v[0:1], 0, 2
	v_mov_b64_e32 v[4:5], s[16:17]
	v_mov_b64_e32 v[6:7], s[18:19]
	v_mad_u64_u32 v[94:95], s[4:5], s14, v8, v[4:5]
	v_mul_lo_u32 v3, s14, v9
	v_mul_lo_u32 v9, s15, v8
	v_lshl_add_u64 v[12:13], v[0:1], 0, 6
	v_mad_u64_u32 v[100:101], s[4:5], s14, v8, v[6:7]
	v_add3_u32 v95, v9, v95, v3
	v_mul_lo_u32 v13, s14, v13
	v_mul_lo_u32 v17, s15, v12
	v_add3_u32 v101, v9, v101, v3
	v_mad_u64_u32 v[8:9], s[4:5], s14, v12, v[6:7]
	v_add3_u32 v9, v17, v9, v13
	v_lshl_add_u64 v[10:11], v[0:1], 0, 4
	v_mad_u64_u32 v[98:99], s[4:5], s14, v12, v[4:5]
	v_lshl_add_u64 v[14:15], v[0:1], 0, 8
	v_accvgpr_write_b32 a15, v9
	v_mad_u64_u32 v[96:97], s[4:5], s14, v10, v[4:5]
	v_mul_lo_u32 v11, s14, v11
	v_mul_lo_u32 v16, s15, v10
	v_add3_u32 v99, v17, v99, v13
	v_mad_u64_u32 v[102:103], s[4:5], s14, v14, v[4:5]
	v_mad_u64_u32 v[104:105], s[4:5], s14, v10, v[6:7]
	v_mul_lo_u32 v3, s14, v15
	v_mul_lo_u32 v10, s15, v14
	v_accvgpr_write_b32 a14, v8
	v_lshl_add_u64 v[8:9], v[0:1], 0, 10
	v_mad_u64_u32 v[12:13], s[4:5], s14, v14, v[6:7]
	v_add3_u32 v97, v16, v97, v11
	v_add3_u32 v105, v16, v105, v11
	;; [unrolled: 1-line block ×4, first 2 shown]
	v_mul_lo_u32 v3, s14, v9
	v_mul_lo_u32 v9, s15, v8
	v_mad_u64_u32 v[10:11], s[4:5], s14, v8, v[4:5]
	v_add3_u32 v11, v9, v11, v3
	v_accvgpr_write_b32 a19, v11
	v_accvgpr_write_b32 a18, v10
	v_mad_u64_u32 v[10:11], s[4:5], s14, v8, v[6:7]
	v_add3_u32 v11, v9, v11, v3
	v_accvgpr_write_b32 a21, v11
	v_lshl_add_u64 v[8:9], v[0:1], 0, 12
	v_accvgpr_write_b32 a20, v10
	v_mul_lo_u32 v3, s14, v9
	v_mul_lo_u32 v9, s15, v8
	v_mad_u64_u32 v[10:11], s[4:5], s14, v8, v[4:5]
	v_add3_u32 v11, v9, v11, v3
	v_accvgpr_write_b32 a23, v11
	v_accvgpr_write_b32 a22, v10
	v_mad_u64_u32 v[10:11], s[4:5], s14, v8, v[6:7]
	v_add3_u32 v11, v9, v11, v3
	v_accvgpr_write_b32 a25, v11
	v_lshl_add_u64 v[8:9], v[0:1], 0, 14
	v_accvgpr_write_b32 a24, v10
	;; [unrolled: 11-line block ×13, first 2 shown]
	v_mul_lo_u32 v3, s14, v9
	v_mul_lo_u32 v9, s15, v8
	v_mad_u64_u32 v[10:11], s[4:5], s14, v8, v[4:5]
	v_mad_u64_u32 v[106:107], s[4:5], s14, v8, v[6:7]
	v_add3_u32 v11, v9, v11, v3
	v_add3_u32 v107, v9, v107, v3
	v_lshl_add_u64 v[8:9], v[0:1], 0, 38
	v_mul_lo_u32 v3, s14, v9
	v_mul_lo_u32 v9, s15, v8
	v_mad_u64_u32 v[108:109], s[4:5], s14, v8, v[4:5]
	v_mad_u64_u32 v[110:111], s[4:5], s14, v8, v[6:7]
	v_add3_u32 v109, v9, v109, v3
	v_add3_u32 v111, v9, v111, v3
	v_lshl_add_u64 v[8:9], v[0:1], 0, 40
	;; [unrolled: 7-line block ×12, first 2 shown]
	v_lshl_add_u64 v[0:1], v[0:1], 0, 62
	v_lshlrev_b32_e32 v160, 5, v18
	v_mov_b32_e32 v161, v2
	v_mad_u64_u32 v[154:155], s[4:5], s14, v8, v[6:7]
	v_mad_u64_u32 v[156:157], s[4:5], s14, v0, v[4:5]
	;; [unrolled: 1-line block ×3, first 2 shown]
	v_mul_lo_u32 v1, s14, v1
	v_mul_lo_u32 v0, s15, v0
	v_lshl_add_u64 v[6:7], v[160:161], 0, s[20:21]
	v_mul_lo_u32 v3, s14, v9
	v_mul_lo_u32 v9, s15, v8
	v_mad_u64_u32 v[152:153], s[4:5], s14, v8, v[4:5]
	v_add3_u32 v157, v0, v157, v1
	v_add3_u32 v159, v0, v159, v1
	v_lshl_add_u64 v[0:1], v[6:7], 0, 31
	v_add3_u32 v153, v9, v153, v3
	v_add3_u32 v155, v9, v155, v3
	v_mul_lo_u32 v3, s15, v0
	v_mul_lo_u32 v4, s14, v1
	v_mad_u64_u32 v[0:1], s[4:5], s14, v0, 0
	v_add3_u32 v1, v1, v4, v3
	v_lshl_add_u64 v[4:5], v[6:7], 0, 30
	v_mul_lo_u32 v3, s15, v4
	v_mul_lo_u32 v8, s14, v5
	v_mad_u64_u32 v[4:5], s[4:5], s14, v4, 0
	v_accvgpr_write_b32 a71, v11
	v_add3_u32 v5, v5, v8, v3
	v_lshl_add_u64 v[8:9], v[6:7], 0, 29
	v_accvgpr_write_b32 a70, v10
	v_mul_lo_u32 v3, s15, v8
	v_mul_lo_u32 v10, s14, v9
	v_mad_u64_u32 v[8:9], s[4:5], s14, v8, 0
	v_accvgpr_write_b32 a17, v13
	v_add3_u32 v9, v9, v10, v3
	v_lshl_add_u64 v[10:11], v[6:7], 0, 28
	v_accvgpr_write_b32 a16, v12
	v_mul_lo_u32 v3, s15, v10
	v_mul_lo_u32 v12, s14, v11
	v_mad_u64_u32 v[10:11], s[4:5], s14, v10, 0
	v_add3_u32 v11, v11, v12, v3
	v_lshl_add_u64 v[12:13], v[6:7], 0, 27
	v_mul_lo_u32 v3, s15, v12
	v_mul_lo_u32 v14, s14, v13
	v_mad_u64_u32 v[12:13], s[4:5], s14, v12, 0
	v_add3_u32 v13, v13, v14, v3
	v_lshl_add_u64 v[14:15], v[6:7], 0, 26
	;; [unrolled: 5-line block ×3, first 2 shown]
	v_accvgpr_write_b32 a1, v18
	v_mul_lo_u32 v3, s15, v16
	v_mul_lo_u32 v18, s14, v17
	v_mad_u64_u32 v[16:17], s[4:5], s14, v16, 0
	v_add3_u32 v17, v17, v18, v3
	v_lshl_add_u64 v[18:19], v[6:7], 0, 24
	v_mul_lo_u32 v3, s15, v18
	v_mul_lo_u32 v20, s14, v19
	v_mad_u64_u32 v[18:19], s[4:5], s14, v18, 0
	v_add3_u32 v19, v19, v20, v3
	v_lshl_add_u64 v[20:21], v[6:7], 0, 23
	;; [unrolled: 5-line block ×20, first 2 shown]
	v_lshlrev_b64 v[0:1], 1, v[0:1]
	v_mul_lo_u32 v3, s15, v56
	v_mul_lo_u32 v58, s14, v57
	v_mad_u64_u32 v[56:57], s[4:5], s14, v56, 0
	v_lshl_add_u64 v[168:169], s[16:17], 0, v[0:1]
	v_lshl_add_u64 v[170:171], s[18:19], 0, v[0:1]
	v_lshlrev_b64 v[0:1], 1, v[4:5]
	v_add3_u32 v57, v57, v58, v3
	v_lshl_add_u64 v[58:59], v[6:7], 0, 4
	v_lshl_add_u64 v[172:173], s[16:17], 0, v[0:1]
	v_lshl_add_u64 v[174:175], s[18:19], 0, v[0:1]
	v_lshlrev_b64 v[0:1], 1, v[8:9]
	v_mul_lo_u32 v3, s15, v58
	v_mul_lo_u32 v60, s14, v59
	v_mad_u64_u32 v[58:59], s[4:5], s14, v58, 0
	v_lshl_add_u64 v[176:177], s[16:17], 0, v[0:1]
	v_lshl_add_u64 v[178:179], s[18:19], 0, v[0:1]
	v_lshlrev_b64 v[0:1], 1, v[10:11]
	v_add3_u32 v59, v59, v60, v3
	v_lshl_add_u64 v[60:61], v[6:7], 0, 3
	v_lshl_add_u64 v[180:181], s[16:17], 0, v[0:1]
	v_lshl_add_u64 v[182:183], s[18:19], 0, v[0:1]
	;; [unrolled: 11-line block ×3, first 2 shown]
	v_lshlrev_b64 v[0:1], 1, v[16:17]
	v_mul_lo_u32 v3, s15, v62
	v_mul_lo_u32 v64, s14, v63
	v_mad_u64_u32 v[62:63], s[4:5], s14, v62, 0
	v_lshl_add_u64 v[192:193], s[16:17], 0, v[0:1]
	v_lshl_add_u64 v[194:195], s[18:19], 0, v[0:1]
	v_lshlrev_b64 v[0:1], 1, v[18:19]
	v_add3_u32 v63, v63, v64, v3
	v_mov_b64_e32 v[64:65], s[14:15]
	v_lshl_add_u64 v[196:197], s[16:17], 0, v[0:1]
	v_lshl_add_u64 v[198:199], s[18:19], 0, v[0:1]
	v_lshlrev_b64 v[0:1], 1, v[20:21]
	v_mad_u64_u32 v[66:67], s[4:5], s14, v6, v[64:65]
	v_mul_lo_u32 v3, s15, v6
	v_mul_lo_u32 v64, s14, v7
	v_mad_u64_u32 v[6:7], s[4:5], s14, v6, 0
	v_lshl_add_u64 v[200:201], s[16:17], 0, v[0:1]
	v_lshl_add_u64 v[202:203], s[18:19], 0, v[0:1]
	v_lshlrev_b64 v[0:1], 1, v[22:23]
	v_add3_u32 v7, v7, v64, v3
	v_add3_u32 v67, v3, v67, v64
	v_accvgpr_write_b32 a0, v206
	v_and_b32_e32 v3, 0x3ff, v206
	v_lshl_add_u64 v[204:205], s[16:17], 0, v[0:1]
	v_lshl_add_u64 v[206:207], s[18:19], 0, v[0:1]
	v_lshlrev_b64 v[0:1], 1, v[24:25]
	v_lshl_add_u64 v[208:209], s[16:17], 0, v[0:1]
	v_lshl_add_u64 v[210:211], s[18:19], 0, v[0:1]
	v_lshlrev_b64 v[0:1], 1, v[26:27]
	v_lshl_add_u64 v[212:213], s[16:17], 0, v[0:1]
	v_lshl_add_u64 v[214:215], s[18:19], 0, v[0:1]
	v_lshlrev_b64 v[0:1], 1, v[28:29]
	v_lshl_add_u64 v[216:217], s[16:17], 0, v[0:1]
	v_lshl_add_u64 v[218:219], s[18:19], 0, v[0:1]
	v_lshlrev_b64 v[0:1], 1, v[30:31]
	v_lshl_add_u64 v[220:221], s[16:17], 0, v[0:1]
	v_lshl_add_u64 v[222:223], s[18:19], 0, v[0:1]
	v_lshlrev_b64 v[0:1], 1, v[32:33]
	v_lshl_add_u64 v[224:225], s[16:17], 0, v[0:1]
	v_lshl_add_u64 v[226:227], s[18:19], 0, v[0:1]
	v_lshlrev_b64 v[0:1], 1, v[34:35]
	v_lshl_add_u64 v[228:229], s[16:17], 0, v[0:1]
	v_lshl_add_u64 v[230:231], s[18:19], 0, v[0:1]
	v_lshlrev_b64 v[0:1], 1, v[36:37]
	v_lshl_add_u64 v[232:233], s[16:17], 0, v[0:1]
	v_lshl_add_u64 v[234:235], s[18:19], 0, v[0:1]
	v_lshlrev_b64 v[0:1], 1, v[38:39]
	v_lshl_add_u64 v[236:237], s[16:17], 0, v[0:1]
	v_lshl_add_u64 v[238:239], s[18:19], 0, v[0:1]
	v_lshlrev_b64 v[0:1], 1, v[40:41]
	s_load_dword s4, s[0:1], 0x44
	v_lshl_add_u64 v[240:241], s[16:17], 0, v[0:1]
	v_lshl_add_u64 v[242:243], s[18:19], 0, v[0:1]
	v_lshlrev_b64 v[0:1], 1, v[42:43]
	v_lshlrev_b64 v[4:5], 1, v[50:51]
	v_lshl_add_u64 v[244:245], s[16:17], 0, v[0:1]
	v_lshl_add_u64 v[246:247], s[18:19], 0, v[0:1]
	v_lshlrev_b64 v[0:1], 1, v[44:45]
	v_lshl_add_u64 v[38:39], s[16:17], 0, v[4:5]
	v_lshl_add_u64 v[40:41], s[18:19], 0, v[4:5]
	;; [unrolled: 3-line block ×6, first 2 shown]
	v_lshlrev_b64 v[4:5], 1, v[56:57]
	s_add_u32 s22, s0, 64
	v_lshl_add_u64 v[50:51], s[16:17], 0, v[4:5]
	v_lshl_add_u64 v[52:53], s[18:19], 0, v[4:5]
	v_lshlrev_b64 v[4:5], 1, v[58:59]
	v_accvgpr_write_b32 a72, v3
	v_add_u32_e32 v64, s3, v3
	s_addc_u32 s23, s1, 0
	s_waitcnt lgkmcnt(0)
	s_lshl_b32 s4, s4, 5
	v_lshl_add_u64 v[54:55], s[16:17], 0, v[4:5]
	v_lshl_add_u64 v[56:57], s[18:19], 0, v[4:5]
	v_lshlrev_b64 v[4:5], 1, v[60:61]
	v_mbcnt_lo_u32_b32 v3, -1, 0
	v_mov_b32_e32 v65, v2
	s_mul_i32 s3, s15, s4
	s_mul_hi_u32 s9, s14, s4
	v_lshl_add_u64 v[58:59], s[16:17], 0, v[4:5]
	v_lshl_add_u64 v[60:61], s[18:19], 0, v[4:5]
	v_lshlrev_b64 v[4:5], 1, v[62:63]
	v_mbcnt_hi_u32_b32 v3, -1, v3
	v_lshlrev_b64 v[162:163], 1, v[64:65]
	v_lshlrev_b64 v[6:7], 1, v[6:7]
	s_add_i32 s25, s9, s3
	s_mul_i32 s24, s14, s4
	v_lshl_add_u64 v[62:63], s[16:17], 0, v[4:5]
	v_lshl_add_u64 v[64:65], s[18:19], 0, v[4:5]
	v_lshlrev_b64 v[4:5], 1, v[66:67]
	v_lshlrev_b32_e32 v3, 2, v3
	s_mov_b32 s5, 0
	s_lshl_b64 s[24:25], s[24:25], 1
	v_lshl_add_u64 v[164:165], s[16:17], 0, v[6:7]
	v_lshl_add_u64 v[166:167], s[18:19], 0, v[6:7]
	s_mov_b64 s[26:27], 31
	v_lshl_add_u64 v[36:37], s[16:17], 0, v[0:1]
	v_lshl_add_u64 v[0:1], s[18:19], 0, v[0:1]
	;; [unrolled: 1-line block ×4, first 2 shown]
	v_and_b32_e32 v84, 0x100, v3
	s_mov_b64 s[16:17], s[20:21]
	v_mov_b32_e32 v85, 0
.LBB176_149:                            ; =>This Inner Loop Header: Depth=1
	s_add_u32 s18, s20, s26
	s_addc_u32 s19, 0, s27
	v_mov_b64_e32 v[4:5], s[12:13]
	v_cmp_ge_i64_e32 vcc, s[18:19], v[4:5]
	v_lshl_add_u64 v[70:71], s[20:21], 0, v[160:161]
	s_mov_b64 s[18:19], -1
                                        ; implicit-def: $vgpr3
	s_cbranch_vccz .LBB176_219
; %bb.150:                              ;   in Loop: Header=BB176_149 Depth=1
	s_load_dword s3, s[22:23], 0xc
	v_accvgpr_read_b32 v3, a1
	v_accvgpr_read_b32 v4, a72
	v_accvgpr_write_b32 a2, 0
	v_mov_b32_e32 v86, 0
	s_waitcnt lgkmcnt(0)
	s_and_b32 s3, s3, 0xffff
	v_mad_u32_u24 v3, v3, s3, v4
	v_and_b32_e32 v4, 63, v3
	v_cmp_gt_u32_e32 vcc, 32, v4
	s_and_saveexec_b64 s[18:19], vcc
	s_cbranch_execz .LBB176_154
; %bb.151:                              ;   in Loop: Header=BB176_149 Depth=1
	v_mov_b32_e32 v5, v2
	v_lshl_add_u64 v[4:5], v[70:71], 0, v[4:5]
	v_cmp_gt_i64_e32 vcc, s[12:13], v[4:5]
	v_mov_b32_e32 v86, 0
	s_and_saveexec_b64 s[28:29], vcc
	s_cbranch_execz .LBB176_153
; %bb.152:                              ;   in Loop: Header=BB176_149 Depth=1
	v_lshl_add_u64 v[4:5], v[4:5], 2, s[10:11]
	global_load_dword v86, v[4:5], off
.LBB176_153:                            ;   in Loop: Header=BB176_149 Depth=1
	s_or_b64 exec, exec, s[28:29]
.LBB176_154:                            ;   in Loop: Header=BB176_149 Depth=1
	s_or_b64 exec, exec, s[18:19]
	v_mov_b32_e32 v4, v2
	v_mov_b32_e32 v5, v2
	;; [unrolled: 1-line block ×31, first 2 shown]
	v_mov_b64_e32 v[34:35], v[32:33]
	v_cmp_gt_i64_e32 vcc, s[12:13], v[70:71]
	v_mov_b64_e32 v[32:33], v[30:31]
	v_mov_b64_e32 v[30:31], v[28:29]
	;; [unrolled: 1-line block ×15, first 2 shown]
	s_and_saveexec_b64 s[18:19], vcc
	s_cbranch_execz .LBB176_156
; %bb.155:                              ;   in Loop: Header=BB176_149 Depth=1
	v_lshl_add_u64 v[4:5], v[164:165], 0, v[162:163]
	global_load_ushort v3, v[4:5], off
	v_lshl_add_u64 v[4:5], v[166:167], 0, v[162:163]
	global_load_ushort v33, v[4:5], off
	v_mov_b32_e32 v5, v2
	v_mov_b32_e32 v6, v2
	;; [unrolled: 1-line block ×30, first 2 shown]
	s_waitcnt vmcnt(1)
	v_cvt_f32_f16_e32 v4, v3
	s_waitcnt vmcnt(0)
	v_cvt_f32_f16_e32 v3, v33
	v_mov_b32_e32 v33, v2
	v_accvgpr_write_b32 a2, v3
.LBB176_156:                            ;   in Loop: Header=BB176_149 Depth=1
	s_or_b64 exec, exec, s[18:19]
	v_lshl_add_u64 v[72:73], v[70:71], 0, 1
	v_cmp_gt_i64_e32 vcc, s[12:13], v[72:73]
	v_accvgpr_write_b32 a3, 0
	v_accvgpr_write_b32 a4, 0
	s_and_saveexec_b64 s[18:19], vcc
	s_cbranch_execz .LBB176_158
; %bb.157:                              ;   in Loop: Header=BB176_149 Depth=1
	v_lshl_add_u64 v[72:73], v[66:67], 0, v[162:163]
	global_load_ushort v3, v[72:73], off
	v_lshl_add_u64 v[72:73], v[68:69], 0, v[162:163]
	global_load_ushort v72, v[72:73], off
	s_waitcnt vmcnt(1)
	v_cvt_f32_f16_e32 v5, v3
	s_waitcnt vmcnt(0)
	v_cvt_f32_f16_e32 v3, v72
	v_accvgpr_write_b32 a4, v3
.LBB176_158:                            ;   in Loop: Header=BB176_149 Depth=1
	s_or_b64 exec, exec, s[18:19]
	v_lshl_add_u64 v[72:73], v[70:71], 0, 2
	v_cmp_gt_i64_e32 vcc, s[12:13], v[72:73]
	s_and_saveexec_b64 s[18:19], vcc
	s_cbranch_execz .LBB176_160
; %bb.159:                              ;   in Loop: Header=BB176_149 Depth=1
	v_lshl_add_u64 v[72:73], v[62:63], 0, v[162:163]
	global_load_ushort v3, v[72:73], off
	v_lshl_add_u64 v[72:73], v[64:65], 0, v[162:163]
	global_load_ushort v72, v[72:73], off
	s_waitcnt vmcnt(1)
	v_cvt_f32_f16_e32 v6, v3
	s_waitcnt vmcnt(0)
	v_cvt_f32_f16_e32 v3, v72
	v_accvgpr_write_b32 a3, v3
.LBB176_160:                            ;   in Loop: Header=BB176_149 Depth=1
	s_or_b64 exec, exec, s[18:19]
	v_lshl_add_u64 v[72:73], v[70:71], 0, 3
	v_cmp_gt_i64_e32 vcc, s[12:13], v[72:73]
	v_accvgpr_write_b32 a5, 0
	v_accvgpr_write_b32 a6, 0
	s_and_saveexec_b64 s[18:19], vcc
	s_cbranch_execz .LBB176_162
; %bb.161:                              ;   in Loop: Header=BB176_149 Depth=1
	v_lshl_add_u64 v[72:73], v[58:59], 0, v[162:163]
	global_load_ushort v3, v[72:73], off
	v_lshl_add_u64 v[72:73], v[60:61], 0, v[162:163]
	global_load_ushort v72, v[72:73], off
	s_waitcnt vmcnt(1)
	v_cvt_f32_f16_e32 v7, v3
	s_waitcnt vmcnt(0)
	v_cvt_f32_f16_e32 v3, v72
	v_accvgpr_write_b32 a6, v3
.LBB176_162:                            ;   in Loop: Header=BB176_149 Depth=1
	s_or_b64 exec, exec, s[18:19]
	v_lshl_add_u64 v[72:73], v[70:71], 0, 4
	v_cmp_gt_i64_e32 vcc, s[12:13], v[72:73]
	s_and_saveexec_b64 s[18:19], vcc
	s_cbranch_execz .LBB176_164
; %bb.163:                              ;   in Loop: Header=BB176_149 Depth=1
	v_lshl_add_u64 v[72:73], v[54:55], 0, v[162:163]
	global_load_ushort v3, v[72:73], off
	v_lshl_add_u64 v[72:73], v[56:57], 0, v[162:163]
	global_load_ushort v72, v[72:73], off
	s_waitcnt vmcnt(1)
	v_cvt_f32_f16_e32 v8, v3
	s_waitcnt vmcnt(0)
	v_cvt_f32_f16_e32 v3, v72
	v_accvgpr_write_b32 a5, v3
.LBB176_164:                            ;   in Loop: Header=BB176_149 Depth=1
	s_or_b64 exec, exec, s[18:19]
	v_lshl_add_u64 v[72:73], v[70:71], 0, 5
	v_cmp_gt_i64_e32 vcc, s[12:13], v[72:73]
	v_accvgpr_write_b32 a7, 0
	v_accvgpr_write_b32 a8, 0
	s_and_saveexec_b64 s[18:19], vcc
	s_cbranch_execz .LBB176_166
; %bb.165:                              ;   in Loop: Header=BB176_149 Depth=1
	v_lshl_add_u64 v[72:73], v[50:51], 0, v[162:163]
	global_load_ushort v3, v[72:73], off
	v_lshl_add_u64 v[72:73], v[52:53], 0, v[162:163]
	global_load_ushort v72, v[72:73], off
	s_waitcnt vmcnt(1)
	v_cvt_f32_f16_e32 v9, v3
	s_waitcnt vmcnt(0)
	v_cvt_f32_f16_e32 v3, v72
	v_accvgpr_write_b32 a8, v3
.LBB176_166:                            ;   in Loop: Header=BB176_149 Depth=1
	s_or_b64 exec, exec, s[18:19]
	v_lshl_add_u64 v[72:73], v[70:71], 0, 6
	v_cmp_gt_i64_e32 vcc, s[12:13], v[72:73]
	s_and_saveexec_b64 s[18:19], vcc
	s_cbranch_execz .LBB176_168
; %bb.167:                              ;   in Loop: Header=BB176_149 Depth=1
	v_lshl_add_u64 v[72:73], v[46:47], 0, v[162:163]
	global_load_ushort v3, v[72:73], off
	v_lshl_add_u64 v[72:73], v[48:49], 0, v[162:163]
	global_load_ushort v72, v[72:73], off
	s_waitcnt vmcnt(1)
	v_cvt_f32_f16_e32 v10, v3
	s_waitcnt vmcnt(0)
	v_cvt_f32_f16_e32 v3, v72
	v_accvgpr_write_b32 a7, v3
.LBB176_168:                            ;   in Loop: Header=BB176_149 Depth=1
	s_or_b64 exec, exec, s[18:19]
	v_lshl_add_u64 v[72:73], v[70:71], 0, 7
	v_cmp_gt_i64_e32 vcc, s[12:13], v[72:73]
	v_accvgpr_write_b32 a9, 0
	v_accvgpr_write_b32 a10, 0
	s_and_saveexec_b64 s[18:19], vcc
	s_cbranch_execz .LBB176_170
; %bb.169:                              ;   in Loop: Header=BB176_149 Depth=1
	v_lshl_add_u64 v[72:73], v[42:43], 0, v[162:163]
	global_load_ushort v3, v[72:73], off
	v_lshl_add_u64 v[72:73], v[44:45], 0, v[162:163]
	global_load_ushort v72, v[72:73], off
	s_waitcnt vmcnt(1)
	v_cvt_f32_f16_e32 v11, v3
	s_waitcnt vmcnt(0)
	v_cvt_f32_f16_e32 v3, v72
	v_accvgpr_write_b32 a10, v3
.LBB176_170:                            ;   in Loop: Header=BB176_149 Depth=1
	s_or_b64 exec, exec, s[18:19]
	v_lshl_add_u64 v[72:73], v[70:71], 0, 8
	v_cmp_gt_i64_e32 vcc, s[12:13], v[72:73]
	s_and_saveexec_b64 s[18:19], vcc
	s_cbranch_execz .LBB176_172
; %bb.171:                              ;   in Loop: Header=BB176_149 Depth=1
	v_lshl_add_u64 v[72:73], v[38:39], 0, v[162:163]
	global_load_ushort v3, v[72:73], off
	v_lshl_add_u64 v[72:73], v[40:41], 0, v[162:163]
	global_load_ushort v72, v[72:73], off
	s_waitcnt vmcnt(1)
	v_cvt_f32_f16_e32 v12, v3
	s_waitcnt vmcnt(0)
	v_cvt_f32_f16_e32 v3, v72
	v_accvgpr_write_b32 a9, v3
.LBB176_172:                            ;   in Loop: Header=BB176_149 Depth=1
	s_or_b64 exec, exec, s[18:19]
	v_lshl_add_u64 v[72:73], v[70:71], 0, 9
	v_cmp_gt_i64_e32 vcc, s[12:13], v[72:73]
	v_accvgpr_write_b32 a11, 0
	v_accvgpr_write_b32 a12, 0
	s_and_saveexec_b64 s[18:19], vcc
	s_cbranch_execz .LBB176_174
; %bb.173:                              ;   in Loop: Header=BB176_149 Depth=1
	v_lshl_add_u64 v[72:73], v[36:37], 0, v[162:163]
	global_load_ushort v3, v[72:73], off
	v_lshl_add_u64 v[72:73], v[0:1], 0, v[162:163]
	global_load_ushort v72, v[72:73], off
	s_waitcnt vmcnt(1)
	v_cvt_f32_f16_e32 v13, v3
	s_waitcnt vmcnt(0)
	v_cvt_f32_f16_e32 v3, v72
	v_accvgpr_write_b32 a12, v3
.LBB176_174:                            ;   in Loop: Header=BB176_149 Depth=1
	s_or_b64 exec, exec, s[18:19]
	v_lshl_add_u64 v[72:73], v[70:71], 0, 10
	v_cmp_gt_i64_e32 vcc, s[12:13], v[72:73]
	s_and_saveexec_b64 s[18:19], vcc
	s_cbranch_execz .LBB176_176
; %bb.175:                              ;   in Loop: Header=BB176_149 Depth=1
	v_lshl_add_u64 v[72:73], v[252:253], 0, v[162:163]
	global_load_ushort v3, v[72:73], off
	v_lshl_add_u64 v[72:73], v[254:255], 0, v[162:163]
	global_load_ushort v72, v[72:73], off
	s_waitcnt vmcnt(1)
	v_cvt_f32_f16_e32 v14, v3
	s_waitcnt vmcnt(0)
	v_cvt_f32_f16_e32 v3, v72
	v_accvgpr_write_b32 a11, v3
.LBB176_176:                            ;   in Loop: Header=BB176_149 Depth=1
	s_or_b64 exec, exec, s[18:19]
	v_lshl_add_u64 v[72:73], v[70:71], 0, 11
	v_cmp_gt_i64_e32 vcc, s[12:13], v[72:73]
	v_accvgpr_write_b32 a13, 0
	v_accvgpr_write_b32 a73, 0
	s_and_saveexec_b64 s[18:19], vcc
	s_cbranch_execz .LBB176_178
; %bb.177:                              ;   in Loop: Header=BB176_149 Depth=1
	v_lshl_add_u64 v[72:73], v[248:249], 0, v[162:163]
	global_load_ushort v3, v[72:73], off
	v_lshl_add_u64 v[72:73], v[250:251], 0, v[162:163]
	global_load_ushort v72, v[72:73], off
	s_waitcnt vmcnt(1)
	v_cvt_f32_f16_e32 v15, v3
	s_waitcnt vmcnt(0)
	v_cvt_f32_f16_e32 v3, v72
	v_accvgpr_write_b32 a73, v3
.LBB176_178:                            ;   in Loop: Header=BB176_149 Depth=1
	s_or_b64 exec, exec, s[18:19]
	v_lshl_add_u64 v[72:73], v[70:71], 0, 12
	v_cmp_gt_i64_e32 vcc, s[12:13], v[72:73]
	s_and_saveexec_b64 s[18:19], vcc
	s_cbranch_execz .LBB176_180
; %bb.179:                              ;   in Loop: Header=BB176_149 Depth=1
	v_lshl_add_u64 v[72:73], v[244:245], 0, v[162:163]
	global_load_ushort v3, v[72:73], off
	v_lshl_add_u64 v[72:73], v[246:247], 0, v[162:163]
	global_load_ushort v72, v[72:73], off
	s_waitcnt vmcnt(1)
	v_cvt_f32_f16_e32 v16, v3
	s_waitcnt vmcnt(0)
	v_cvt_f32_f16_e32 v3, v72
	v_accvgpr_write_b32 a13, v3
.LBB176_180:                            ;   in Loop: Header=BB176_149 Depth=1
	s_or_b64 exec, exec, s[18:19]
	v_lshl_add_u64 v[72:73], v[70:71], 0, 13
	v_cmp_gt_i64_e32 vcc, s[12:13], v[72:73]
	v_accvgpr_write_b32 a74, 0
	v_mov_b32_e32 v87, 0
	s_and_saveexec_b64 s[18:19], vcc
	s_cbranch_execz .LBB176_182
; %bb.181:                              ;   in Loop: Header=BB176_149 Depth=1
	v_lshl_add_u64 v[72:73], v[240:241], 0, v[162:163]
	global_load_ushort v3, v[72:73], off
	v_lshl_add_u64 v[72:73], v[242:243], 0, v[162:163]
	global_load_ushort v72, v[72:73], off
	s_waitcnt vmcnt(1)
	v_cvt_f32_f16_e32 v17, v3
	s_waitcnt vmcnt(0)
	v_cvt_f32_f16_e32 v87, v72
.LBB176_182:                            ;   in Loop: Header=BB176_149 Depth=1
	s_or_b64 exec, exec, s[18:19]
	v_lshl_add_u64 v[72:73], v[70:71], 0, 14
	v_cmp_gt_i64_e32 vcc, s[12:13], v[72:73]
	s_and_saveexec_b64 s[18:19], vcc
	s_cbranch_execz .LBB176_184
; %bb.183:                              ;   in Loop: Header=BB176_149 Depth=1
	v_lshl_add_u64 v[72:73], v[236:237], 0, v[162:163]
	global_load_ushort v3, v[72:73], off
	v_lshl_add_u64 v[72:73], v[238:239], 0, v[162:163]
	global_load_ushort v72, v[72:73], off
	s_waitcnt vmcnt(1)
	v_cvt_f32_f16_e32 v18, v3
	s_waitcnt vmcnt(0)
	v_cvt_f32_f16_e32 v3, v72
	v_accvgpr_write_b32 a74, v3
.LBB176_184:                            ;   in Loop: Header=BB176_149 Depth=1
	s_or_b64 exec, exec, s[18:19]
	v_lshl_add_u64 v[72:73], v[70:71], 0, 15
	v_cmp_gt_i64_e32 vcc, s[12:13], v[72:73]
	v_mov_b32_e32 v3, 0
	v_mov_b32_e32 v89, 0
	s_and_saveexec_b64 s[18:19], vcc
	s_cbranch_execz .LBB176_186
; %bb.185:                              ;   in Loop: Header=BB176_149 Depth=1
	v_lshl_add_u64 v[72:73], v[232:233], 0, v[162:163]
	global_load_ushort v19, v[72:73], off
	v_lshl_add_u64 v[72:73], v[234:235], 0, v[162:163]
	global_load_ushort v72, v[72:73], off
	s_waitcnt vmcnt(1)
	v_cvt_f32_f16_e32 v19, v19
	s_waitcnt vmcnt(0)
	v_cvt_f32_f16_e32 v89, v72
.LBB176_186:                            ;   in Loop: Header=BB176_149 Depth=1
	s_or_b64 exec, exec, s[18:19]
	v_lshl_add_u64 v[72:73], v[70:71], 0, 16
	v_cmp_gt_i64_e32 vcc, s[12:13], v[72:73]
	s_and_saveexec_b64 s[18:19], vcc
	s_cbranch_execz .LBB176_188
; %bb.187:                              ;   in Loop: Header=BB176_149 Depth=1
	v_lshl_add_u64 v[72:73], v[228:229], 0, v[162:163]
	global_load_ushort v3, v[72:73], off
	v_lshl_add_u64 v[72:73], v[230:231], 0, v[162:163]
	global_load_ushort v72, v[72:73], off
	s_waitcnt vmcnt(1)
	v_cvt_f32_f16_e32 v20, v3
	s_waitcnt vmcnt(0)
	v_cvt_f32_f16_e32 v3, v72
.LBB176_188:                            ;   in Loop: Header=BB176_149 Depth=1
	s_or_b64 exec, exec, s[18:19]
	v_lshl_add_u64 v[72:73], v[70:71], 0, 17
	v_cmp_gt_i64_e32 vcc, s[12:13], v[72:73]
	v_mov_b32_e32 v88, 0
	v_mov_b32_e32 v90, 0
	s_and_saveexec_b64 s[18:19], vcc
	s_cbranch_execz .LBB176_190
; %bb.189:                              ;   in Loop: Header=BB176_149 Depth=1
	v_lshl_add_u64 v[72:73], v[224:225], 0, v[162:163]
	global_load_ushort v21, v[72:73], off
	v_lshl_add_u64 v[72:73], v[226:227], 0, v[162:163]
	global_load_ushort v72, v[72:73], off
	s_waitcnt vmcnt(1)
	v_cvt_f32_f16_e32 v21, v21
	s_waitcnt vmcnt(0)
	v_cvt_f32_f16_e32 v90, v72
.LBB176_190:                            ;   in Loop: Header=BB176_149 Depth=1
	s_or_b64 exec, exec, s[18:19]
	v_lshl_add_u64 v[72:73], v[70:71], 0, 18
	v_cmp_gt_i64_e32 vcc, s[12:13], v[72:73]
	s_and_saveexec_b64 s[18:19], vcc
	s_cbranch_execz .LBB176_192
; %bb.191:                              ;   in Loop: Header=BB176_149 Depth=1
	v_lshl_add_u64 v[72:73], v[220:221], 0, v[162:163]
	global_load_ushort v22, v[72:73], off
	v_lshl_add_u64 v[72:73], v[222:223], 0, v[162:163]
	global_load_ushort v72, v[72:73], off
	s_waitcnt vmcnt(1)
	v_cvt_f32_f16_e32 v22, v22
	s_waitcnt vmcnt(0)
	v_cvt_f32_f16_e32 v88, v72
.LBB176_192:                            ;   in Loop: Header=BB176_149 Depth=1
	;; [unrolled: 32-line block ×8, first 2 shown]
	s_or_b64 exec, exec, s[18:19]
	v_lshl_add_u64 v[92:93], v[70:71], 0, 31
	v_cmp_gt_i64_e32 vcc, s[12:13], v[92:93]
	v_mov_b32_e32 v83, 0
	s_and_saveexec_b64 s[18:19], vcc
	s_cbranch_execz .LBB176_218
; %bb.217:                              ;   in Loop: Header=BB176_149 Depth=1
	v_lshl_add_u64 v[92:93], v[168:169], 0, v[162:163]
	global_load_ushort v35, v[92:93], off
	v_lshl_add_u64 v[92:93], v[170:171], 0, v[162:163]
	global_load_ushort v83, v[92:93], off
	s_waitcnt vmcnt(1)
	v_cvt_f32_f16_e32 v35, v35
	s_waitcnt vmcnt(0)
	v_cvt_f32_f16_e32 v83, v83
.LBB176_218:                            ;   in Loop: Header=BB176_149 Depth=1
	s_or_b64 exec, exec, s[18:19]
	s_waitcnt vmcnt(0)
	ds_bpermute_b32 v92, v84, v86
	v_accvgpr_read_b32 v93, a2
	v_mul_f32_e32 v4, v93, v4
	v_accvgpr_read_b32 v93, a4
	v_mul_f32_e32 v5, v93, v5
	s_waitcnt lgkmcnt(0)
	v_fma_f32 v92, v4, v92, v85
	ds_bpermute_b32 v4, v84, v86 offset:4
	v_mul_f32_e32 v3, v3, v20
	s_mov_b64 s[18:19], 0
	s_waitcnt lgkmcnt(0)
	v_fmac_f32_e32 v92, v5, v4
	ds_bpermute_b32 v4, v84, v86 offset:8
	v_accvgpr_read_b32 v5, a3
	v_mul_f32_e32 v5, v5, v6
	s_waitcnt lgkmcnt(0)
	v_fmac_f32_e32 v92, v5, v4
	ds_bpermute_b32 v4, v84, v86 offset:12
	v_accvgpr_read_b32 v5, a6
	v_mul_f32_e32 v5, v5, v7
	v_pk_mul_f32 v[6:7], v[72:73], v[24:25]
	s_waitcnt lgkmcnt(0)
	v_fmac_f32_e32 v92, v5, v4
	ds_bpermute_b32 v4, v84, v86 offset:16
	v_accvgpr_read_b32 v5, a5
	v_mul_f32_e32 v5, v5, v8
	s_waitcnt lgkmcnt(0)
	v_fmac_f32_e32 v92, v5, v4
	ds_bpermute_b32 v4, v84, v86 offset:20
	v_accvgpr_read_b32 v5, a8
	v_mul_f32_e32 v5, v5, v9
	;; [unrolled: 5-line block ×9, first 2 shown]
	s_waitcnt lgkmcnt(0)
	v_fmac_f32_e32 v92, v5, v4
	ds_bpermute_b32 v4, v84, v86 offset:52
	v_mul_f32_e32 v5, v87, v17
	s_waitcnt lgkmcnt(0)
	v_fmac_f32_e32 v92, v5, v4
	ds_bpermute_b32 v4, v84, v86 offset:56
	v_accvgpr_read_b32 v5, a74
	v_mul_f32_e32 v5, v5, v18
	s_waitcnt lgkmcnt(0)
	v_fmac_f32_e32 v92, v5, v4
	ds_bpermute_b32 v4, v84, v86 offset:60
	v_mul_f32_e32 v5, v89, v19
	s_waitcnt lgkmcnt(0)
	v_fmac_f32_e32 v92, v5, v4
	ds_bpermute_b32 v4, v84, v86 offset:64
	ds_bpermute_b32 v5, v84, v86 offset:84
	s_waitcnt lgkmcnt(1)
	v_fmac_f32_e32 v92, v3, v4
	ds_bpermute_b32 v3, v84, v86 offset:68
	v_mul_f32_e32 v4, v90, v21
	s_waitcnt lgkmcnt(0)
	v_fmac_f32_e32 v92, v4, v3
	ds_bpermute_b32 v3, v84, v86 offset:72
	v_mul_f32_e32 v4, v88, v22
	;; [unrolled: 4-line block ×3, first 2 shown]
	s_waitcnt lgkmcnt(0)
	v_fmac_f32_e32 v92, v4, v3
	ds_bpermute_b32 v4, v84, v86 offset:80
	s_waitcnt lgkmcnt(0)
	v_pk_mul_f32 v[4:5], v[6:7], v[4:5]
	s_nop 0
	v_add_f32_e32 v3, v92, v4
	v_add_f32_e32 v3, v3, v5
	ds_bpermute_b32 v4, v84, v86 offset:88
	ds_bpermute_b32 v5, v84, v86 offset:92
	v_pk_mul_f32 v[6:7], v[74:75], v[26:27]
	s_waitcnt lgkmcnt(0)
	v_pk_mul_f32 v[4:5], v[6:7], v[4:5]
	s_nop 0
	v_add_f32_e32 v3, v3, v4
	v_add_f32_e32 v3, v3, v5
	ds_bpermute_b32 v4, v84, v86 offset:96
	ds_bpermute_b32 v5, v84, v86 offset:100
	v_pk_mul_f32 v[6:7], v[76:77], v[28:29]
	;; [unrolled: 8-line block ×5, first 2 shown]
	s_waitcnt lgkmcnt(0)
	v_pk_mul_f32 v[4:5], v[6:7], v[4:5]
	s_nop 0
	v_add_f32_e32 v3, v3, v4
	v_add_f32_e32 v3, v3, v5
.LBB176_219:                            ;   in Loop: Header=BB176_149 Depth=1
	s_and_b64 vcc, exec, s[18:19]
	s_cbranch_vccz .LBB176_225
; %bb.220:                              ;   in Loop: Header=BB176_149 Depth=1
	s_load_dword s3, s[22:23], 0x0
	v_accvgpr_read_b32 v4, a1
	v_accvgpr_read_b32 v5, a72
	s_waitcnt lgkmcnt(0)
	s_cmp_lt_u32 s2, s3
	s_cselect_b32 s3, 12, 18
	s_add_u32 s18, s22, s3
	s_addc_u32 s19, s23, 0
	global_load_ushort v3, v2, s[18:19]
	s_waitcnt vmcnt(0)
	v_mad_u32_u24 v3, v4, v3, v5
	v_and_b32_e32 v4, 63, v3
	v_cmp_gt_u32_e32 vcc, 32, v4
	v_mov_b32_e32 v3, 0
	s_and_saveexec_b64 s[18:19], vcc
	s_cbranch_execz .LBB176_224
; %bb.221:                              ;   in Loop: Header=BB176_149 Depth=1
	v_mov_b32_e32 v5, v2
	v_lshl_add_u64 v[4:5], v[70:71], 0, v[4:5]
	v_cmp_gt_i64_e32 vcc, s[12:13], v[4:5]
	v_mov_b32_e32 v3, 0
	s_and_saveexec_b64 s[28:29], vcc
	s_cbranch_execz .LBB176_223
; %bb.222:                              ;   in Loop: Header=BB176_149 Depth=1
	v_lshl_add_u64 v[4:5], v[4:5], 2, s[10:11]
	global_load_dword v3, v[4:5], off
.LBB176_223:                            ;   in Loop: Header=BB176_149 Depth=1
	s_or_b64 exec, exec, s[28:29]
.LBB176_224:                            ;   in Loop: Header=BB176_149 Depth=1
	s_or_b64 exec, exec, s[18:19]
	v_lshl_add_u64 v[4:5], v[164:165], 0, v[162:163]
	global_load_ushort v4, v[4:5], off
	v_accvgpr_write_b32 a2, v94
	v_accvgpr_write_b32 a3, v95
	;; [unrolled: 1-line block ×12, first 2 shown]
	s_waitcnt vmcnt(0)
	v_cvt_f32_f16_e32 v6, v4
	v_lshl_add_u64 v[4:5], v[166:167], 0, v[162:163]
	global_load_ushort v4, v[4:5], off
	s_waitcnt vmcnt(0)
	v_cvt_f32_f16_e32 v7, v4
	v_lshl_add_u64 v[4:5], v[94:95], 0, v[162:163]
	global_load_ushort v4, v[4:5], off
	;; [unrolled: 4-line block ×6, first 2 shown]
	s_waitcnt vmcnt(0)
	v_cvt_f32_f16_e32 v12, v4
	v_accvgpr_read_b32 v4, a14
	v_accvgpr_read_b32 v5, a15
	v_lshl_add_u64 v[4:5], v[4:5], 0, v[162:163]
	global_load_ushort v4, v[4:5], off
	s_waitcnt vmcnt(0)
	v_cvt_f32_f16_e32 v13, v4
	v_lshl_add_u64 v[4:5], v[102:103], 0, v[162:163]
	global_load_ushort v4, v[4:5], off
	s_waitcnt vmcnt(0)
	v_cvt_f32_f16_e32 v14, v4
	v_accvgpr_read_b32 v4, a16
	v_accvgpr_read_b32 v5, a17
	v_lshl_add_u64 v[4:5], v[4:5], 0, v[162:163]
	global_load_ushort v4, v[4:5], off
	s_waitcnt vmcnt(0)
	v_cvt_f32_f16_e32 v15, v4
	v_accvgpr_read_b32 v4, a18
	v_accvgpr_read_b32 v5, a19
	;; [unrolled: 6-line block ×28, first 2 shown]
	v_lshl_add_u64 v[4:5], v[4:5], 0, v[162:163]
	global_load_ushort v4, v[4:5], off
	s_waitcnt vmcnt(0)
	v_cvt_f32_f16_e32 v76, v4
	v_lshl_add_u64 v[4:5], v[106:107], 0, v[162:163]
	global_load_ushort v4, v[4:5], off
	s_waitcnt vmcnt(0)
	v_cvt_f32_f16_e32 v77, v4
	v_lshl_add_u64 v[4:5], v[108:109], 0, v[162:163]
	global_load_ushort v4, v[4:5], off
	s_waitcnt vmcnt(0)
	v_cvt_f32_f16_e32 v78, v4
	v_lshl_add_u64 v[4:5], v[110:111], 0, v[162:163]
	global_load_ushort v4, v[4:5], off
	s_waitcnt vmcnt(0)
	v_cvt_f32_f16_e32 v79, v4
	v_lshl_add_u64 v[4:5], v[112:113], 0, v[162:163]
	global_load_ushort v80, v[4:5], off
	v_lshl_add_u64 v[4:5], v[114:115], 0, v[162:163]
	global_load_ushort v81, v[4:5], off
	;; [unrolled: 2-line block ×24, first 2 shown]
	ds_bpermute_b32 v4, v84, v3
	v_mul_f32_e32 v5, v6, v7
	s_waitcnt lgkmcnt(0)
	v_fmac_f32_e32 v85, v5, v4
	ds_bpermute_b32 v4, v84, v3 offset:4
	v_mul_f32_e32 v5, v8, v9
	s_waitcnt lgkmcnt(0)
	v_fmac_f32_e32 v85, v5, v4
	ds_bpermute_b32 v4, v84, v3 offset:8
	;; [unrolled: 4-line block ×5, first 2 shown]
	v_mul_f32_e32 v5, v16, v17
	s_waitcnt vmcnt(23)
	v_cvt_f32_f16_e32 v6, v80
	s_waitcnt lgkmcnt(0)
	v_fmac_f32_e32 v85, v5, v4
	ds_bpermute_b32 v4, v84, v3 offset:24
	v_mul_f32_e32 v5, v18, v19
	s_waitcnt vmcnt(21)
	v_cvt_f32_f16_e32 v7, v82
	s_waitcnt vmcnt(20)
	v_cvt_f32_f16_e32 v9, v83
	v_cvt_f32_f16_e32 v8, v81
	s_waitcnt lgkmcnt(0)
	v_fmac_f32_e32 v85, v5, v4
	ds_bpermute_b32 v4, v84, v3 offset:28
	v_mul_f32_e32 v5, v20, v21
	v_pk_mul_f32 v[6:7], v[6:7], v[8:9]
	s_waitcnt vmcnt(18)
	v_cvt_f32_f16_e32 v8, v87
	s_waitcnt lgkmcnt(0)
	v_fmac_f32_e32 v85, v5, v4
	ds_bpermute_b32 v4, v84, v3 offset:32
	v_mul_f32_e32 v5, v22, v23
	s_waitcnt vmcnt(16)
	v_cvt_f32_f16_e32 v9, v89
	s_waitcnt lgkmcnt(0)
	v_fmac_f32_e32 v85, v5, v4
	ds_bpermute_b32 v4, v84, v3 offset:36
	v_mul_f32_e32 v5, v24, v25
	s_waitcnt lgkmcnt(0)
	v_fmac_f32_e32 v85, v5, v4
	ds_bpermute_b32 v4, v84, v3 offset:40
	v_mul_f32_e32 v5, v26, v27
	;; [unrolled: 4-line block ×11, first 2 shown]
	s_waitcnt lgkmcnt(0)
	v_fmac_f32_e32 v85, v5, v4
	ds_bpermute_b32 v4, v84, v3 offset:80
	ds_bpermute_b32 v5, v84, v3 offset:84
	s_waitcnt lgkmcnt(0)
	v_pk_mul_f32 v[4:5], v[6:7], v[4:5]
	s_nop 0
	v_add_f32_e32 v4, v85, v4
	v_add_f32_e32 v10, v4, v5
	ds_bpermute_b32 v4, v84, v3 offset:88
	ds_bpermute_b32 v5, v84, v3 offset:92
	v_cvt_f32_f16_e32 v7, v88
	v_cvt_f32_f16_e32 v6, v86
	v_pk_mul_f32 v[6:7], v[6:7], v[8:9]
	s_waitcnt lgkmcnt(0)
	v_pk_mul_f32 v[4:5], v[6:7], v[4:5]
	s_waitcnt vmcnt(13)
	v_cvt_f32_f16_e32 v7, v92
	v_add_f32_e32 v4, v10, v4
	v_add_f32_e32 v10, v4, v5
	ds_bpermute_b32 v4, v84, v3 offset:96
	ds_bpermute_b32 v5, v84, v3 offset:100
	v_cvt_f32_f16_e32 v6, v90
	s_waitcnt vmcnt(12)
	v_cvt_f32_f16_e32 v9, v93
	v_cvt_f32_f16_e32 v8, v91
	v_pk_mul_f32 v[6:7], v[6:7], v[8:9]
	s_waitcnt lgkmcnt(0)
	v_pk_mul_f32 v[4:5], v[6:7], v[4:5]
	s_waitcnt vmcnt(9)
	v_cvt_f32_f16_e32 v7, v96
	v_add_f32_e32 v4, v10, v4
	v_add_f32_e32 v10, v4, v5
	ds_bpermute_b32 v4, v84, v3 offset:104
	ds_bpermute_b32 v5, v84, v3 offset:108
	v_cvt_f32_f16_e32 v6, v94
	s_waitcnt vmcnt(8)
	v_cvt_f32_f16_e32 v9, v97
	v_cvt_f32_f16_e32 v8, v95
	v_accvgpr_read_b32 v97, a5
	v_accvgpr_read_b32 v95, a3
	v_accvgpr_read_b32 v96, a4
	v_pk_mul_f32 v[6:7], v[6:7], v[8:9]
	s_waitcnt vmcnt(4)
	v_cvt_f32_f16_e32 v9, v101
	s_waitcnt lgkmcnt(0)
	v_pk_mul_f32 v[4:5], v[6:7], v[4:5]
	v_cvt_f32_f16_e32 v7, v100
	v_add_f32_e32 v4, v10, v4
	v_add_f32_e32 v10, v4, v5
	ds_bpermute_b32 v4, v84, v3 offset:112
	ds_bpermute_b32 v5, v84, v3 offset:116
	v_cvt_f32_f16_e32 v6, v98
	v_cvt_f32_f16_e32 v8, v99
	v_accvgpr_read_b32 v101, a9
	v_accvgpr_read_b32 v99, a7
	v_accvgpr_read_b32 v94, a2
	v_pk_mul_f32 v[6:7], v[6:7], v[8:9]
	s_waitcnt vmcnt(0)
	v_cvt_f32_f16_e32 v9, v105
	s_waitcnt lgkmcnt(0)
	v_pk_mul_f32 v[4:5], v[6:7], v[4:5]
	v_cvt_f32_f16_e32 v7, v104
	v_add_f32_e32 v4, v10, v4
	v_add_f32_e32 v10, v4, v5
	ds_bpermute_b32 v4, v84, v3 offset:120
	ds_bpermute_b32 v5, v84, v3 offset:124
	v_cvt_f32_f16_e32 v6, v102
	v_cvt_f32_f16_e32 v8, v103
	v_accvgpr_read_b32 v105, a13
	v_accvgpr_read_b32 v103, a11
	;; [unrolled: 1-line block ×3, first 2 shown]
	v_pk_mul_f32 v[6:7], v[6:7], v[8:9]
	v_accvgpr_read_b32 v98, a6
	s_waitcnt lgkmcnt(0)
	v_pk_mul_f32 v[4:5], v[6:7], v[4:5]
	v_accvgpr_read_b32 v104, a12
	v_add_f32_e32 v3, v10, v4
	v_accvgpr_read_b32 v102, a10
	v_add_f32_e32 v3, v3, v5
.LBB176_225:                            ;   in Loop: Header=BB176_149 Depth=1
	s_add_u32 s16, s16, s4
	s_addc_u32 s17, s17, 0
	v_mov_b64_e32 v[4:5], s[12:13]
	v_cmp_ge_i64_e32 vcc, s[16:17], v[4:5]
	v_accvgpr_read_b32 v4, a18
	v_accvgpr_read_b32 v5, a19
	v_lshl_add_u64 v[4:5], v[4:5], 0, s[24:25]
	v_accvgpr_write_b32 a19, v5
	v_accvgpr_write_b32 a18, v4
	v_accvgpr_read_b32 v4, a22
	v_accvgpr_read_b32 v5, a23
	v_lshl_add_u64 v[4:5], v[4:5], 0, s[24:25]
	v_accvgpr_write_b32 a23, v5
	v_accvgpr_write_b32 a22, v4
	;; [unrolled: 5-line block ×28, first 2 shown]
	v_accvgpr_read_b32 v4, a68
	v_accvgpr_read_b32 v5, a69
	s_add_u32 s26, s26, s4
	v_lshl_add_u64 v[164:165], v[164:165], 0, s[24:25]
	v_lshl_add_u64 v[166:167], v[166:167], 0, s[24:25]
	;; [unrolled: 1-line block ×99, first 2 shown]
	s_addc_u32 s27, 0, s27
	s_cbranch_vccnz .LBB176_227
; %bb.226:                              ;   in Loop: Header=BB176_149 Depth=1
	v_accvgpr_write_b32 a69, v5
	v_accvgpr_write_b32 a68, v4
	v_mov_b32_e32 v85, v3
	s_branch .LBB176_149
.LBB176_227:
	v_accvgpr_read_b32 v206, a0
.LBB176_228:
	s_mov_b32 s3, 0
	s_lshl_b64 s[2:3], s[2:3], 5
	v_and_b32_e32 v0, 0x3ff, v206
	v_or_b32_e32 v0, s2, v0
	v_mov_b32_e32 v1, s3
	s_waitcnt lgkmcnt(0)
	s_cmp_lg_u64 s[6:7], 0
	v_cmp_gt_i64_e32 vcc, s[14:15], v[0:1]
	s_cselect_b64 s[2:3], -1, 0
	s_and_b64 s[2:3], vcc, s[2:3]
	s_and_saveexec_b64 s[4:5], s[2:3]
	s_cbranch_execz .LBB176_230
; %bb.229:
	s_load_dword s0, s[0:1], 0x4c
	v_bfe_u32 v4, v206, 10, 10
	v_mov_b32_e32 v5, 0
	v_mov_b32_e32 v2, s8
	v_cvt_f16_f32_e32 v6, v3
	s_waitcnt lgkmcnt(0)
	s_lshr_b32 s0, s0, 16
	v_mad_u64_u32 v[4:5], s[0:1], s0, v2, v[4:5]
	v_mul_lo_u32 v5, v5, s14
	v_mul_lo_u32 v7, v4, s15
	v_mad_u64_u32 v[2:3], s[0:1], v4, s14, 0
	v_add3_u32 v3, v3, v7, v5
	v_lshl_add_u64 v[2:3], v[2:3], 1, s[6:7]
	v_lshl_add_u64 v[0:1], v[0:1], 1, v[2:3]
	global_store_short v[0:1], v6, off
.LBB176_230:
	s_endpgm
	.section	.rodata,"a",@progbits
	.p2align	6, 0x0
	.amdhsa_kernel _ZN2at6native12_GLOBAL__N_135GammaBetaBackwardCUDAKernelTemplateIN3c104HalfEfLj32ELj1ELj32ELb1ELb0ELb1EEEvllPKT_S7_PKT0_SA_PS5_SB_
		.amdhsa_group_segment_fixed_size 0
		.amdhsa_private_segment_fixed_size 0
		.amdhsa_kernarg_size 320
		.amdhsa_user_sgpr_count 2
		.amdhsa_user_sgpr_dispatch_ptr 0
		.amdhsa_user_sgpr_queue_ptr 0
		.amdhsa_user_sgpr_kernarg_segment_ptr 1
		.amdhsa_user_sgpr_dispatch_id 0
		.amdhsa_user_sgpr_kernarg_preload_length 0
		.amdhsa_user_sgpr_kernarg_preload_offset 0
		.amdhsa_user_sgpr_private_segment_size 0
		.amdhsa_uses_dynamic_stack 0
		.amdhsa_enable_private_segment 0
		.amdhsa_system_sgpr_workgroup_id_x 1
		.amdhsa_system_sgpr_workgroup_id_y 1
		.amdhsa_system_sgpr_workgroup_id_z 0
		.amdhsa_system_sgpr_workgroup_info 0
		.amdhsa_system_vgpr_workitem_id 1
		.amdhsa_next_free_vgpr 331
		.amdhsa_next_free_sgpr 38
		.amdhsa_accum_offset 256
		.amdhsa_reserve_vcc 1
		.amdhsa_float_round_mode_32 0
		.amdhsa_float_round_mode_16_64 0
		.amdhsa_float_denorm_mode_32 3
		.amdhsa_float_denorm_mode_16_64 3
		.amdhsa_dx10_clamp 1
		.amdhsa_ieee_mode 1
		.amdhsa_fp16_overflow 0
		.amdhsa_tg_split 0
		.amdhsa_exception_fp_ieee_invalid_op 0
		.amdhsa_exception_fp_denorm_src 0
		.amdhsa_exception_fp_ieee_div_zero 0
		.amdhsa_exception_fp_ieee_overflow 0
		.amdhsa_exception_fp_ieee_underflow 0
		.amdhsa_exception_fp_ieee_inexact 0
		.amdhsa_exception_int_div_zero 0
	.end_amdhsa_kernel
	.section	.text._ZN2at6native12_GLOBAL__N_135GammaBetaBackwardCUDAKernelTemplateIN3c104HalfEfLj32ELj1ELj32ELb1ELb0ELb1EEEvllPKT_S7_PKT0_SA_PS5_SB_,"axG",@progbits,_ZN2at6native12_GLOBAL__N_135GammaBetaBackwardCUDAKernelTemplateIN3c104HalfEfLj32ELj1ELj32ELb1ELb0ELb1EEEvllPKT_S7_PKT0_SA_PS5_SB_,comdat
.Lfunc_end176:
	.size	_ZN2at6native12_GLOBAL__N_135GammaBetaBackwardCUDAKernelTemplateIN3c104HalfEfLj32ELj1ELj32ELb1ELb0ELb1EEEvllPKT_S7_PKT0_SA_PS5_SB_, .Lfunc_end176-_ZN2at6native12_GLOBAL__N_135GammaBetaBackwardCUDAKernelTemplateIN3c104HalfEfLj32ELj1ELj32ELb1ELb0ELb1EEEvllPKT_S7_PKT0_SA_PS5_SB_
                                        ; -- End function
	.set _ZN2at6native12_GLOBAL__N_135GammaBetaBackwardCUDAKernelTemplateIN3c104HalfEfLj32ELj1ELj32ELb1ELb0ELb1EEEvllPKT_S7_PKT0_SA_PS5_SB_.num_vgpr, 256
	.set _ZN2at6native12_GLOBAL__N_135GammaBetaBackwardCUDAKernelTemplateIN3c104HalfEfLj32ELj1ELj32ELb1ELb0ELb1EEEvllPKT_S7_PKT0_SA_PS5_SB_.num_agpr, 75
	.set _ZN2at6native12_GLOBAL__N_135GammaBetaBackwardCUDAKernelTemplateIN3c104HalfEfLj32ELj1ELj32ELb1ELb0ELb1EEEvllPKT_S7_PKT0_SA_PS5_SB_.numbered_sgpr, 38
	.set _ZN2at6native12_GLOBAL__N_135GammaBetaBackwardCUDAKernelTemplateIN3c104HalfEfLj32ELj1ELj32ELb1ELb0ELb1EEEvllPKT_S7_PKT0_SA_PS5_SB_.num_named_barrier, 0
	.set _ZN2at6native12_GLOBAL__N_135GammaBetaBackwardCUDAKernelTemplateIN3c104HalfEfLj32ELj1ELj32ELb1ELb0ELb1EEEvllPKT_S7_PKT0_SA_PS5_SB_.private_seg_size, 0
	.set _ZN2at6native12_GLOBAL__N_135GammaBetaBackwardCUDAKernelTemplateIN3c104HalfEfLj32ELj1ELj32ELb1ELb0ELb1EEEvllPKT_S7_PKT0_SA_PS5_SB_.uses_vcc, 1
	.set _ZN2at6native12_GLOBAL__N_135GammaBetaBackwardCUDAKernelTemplateIN3c104HalfEfLj32ELj1ELj32ELb1ELb0ELb1EEEvllPKT_S7_PKT0_SA_PS5_SB_.uses_flat_scratch, 0
	.set _ZN2at6native12_GLOBAL__N_135GammaBetaBackwardCUDAKernelTemplateIN3c104HalfEfLj32ELj1ELj32ELb1ELb0ELb1EEEvllPKT_S7_PKT0_SA_PS5_SB_.has_dyn_sized_stack, 0
	.set _ZN2at6native12_GLOBAL__N_135GammaBetaBackwardCUDAKernelTemplateIN3c104HalfEfLj32ELj1ELj32ELb1ELb0ELb1EEEvllPKT_S7_PKT0_SA_PS5_SB_.has_recursion, 0
	.set _ZN2at6native12_GLOBAL__N_135GammaBetaBackwardCUDAKernelTemplateIN3c104HalfEfLj32ELj1ELj32ELb1ELb0ELb1EEEvllPKT_S7_PKT0_SA_PS5_SB_.has_indirect_call, 0
	.section	.AMDGPU.csdata,"",@progbits
; Kernel info:
; codeLenInByte = 23184
; TotalNumSgprs: 44
; NumVgprs: 256
; NumAgprs: 75
; TotalNumVgprs: 331
; ScratchSize: 0
; MemoryBound: 0
; FloatMode: 240
; IeeeMode: 1
; LDSByteSize: 0 bytes/workgroup (compile time only)
; SGPRBlocks: 5
; VGPRBlocks: 41
; NumSGPRsForWavesPerEU: 44
; NumVGPRsForWavesPerEU: 331
; AccumOffset: 256
; Occupancy: 1
; WaveLimiterHint : 0
; COMPUTE_PGM_RSRC2:SCRATCH_EN: 0
; COMPUTE_PGM_RSRC2:USER_SGPR: 2
; COMPUTE_PGM_RSRC2:TRAP_HANDLER: 0
; COMPUTE_PGM_RSRC2:TGID_X_EN: 1
; COMPUTE_PGM_RSRC2:TGID_Y_EN: 1
; COMPUTE_PGM_RSRC2:TGID_Z_EN: 0
; COMPUTE_PGM_RSRC2:TIDIG_COMP_CNT: 1
; COMPUTE_PGM_RSRC3_GFX90A:ACCUM_OFFSET: 63
; COMPUTE_PGM_RSRC3_GFX90A:TG_SPLIT: 0
	.section	.text._ZN2at6native12_GLOBAL__N_135GammaBetaBackwardCUDAKernelTemplateIN3c104HalfEfLj32ELj1ELj8ELb1ELb1ELb1EEEvllPKT_S7_PKT0_SA_PS5_SB_,"axG",@progbits,_ZN2at6native12_GLOBAL__N_135GammaBetaBackwardCUDAKernelTemplateIN3c104HalfEfLj32ELj1ELj8ELb1ELb1ELb1EEEvllPKT_S7_PKT0_SA_PS5_SB_,comdat
	.globl	_ZN2at6native12_GLOBAL__N_135GammaBetaBackwardCUDAKernelTemplateIN3c104HalfEfLj32ELj1ELj8ELb1ELb1ELb1EEEvllPKT_S7_PKT0_SA_PS5_SB_ ; -- Begin function _ZN2at6native12_GLOBAL__N_135GammaBetaBackwardCUDAKernelTemplateIN3c104HalfEfLj32ELj1ELj8ELb1ELb1ELb1EEEvllPKT_S7_PKT0_SA_PS5_SB_
	.p2align	8
	.type	_ZN2at6native12_GLOBAL__N_135GammaBetaBackwardCUDAKernelTemplateIN3c104HalfEfLj32ELj1ELj8ELb1ELb1ELb1EEEvllPKT_S7_PKT0_SA_PS5_SB_,@function
_ZN2at6native12_GLOBAL__N_135GammaBetaBackwardCUDAKernelTemplateIN3c104HalfEfLj32ELj1ELj8ELb1ELb1ELb1EEEvllPKT_S7_PKT0_SA_PS5_SB_: ; @_ZN2at6native12_GLOBAL__N_135GammaBetaBackwardCUDAKernelTemplateIN3c104HalfEfLj32ELj1ELj8ELb1ELb1ELb1EEEvllPKT_S7_PKT0_SA_PS5_SB_
; %bb.0:
	s_load_dwordx4 s[8:11], s[0:1], 0x0
	s_load_dwordx2 s[16:17], s[0:1], 0x30
	s_lshl_b32 s18, s3, 3
	s_mov_b32 s19, 0
	v_mov_b64_e32 v[2:3], s[18:19]
	s_waitcnt lgkmcnt(0)
	v_cmp_le_i64_e32 vcc, s[8:9], v[2:3]
	s_mov_b32 s6, s3
	v_mov_b32_e32 v1, 0
	v_bfe_u32 v2, v0, 10, 10
	s_cbranch_vccnz .LBB177_8
; %bb.1:
	s_load_dword s3, s[0:1], 0x4c
	s_load_dword s7, s[0:1], 0x44
	s_load_dwordx4 s[12:15], s[0:1], 0x10
	s_load_dwordx2 s[22:23], s[0:1], 0x28
	v_and_b32_e32 v1, 0x3ff, v0
	s_waitcnt lgkmcnt(0)
	s_and_b32 s3, s3, 0xffff
	v_mad_u32_u24 v3, v2, s3, v1
	v_lshlrev_b32_e32 v4, 3, v2
	v_mov_b32_e32 v5, 0
	v_lshl_or_b32 v10, s2, 5, v1
	v_mbcnt_lo_u32_b32 v1, -1, 0
	v_and_b32_e32 v6, 63, v3
	v_mov_b32_e32 v7, v5
	v_mbcnt_hi_u32_b32 v1, -1, v1
	s_lshl_b32 s20, s7, 3
	v_lshl_add_u64 v[12:13], v[4:5], 0, s[18:19]
	v_cmp_gt_u32_e64 s[4:5], 8, v6
	v_mov_b32_e32 v11, v5
	v_lshlrev_b32_e32 v1, 2, v1
	v_lshl_add_u64 v[6:7], v[12:13], 0, v[6:7]
	v_mul_lo_u32 v4, s11, v12
	v_mul_lo_u32 v20, s10, v13
	v_mad_u64_u32 v[12:13], s[24:25], s10, v12, 0
	s_mul_i32 s3, s11, s20
	s_mul_hi_u32 s7, s10, s20
	v_and_b32_e32 v1, 0x100, v1
	s_mov_b32 s21, s19
	v_add3_u32 v13, v13, v20, v4
	v_lshlrev_b64 v[10:11], 1, v[10:11]
	s_add_i32 s25, s7, s3
	s_mul_i32 s24, s10, s20
	v_or_b32_e32 v3, 4, v1
	v_or_b32_e32 v14, 8, v1
	;; [unrolled: 1-line block ×7, first 2 shown]
	v_lshl_add_u64 v[8:9], v[6:7], 2, s[22:23]
	s_lshl_b64 s[22:23], s[20:21], 2
	v_lshl_add_u64 v[10:11], v[12:13], 1, v[10:11]
	s_lshl_b64 s[24:25], s[24:25], 1
	s_lshl_b64 s[26:27], s[10:11], 1
	v_mov_b64_e32 v[12:13], s[8:9]
	s_branch .LBB177_4
.LBB177_2:                              ;   in Loop: Header=BB177_4 Depth=1
	s_or_b64 exec, exec, s[30:31]
.LBB177_3:                              ;   in Loop: Header=BB177_4 Depth=1
	s_or_b64 exec, exec, s[28:29]
	v_lshl_add_u64 v[20:21], s[12:13], 0, v[10:11]
	global_load_ushort v28, v[20:21], off
	v_lshl_add_u64 v[22:23], s[14:15], 0, v[10:11]
	v_lshl_add_u64 v[20:21], v[20:21], 0, s[26:27]
	global_load_ushort v29, v[22:23], off
	global_load_ushort v31, v[20:21], off
	v_lshl_add_u64 v[22:23], v[22:23], 0, s[26:27]
	v_lshl_add_u64 v[20:21], v[20:21], 0, s[26:27]
	global_load_ushort v32, v[22:23], off
	;; [unrolled: 4-line block ×7, first 2 shown]
	v_lshl_add_u64 v[20:21], v[22:23], 0, s[26:27]
	global_load_ushort v42, v[22:23], off
	global_load_ushort v44, v[20:21], off
	s_waitcnt vmcnt(16)
	ds_bpermute_b32 v20, v1, v4
	ds_bpermute_b32 v21, v3, v4
	;; [unrolled: 1-line block ×8, first 2 shown]
	s_add_u32 s18, s18, s20
	s_addc_u32 s19, s19, 0
	v_cmp_lt_i64_e32 vcc, s[18:19], v[12:13]
	v_lshl_add_u64 v[8:9], v[8:9], 0, s[22:23]
	v_lshl_add_u64 v[6:7], v[6:7], 0, s[20:21]
	v_lshl_add_u64 v[10:11], v[10:11], 0, s[24:25]
	s_and_b64 vcc, exec, vcc
	s_waitcnt vmcnt(15)
	v_cvt_f32_f16_e32 v28, v28
	s_waitcnt vmcnt(14)
	v_cvt_f32_f16_e32 v30, v29
	s_waitcnt vmcnt(13)
	v_cvt_f32_f16_e32 v29, v31
	s_waitcnt vmcnt(12)
	v_cvt_f32_f16_e32 v31, v32
	s_waitcnt vmcnt(11)
	v_cvt_f32_f16_e32 v32, v33
	s_waitcnt vmcnt(10)
	v_cvt_f32_f16_e32 v34, v34
	s_waitcnt vmcnt(9)
	v_cvt_f32_f16_e32 v33, v35
	v_pk_mul_f32 v[28:29], v[28:29], v[30:31]
	s_waitcnt vmcnt(8)
	v_cvt_f32_f16_e32 v35, v36
	s_waitcnt vmcnt(7)
	v_cvt_f32_f16_e32 v36, v37
	s_waitcnt lgkmcnt(6)
	v_pk_mul_f32 v[20:21], v[28:29], v[20:21]
	s_waitcnt vmcnt(6)
	v_cvt_f32_f16_e32 v38, v38
	s_waitcnt vmcnt(5)
	v_cvt_f32_f16_e32 v37, v39
	v_add_f32_e32 v20, v5, v20
	v_pk_mul_f32 v[30:31], v[32:33], v[34:35]
	s_waitcnt vmcnt(4)
	v_cvt_f32_f16_e32 v39, v40
	s_waitcnt vmcnt(3)
	v_cvt_f32_f16_e32 v4, v41
	v_add_f32_e32 v32, v20, v21
	s_waitcnt lgkmcnt(4)
	v_pk_mul_f32 v[20:21], v[30:31], v[22:23]
	s_waitcnt vmcnt(2)
	v_cvt_f32_f16_e32 v5, v43
	v_add_f32_e32 v20, v32, v20
	s_waitcnt vmcnt(1)
	v_cvt_f32_f16_e32 v28, v42
	s_waitcnt vmcnt(0)
	v_cvt_f32_f16_e32 v29, v44
	v_pk_mul_f32 v[22:23], v[36:37], v[38:39]
	v_add_f32_e32 v30, v20, v21
	s_waitcnt lgkmcnt(2)
	v_pk_mul_f32 v[20:21], v[22:23], v[24:25]
	v_pk_mul_f32 v[4:5], v[4:5], v[28:29]
	v_add_f32_e32 v20, v30, v20
	v_add_f32_e32 v20, v20, v21
	s_waitcnt lgkmcnt(0)
	v_pk_mul_f32 v[4:5], v[4:5], v[26:27]
	s_nop 0
	v_add_f32_e32 v4, v20, v4
	v_add_f32_e32 v5, v4, v5
	s_cbranch_vccz .LBB177_7
.LBB177_4:                              ; =>This Inner Loop Header: Depth=1
	v_mov_b32_e32 v4, 0
	s_and_saveexec_b64 s[28:29], s[4:5]
	s_cbranch_execz .LBB177_3
; %bb.5:                                ;   in Loop: Header=BB177_4 Depth=1
	v_cmp_gt_i64_e32 vcc, s[8:9], v[6:7]
	v_mov_b32_e32 v4, 0
	s_and_saveexec_b64 s[30:31], vcc
	s_cbranch_execz .LBB177_2
; %bb.6:                                ;   in Loop: Header=BB177_4 Depth=1
	global_load_dword v4, v[8:9], off
	s_branch .LBB177_2
.LBB177_7:
	v_cvt_f16_f32_e32 v1, v5
.LBB177_8:
	s_cmp_eq_u64 s[16:17], 0
	s_cbranch_scc1 .LBB177_10
; %bb.9:
	s_load_dword s0, s[0:1], 0x4c
	v_mov_b32_e32 v3, 0
	v_mov_b32_e32 v4, s6
	s_mov_b32 s3, 0
	v_and_b32_e32 v0, 0x3ff, v0
	s_waitcnt lgkmcnt(0)
	s_lshr_b32 s0, s0, 16
	v_mad_u64_u32 v[4:5], s[0:1], s0, v4, v[2:3]
	v_mul_lo_u32 v2, v5, s10
	v_mul_lo_u32 v6, v4, s11
	v_mad_u64_u32 v[4:5], s[0:1], v4, s10, 0
	v_add3_u32 v5, v5, v6, v2
	v_lshl_add_u64 v[4:5], v[4:5], 1, s[16:17]
	s_lshl_b64 s[0:1], s[2:3], 6
	v_lshl_add_u64 v[4:5], v[4:5], 0, s[0:1]
	v_lshlrev_b32_e32 v2, 1, v0
	v_lshl_add_u64 v[2:3], v[4:5], 0, v[2:3]
	global_store_short v[2:3], v1, off
.LBB177_10:
	s_endpgm
	.section	.rodata,"a",@progbits
	.p2align	6, 0x0
	.amdhsa_kernel _ZN2at6native12_GLOBAL__N_135GammaBetaBackwardCUDAKernelTemplateIN3c104HalfEfLj32ELj1ELj8ELb1ELb1ELb1EEEvllPKT_S7_PKT0_SA_PS5_SB_
		.amdhsa_group_segment_fixed_size 0
		.amdhsa_private_segment_fixed_size 0
		.amdhsa_kernarg_size 320
		.amdhsa_user_sgpr_count 2
		.amdhsa_user_sgpr_dispatch_ptr 0
		.amdhsa_user_sgpr_queue_ptr 0
		.amdhsa_user_sgpr_kernarg_segment_ptr 1
		.amdhsa_user_sgpr_dispatch_id 0
		.amdhsa_user_sgpr_kernarg_preload_length 0
		.amdhsa_user_sgpr_kernarg_preload_offset 0
		.amdhsa_user_sgpr_private_segment_size 0
		.amdhsa_uses_dynamic_stack 0
		.amdhsa_enable_private_segment 0
		.amdhsa_system_sgpr_workgroup_id_x 1
		.amdhsa_system_sgpr_workgroup_id_y 1
		.amdhsa_system_sgpr_workgroup_id_z 0
		.amdhsa_system_sgpr_workgroup_info 0
		.amdhsa_system_vgpr_workitem_id 1
		.amdhsa_next_free_vgpr 45
		.amdhsa_next_free_sgpr 32
		.amdhsa_accum_offset 48
		.amdhsa_reserve_vcc 1
		.amdhsa_float_round_mode_32 0
		.amdhsa_float_round_mode_16_64 0
		.amdhsa_float_denorm_mode_32 3
		.amdhsa_float_denorm_mode_16_64 3
		.amdhsa_dx10_clamp 1
		.amdhsa_ieee_mode 1
		.amdhsa_fp16_overflow 0
		.amdhsa_tg_split 0
		.amdhsa_exception_fp_ieee_invalid_op 0
		.amdhsa_exception_fp_denorm_src 0
		.amdhsa_exception_fp_ieee_div_zero 0
		.amdhsa_exception_fp_ieee_overflow 0
		.amdhsa_exception_fp_ieee_underflow 0
		.amdhsa_exception_fp_ieee_inexact 0
		.amdhsa_exception_int_div_zero 0
	.end_amdhsa_kernel
	.section	.text._ZN2at6native12_GLOBAL__N_135GammaBetaBackwardCUDAKernelTemplateIN3c104HalfEfLj32ELj1ELj8ELb1ELb1ELb1EEEvllPKT_S7_PKT0_SA_PS5_SB_,"axG",@progbits,_ZN2at6native12_GLOBAL__N_135GammaBetaBackwardCUDAKernelTemplateIN3c104HalfEfLj32ELj1ELj8ELb1ELb1ELb1EEEvllPKT_S7_PKT0_SA_PS5_SB_,comdat
.Lfunc_end177:
	.size	_ZN2at6native12_GLOBAL__N_135GammaBetaBackwardCUDAKernelTemplateIN3c104HalfEfLj32ELj1ELj8ELb1ELb1ELb1EEEvllPKT_S7_PKT0_SA_PS5_SB_, .Lfunc_end177-_ZN2at6native12_GLOBAL__N_135GammaBetaBackwardCUDAKernelTemplateIN3c104HalfEfLj32ELj1ELj8ELb1ELb1ELb1EEEvllPKT_S7_PKT0_SA_PS5_SB_
                                        ; -- End function
	.set _ZN2at6native12_GLOBAL__N_135GammaBetaBackwardCUDAKernelTemplateIN3c104HalfEfLj32ELj1ELj8ELb1ELb1ELb1EEEvllPKT_S7_PKT0_SA_PS5_SB_.num_vgpr, 45
	.set _ZN2at6native12_GLOBAL__N_135GammaBetaBackwardCUDAKernelTemplateIN3c104HalfEfLj32ELj1ELj8ELb1ELb1ELb1EEEvllPKT_S7_PKT0_SA_PS5_SB_.num_agpr, 0
	.set _ZN2at6native12_GLOBAL__N_135GammaBetaBackwardCUDAKernelTemplateIN3c104HalfEfLj32ELj1ELj8ELb1ELb1ELb1EEEvllPKT_S7_PKT0_SA_PS5_SB_.numbered_sgpr, 32
	.set _ZN2at6native12_GLOBAL__N_135GammaBetaBackwardCUDAKernelTemplateIN3c104HalfEfLj32ELj1ELj8ELb1ELb1ELb1EEEvllPKT_S7_PKT0_SA_PS5_SB_.num_named_barrier, 0
	.set _ZN2at6native12_GLOBAL__N_135GammaBetaBackwardCUDAKernelTemplateIN3c104HalfEfLj32ELj1ELj8ELb1ELb1ELb1EEEvllPKT_S7_PKT0_SA_PS5_SB_.private_seg_size, 0
	.set _ZN2at6native12_GLOBAL__N_135GammaBetaBackwardCUDAKernelTemplateIN3c104HalfEfLj32ELj1ELj8ELb1ELb1ELb1EEEvllPKT_S7_PKT0_SA_PS5_SB_.uses_vcc, 1
	.set _ZN2at6native12_GLOBAL__N_135GammaBetaBackwardCUDAKernelTemplateIN3c104HalfEfLj32ELj1ELj8ELb1ELb1ELb1EEEvllPKT_S7_PKT0_SA_PS5_SB_.uses_flat_scratch, 0
	.set _ZN2at6native12_GLOBAL__N_135GammaBetaBackwardCUDAKernelTemplateIN3c104HalfEfLj32ELj1ELj8ELb1ELb1ELb1EEEvllPKT_S7_PKT0_SA_PS5_SB_.has_dyn_sized_stack, 0
	.set _ZN2at6native12_GLOBAL__N_135GammaBetaBackwardCUDAKernelTemplateIN3c104HalfEfLj32ELj1ELj8ELb1ELb1ELb1EEEvllPKT_S7_PKT0_SA_PS5_SB_.has_recursion, 0
	.set _ZN2at6native12_GLOBAL__N_135GammaBetaBackwardCUDAKernelTemplateIN3c104HalfEfLj32ELj1ELj8ELb1ELb1ELb1EEEvllPKT_S7_PKT0_SA_PS5_SB_.has_indirect_call, 0
	.section	.AMDGPU.csdata,"",@progbits
; Kernel info:
; codeLenInByte = 1116
; TotalNumSgprs: 38
; NumVgprs: 45
; NumAgprs: 0
; TotalNumVgprs: 45
; ScratchSize: 0
; MemoryBound: 0
; FloatMode: 240
; IeeeMode: 1
; LDSByteSize: 0 bytes/workgroup (compile time only)
; SGPRBlocks: 4
; VGPRBlocks: 5
; NumSGPRsForWavesPerEU: 38
; NumVGPRsForWavesPerEU: 45
; AccumOffset: 48
; Occupancy: 8
; WaveLimiterHint : 0
; COMPUTE_PGM_RSRC2:SCRATCH_EN: 0
; COMPUTE_PGM_RSRC2:USER_SGPR: 2
; COMPUTE_PGM_RSRC2:TRAP_HANDLER: 0
; COMPUTE_PGM_RSRC2:TGID_X_EN: 1
; COMPUTE_PGM_RSRC2:TGID_Y_EN: 1
; COMPUTE_PGM_RSRC2:TGID_Z_EN: 0
; COMPUTE_PGM_RSRC2:TIDIG_COMP_CNT: 1
; COMPUTE_PGM_RSRC3_GFX90A:ACCUM_OFFSET: 11
; COMPUTE_PGM_RSRC3_GFX90A:TG_SPLIT: 0
	.section	.text._ZN2at6native12_GLOBAL__N_135GammaBetaBackwardCUDAKernelTemplateIN3c104HalfEfLj32ELj1ELj8ELb1ELb0ELb1EEEvllPKT_S7_PKT0_SA_PS5_SB_,"axG",@progbits,_ZN2at6native12_GLOBAL__N_135GammaBetaBackwardCUDAKernelTemplateIN3c104HalfEfLj32ELj1ELj8ELb1ELb0ELb1EEEvllPKT_S7_PKT0_SA_PS5_SB_,comdat
	.globl	_ZN2at6native12_GLOBAL__N_135GammaBetaBackwardCUDAKernelTemplateIN3c104HalfEfLj32ELj1ELj8ELb1ELb0ELb1EEEvllPKT_S7_PKT0_SA_PS5_SB_ ; -- Begin function _ZN2at6native12_GLOBAL__N_135GammaBetaBackwardCUDAKernelTemplateIN3c104HalfEfLj32ELj1ELj8ELb1ELb0ELb1EEEvllPKT_S7_PKT0_SA_PS5_SB_
	.p2align	8
	.type	_ZN2at6native12_GLOBAL__N_135GammaBetaBackwardCUDAKernelTemplateIN3c104HalfEfLj32ELj1ELj8ELb1ELb0ELb1EEEvllPKT_S7_PKT0_SA_PS5_SB_,@function
_ZN2at6native12_GLOBAL__N_135GammaBetaBackwardCUDAKernelTemplateIN3c104HalfEfLj32ELj1ELj8ELb1ELb0ELb1EEEvllPKT_S7_PKT0_SA_PS5_SB_: ; @_ZN2at6native12_GLOBAL__N_135GammaBetaBackwardCUDAKernelTemplateIN3c104HalfEfLj32ELj1ELj8ELb1ELb0ELb1EEEvllPKT_S7_PKT0_SA_PS5_SB_
; %bb.0:
	s_load_dwordx8 s[12:19], s[0:1], 0x0
	s_load_dwordx2 s[10:11], s[0:1], 0x28
	s_mov_b32 s8, s3
	s_lshl_b32 s3, s2, 5
	s_mov_b32 s21, 0
	s_lshl_b32 s20, s8, 3
	s_or_b32 s4, s3, 31
	v_mov_b64_e32 v[4:5], s[20:21]
	v_mov_b32_e32 v2, s4
	v_mov_b32_e32 v3, 0
	s_waitcnt lgkmcnt(0)
	v_cmp_gt_i64_e64 s[4:5], s[12:13], v[4:5]
	v_cmp_le_i64_e32 vcc, s[14:15], v[2:3]
	s_nop 0
	v_cndmask_b32_e64 v1, 0, 1, s[4:5]
	v_cmp_ne_u32_e64 s[4:5], 1, v1
	s_cbranch_vccz .LBB178_49
; %bb.1:
	s_and_b64 vcc, exec, s[4:5]
	s_cbranch_vccnz .LBB178_50
; %bb.2:
	v_and_b32_e32 v1, 0x3ff, v0
	v_mov_b32_e32 v2, 0
	v_bfe_u32 v58, v0, 10, 10
	v_add_u32_e32 v4, s3, v1
	v_mov_b32_e32 v5, v2
	v_lshlrev_b32_e32 v20, 3, v58
	v_mov_b32_e32 v21, v2
	v_cmp_gt_i64_e64 s[6:7], s[14:15], v[4:5]
	v_lshlrev_b64 v[22:23], 1, v[4:5]
	v_lshl_add_u64 v[4:5], v[20:21], 0, s[20:21]
	v_mul_lo_u32 v3, s15, v4
	v_mul_lo_u32 v8, s14, v5
	v_mad_u64_u32 v[6:7], s[26:27], s14, v4, 0
	v_add3_u32 v7, v7, v8, v3
	v_lshlrev_b64 v[6:7], 1, v[6:7]
	v_lshl_add_u64 v[24:25], s[16:17], 0, v[6:7]
	v_lshl_add_u64 v[26:27], s[18:19], 0, v[6:7]
	v_lshl_add_u64 v[6:7], v[4:5], 0, 7
	v_mul_lo_u32 v9, s15, v6
	v_mul_lo_u32 v10, s14, v7
	v_mad_u64_u32 v[6:7], s[30:31], s14, v6, 0
	v_add3_u32 v7, v7, v10, v9
	v_lshlrev_b64 v[6:7], 1, v[6:7]
	v_lshl_add_u64 v[28:29], s[16:17], 0, v[6:7]
	v_lshl_add_u64 v[30:31], s[18:19], 0, v[6:7]
	;; [unrolled: 8-line block ×6, first 2 shown]
	v_lshl_add_u64 v[6:7], v[4:5], 0, 2
	s_load_dword s9, s[0:1], 0x44
	v_mul_lo_u32 v5, s15, v6
	v_mul_lo_u32 v9, s14, v7
	v_mad_u64_u32 v[6:7], s[30:31], s14, v6, 0
	v_add3_u32 v7, v7, v9, v5
	v_lshlrev_b64 v[6:7], 1, v[6:7]
	v_lshl_add_u64 v[48:49], s[16:17], 0, v[6:7]
	v_lshl_add_u64 v[50:51], s[18:19], 0, v[6:7]
	v_mov_b64_e32 v[6:7], s[14:15]
	s_add_u32 s24, s0, 64
	v_mad_u64_u32 v[4:5], s[30:31], s14, v4, v[6:7]
	s_addc_u32 s25, s1, 0
	s_waitcnt lgkmcnt(0)
	s_lshl_b32 s22, s9, 3
	v_add3_u32 v5, v3, v5, v8
	v_mbcnt_lo_u32_b32 v3, -1, 0
	s_mul_i32 s9, s15, s22
	s_mul_hi_u32 s26, s14, s22
	v_mbcnt_hi_u32_b32 v3, -1, v3
	s_add_i32 s27, s26, s9
	s_mul_i32 s26, s14, s22
	v_lshlrev_b64 v[4:5], 1, v[4:5]
	v_lshlrev_b32_e32 v3, 2, v3
	s_mov_b32 s23, 0
	s_lshl_b64 s[26:27], s[26:27], 1
	s_mov_b64 s[28:29], 7
	v_lshl_add_u64 v[52:53], s[16:17], 0, v[4:5]
	v_lshl_add_u64 v[54:55], s[18:19], 0, v[4:5]
	v_and_b32_e32 v59, 0x100, v3
	s_mov_b64 s[30:31], s[20:21]
	v_mov_b32_e32 v60, 0
.LBB178_3:                              ; =>This Inner Loop Header: Depth=1
	s_add_u32 s34, s20, s28
	s_addc_u32 s35, 0, s29
	v_mov_b64_e32 v[4:5], s[12:13]
	v_cmp_ge_i64_e32 vcc, s[34:35], v[4:5]
	v_lshl_add_u64 v[56:57], s[20:21], 0, v[20:21]
	s_mov_b64 s[34:35], -1
	s_and_b64 vcc, exec, vcc
                                        ; implicit-def: $vgpr4_vgpr5_vgpr6_vgpr7_vgpr8_vgpr9_vgpr10_vgpr11
                                        ; implicit-def: $vgpr3
                                        ; implicit-def: $vgpr12_vgpr13_vgpr14_vgpr15_vgpr16_vgpr17_vgpr18_vgpr19
                                        ; implicit-def: $vgpr4
	s_cbranch_vccz .LBB178_25
; %bb.4:                                ;   in Loop: Header=BB178_3 Depth=1
	s_load_dword s9, s[24:25], 0xc
	v_mov_b32_e32 v61, 0
	s_waitcnt lgkmcnt(0)
	s_and_b32 s9, s9, 0xffff
	v_mad_u32_u24 v3, v58, s9, v1
	v_and_b32_e32 v4, 63, v3
	v_cmp_gt_u32_e32 vcc, 8, v4
	s_and_saveexec_b64 s[34:35], vcc
	s_cbranch_execz .LBB178_8
; %bb.5:                                ;   in Loop: Header=BB178_3 Depth=1
	v_mov_b32_e32 v5, v2
	v_lshl_add_u64 v[4:5], v[56:57], 0, v[4:5]
	v_cmp_gt_i64_e32 vcc, s[12:13], v[4:5]
	v_mov_b32_e32 v61, 0
	s_and_saveexec_b64 s[36:37], vcc
	s_cbranch_execz .LBB178_7
; %bb.6:                                ;   in Loop: Header=BB178_3 Depth=1
	v_lshl_add_u64 v[4:5], v[4:5], 2, s[10:11]
	global_load_dword v61, v[4:5], off
.LBB178_7:                              ;   in Loop: Header=BB178_3 Depth=1
	s_or_b64 exec, exec, s[36:37]
.LBB178_8:                              ;   in Loop: Header=BB178_3 Depth=1
	s_or_b64 exec, exec, s[34:35]
	v_mov_b32_e32 v8, v2
	v_mov_b32_e32 v9, v2
	;; [unrolled: 1-line block ×7, first 2 shown]
	v_mov_b64_e32 v[18:19], v[8:9]
	v_cmp_gt_i64_e32 vcc, s[12:13], v[56:57]
	v_mov_b64_e32 v[16:17], v[6:7]
	v_mov_b64_e32 v[14:15], v[4:5]
	;; [unrolled: 1-line block ×4, first 2 shown]
	s_and_b64 s[36:37], s[6:7], vcc
	v_mov_b64_e32 v[8:9], v[6:7]
	v_mov_b64_e32 v[6:7], v[4:5]
	;; [unrolled: 1-line block ×3, first 2 shown]
	s_and_saveexec_b64 s[34:35], s[36:37]
	s_cbranch_execz .LBB178_10
; %bb.9:                                ;   in Loop: Header=BB178_3 Depth=1
	v_lshl_add_u64 v[4:5], v[24:25], 0, v[22:23]
	global_load_ushort v3, v[4:5], off
	v_lshl_add_u64 v[4:5], v[26:27], 0, v[22:23]
	global_load_ushort v12, v[4:5], off
	v_mov_b32_e32 v5, v2
	v_mov_b32_e32 v6, v2
	;; [unrolled: 1-line block ×14, first 2 shown]
	s_waitcnt vmcnt(1)
	v_cvt_f32_f16_e32 v4, v3
	s_waitcnt vmcnt(0)
	v_cvt_f32_f16_e32 v12, v12
.LBB178_10:                             ;   in Loop: Header=BB178_3 Depth=1
	s_or_b64 exec, exec, s[34:35]
	v_lshl_add_u64 v[62:63], v[56:57], 0, 1
	v_cmp_gt_i64_e32 vcc, s[12:13], v[62:63]
	s_and_b64 s[36:37], s[6:7], vcc
	s_and_saveexec_b64 s[34:35], s[36:37]
	s_cbranch_execz .LBB178_12
; %bb.11:                               ;   in Loop: Header=BB178_3 Depth=1
	v_lshl_add_u64 v[62:63], v[52:53], 0, v[22:23]
	global_load_ushort v3, v[62:63], off
	v_lshl_add_u64 v[62:63], v[54:55], 0, v[22:23]
	global_load_ushort v13, v[62:63], off
	s_waitcnt vmcnt(1)
	v_cvt_f32_f16_e32 v5, v3
	s_waitcnt vmcnt(0)
	v_cvt_f32_f16_e32 v13, v13
.LBB178_12:                             ;   in Loop: Header=BB178_3 Depth=1
	s_or_b64 exec, exec, s[34:35]
	v_lshl_add_u64 v[62:63], v[56:57], 0, 2
	v_cmp_gt_i64_e32 vcc, s[12:13], v[62:63]
	s_and_b64 s[36:37], s[6:7], vcc
	s_and_saveexec_b64 s[34:35], s[36:37]
	s_cbranch_execz .LBB178_14
; %bb.13:                               ;   in Loop: Header=BB178_3 Depth=1
	v_lshl_add_u64 v[62:63], v[48:49], 0, v[22:23]
	global_load_ushort v3, v[62:63], off
	v_lshl_add_u64 v[62:63], v[50:51], 0, v[22:23]
	global_load_ushort v14, v[62:63], off
	s_waitcnt vmcnt(1)
	v_cvt_f32_f16_e32 v6, v3
	s_waitcnt vmcnt(0)
	v_cvt_f32_f16_e32 v14, v14
.LBB178_14:                             ;   in Loop: Header=BB178_3 Depth=1
	;; [unrolled: 16-line block ×7, first 2 shown]
	s_or_b64 exec, exec, s[34:35]
	s_waitcnt vmcnt(0)
	ds_bpermute_b32 v3, v59, v61
	ds_bpermute_b32 v62, v59, v61 offset:4
	ds_bpermute_b32 v63, v59, v61 offset:8
	v_mul_f32_e32 v4, v12, v4
	v_pk_mul_f32 v[8:9], v[16:17], v[8:9]
	s_waitcnt lgkmcnt(2)
	v_fma_f32 v16, v4, v3, v60
	v_pk_mul_f32 v[6:7], v[14:15], v[6:7]
	v_mul_f32_e32 v3, v13, v5
	ds_bpermute_b32 v14, v59, v61 offset:12
	ds_bpermute_b32 v15, v59, v61 offset:16
	v_pk_mov_b32 v[12:13], v[2:3], v[6:7] op_sel:[1,0]
	v_pk_mov_b32 v[6:7], v[6:7], v[8:9] op_sel:[1,0]
	s_waitcnt lgkmcnt(2)
	v_pk_mul_f32 v[12:13], v[12:13], v[62:63]
	v_mul_f32_e32 v4, v18, v10
	v_add_f32_e32 v3, v16, v12
	v_add_f32_e32 v3, v3, v13
	ds_bpermute_b32 v12, v59, v61 offset:20
	ds_bpermute_b32 v13, v59, v61 offset:24
	s_waitcnt lgkmcnt(2)
	v_pk_mul_f32 v[6:7], v[6:7], v[14:15]
	s_mov_b64 s[34:35], 0
	v_add_f32_e32 v3, v3, v6
	v_add_f32_e32 v3, v3, v7
	v_pk_mov_b32 v[6:7], v[8:9], v[4:5] op_sel:[1,0]
	ds_bpermute_b32 v4, v59, v61 offset:28
	s_waitcnt lgkmcnt(1)
	v_pk_mul_f32 v[6:7], v[6:7], v[12:13]
	s_nop 0
	v_add_f32_e32 v3, v3, v6
	v_add_f32_e32 v3, v3, v7
.LBB178_25:                             ;   in Loop: Header=BB178_3 Depth=1
	s_and_b64 vcc, exec, s[34:35]
	s_cbranch_vccz .LBB178_40
; %bb.26:                               ;   in Loop: Header=BB178_3 Depth=1
	s_load_dword s9, s[24:25], 0x0
	v_mov_b32_e32 v61, 0
	s_waitcnt lgkmcnt(0)
	s_cmp_lt_u32 s2, s9
	s_cselect_b32 s9, 12, 18
	s_add_u32 s34, s24, s9
	s_addc_u32 s35, s25, 0
	global_load_ushort v3, v2, s[34:35]
	s_waitcnt vmcnt(0)
	v_mad_u32_u24 v3, v58, v3, v1
	v_and_b32_e32 v4, 63, v3
	v_cmp_gt_u32_e32 vcc, 8, v4
	s_and_saveexec_b64 s[34:35], vcc
	s_cbranch_execz .LBB178_30
; %bb.27:                               ;   in Loop: Header=BB178_3 Depth=1
	v_mov_b32_e32 v5, v2
	v_lshl_add_u64 v[4:5], v[56:57], 0, v[4:5]
	v_cmp_gt_i64_e32 vcc, s[12:13], v[4:5]
	v_mov_b32_e32 v61, 0
	s_and_saveexec_b64 s[36:37], vcc
	s_cbranch_execz .LBB178_29
; %bb.28:                               ;   in Loop: Header=BB178_3 Depth=1
	v_lshl_add_u64 v[4:5], v[4:5], 2, s[10:11]
	global_load_dword v61, v[4:5], off
.LBB178_29:                             ;   in Loop: Header=BB178_3 Depth=1
	s_or_b64 exec, exec, s[36:37]
.LBB178_30:                             ;   in Loop: Header=BB178_3 Depth=1
	s_or_b64 exec, exec, s[34:35]
	v_mov_b32_e32 v8, v2
	v_mov_b32_e32 v9, v2
	;; [unrolled: 1-line block ×7, first 2 shown]
	v_mov_b64_e32 v[18:19], v[8:9]
	v_mov_b64_e32 v[16:17], v[6:7]
	;; [unrolled: 1-line block ×8, first 2 shown]
	s_and_saveexec_b64 s[34:35], s[6:7]
	s_cbranch_execnz .LBB178_42
; %bb.31:                               ;   in Loop: Header=BB178_3 Depth=1
	s_or_b64 exec, exec, s[34:35]
	s_and_saveexec_b64 s[34:35], s[6:7]
	s_cbranch_execnz .LBB178_43
.LBB178_32:                             ;   in Loop: Header=BB178_3 Depth=1
	s_or_b64 exec, exec, s[34:35]
	s_and_saveexec_b64 s[34:35], s[6:7]
	s_cbranch_execnz .LBB178_44
.LBB178_33:                             ;   in Loop: Header=BB178_3 Depth=1
	s_or_b64 exec, exec, s[34:35]
	s_and_saveexec_b64 s[34:35], s[6:7]
	s_cbranch_execnz .LBB178_45
.LBB178_34:                             ;   in Loop: Header=BB178_3 Depth=1
	s_or_b64 exec, exec, s[34:35]
	s_and_saveexec_b64 s[34:35], s[6:7]
	s_cbranch_execnz .LBB178_46
.LBB178_35:                             ;   in Loop: Header=BB178_3 Depth=1
	s_or_b64 exec, exec, s[34:35]
	s_and_saveexec_b64 s[34:35], s[6:7]
	s_cbranch_execnz .LBB178_47
.LBB178_36:                             ;   in Loop: Header=BB178_3 Depth=1
	s_or_b64 exec, exec, s[34:35]
	s_and_saveexec_b64 s[34:35], s[6:7]
	s_cbranch_execnz .LBB178_48
.LBB178_37:                             ;   in Loop: Header=BB178_3 Depth=1
	s_or_b64 exec, exec, s[34:35]
	s_and_saveexec_b64 s[34:35], s[6:7]
	s_cbranch_execz .LBB178_39
.LBB178_38:                             ;   in Loop: Header=BB178_3 Depth=1
	v_lshl_add_u64 v[56:57], v[28:29], 0, v[22:23]
	global_load_ushort v3, v[56:57], off
	v_lshl_add_u64 v[56:57], v[30:31], 0, v[22:23]
	global_load_ushort v19, v[56:57], off
	s_waitcnt vmcnt(1)
	v_cvt_f32_f16_e32 v11, v3
	s_waitcnt vmcnt(0)
	v_cvt_f32_f16_e32 v19, v19
.LBB178_39:                             ;   in Loop: Header=BB178_3 Depth=1
	s_or_b64 exec, exec, s[34:35]
	s_waitcnt vmcnt(0)
	ds_bpermute_b32 v3, v59, v61
	ds_bpermute_b32 v56, v59, v61 offset:4
	ds_bpermute_b32 v57, v59, v61 offset:8
	v_mul_f32_e32 v4, v12, v4
	v_pk_mul_f32 v[6:7], v[14:15], v[6:7]
	s_waitcnt lgkmcnt(2)
	v_fmac_f32_e32 v60, v4, v3
	v_mul_f32_e32 v3, v13, v5
	v_pk_mov_b32 v[4:5], v[2:3], v[6:7] op_sel:[1,0]
	ds_bpermute_b32 v12, v59, v61 offset:12
	ds_bpermute_b32 v13, v59, v61 offset:16
	s_waitcnt lgkmcnt(2)
	v_pk_mul_f32 v[4:5], v[4:5], v[56:57]
	v_pk_mul_f32 v[8:9], v[16:17], v[8:9]
	v_add_f32_e32 v3, v60, v4
	v_add_f32_e32 v3, v3, v5
	v_pk_mov_b32 v[4:5], v[6:7], v[8:9] op_sel:[1,0]
	ds_bpermute_b32 v6, v59, v61 offset:20
	ds_bpermute_b32 v7, v59, v61 offset:24
	s_waitcnt lgkmcnt(2)
	v_pk_mul_f32 v[4:5], v[4:5], v[12:13]
	v_mul_f32_e32 v10, v18, v10
	v_add_f32_e32 v3, v3, v4
	ds_bpermute_b32 v4, v59, v61 offset:28
	v_pk_mov_b32 v[8:9], v[8:9], v[10:11] op_sel:[1,0]
	v_add_f32_e32 v3, v3, v5
	s_waitcnt lgkmcnt(1)
	v_pk_mul_f32 v[6:7], v[8:9], v[6:7]
	s_nop 0
	v_add_f32_e32 v3, v3, v6
	v_add_f32_e32 v3, v3, v7
.LBB178_40:                             ;   in Loop: Header=BB178_3 Depth=1
	v_mul_f32_e32 v5, v11, v19
	s_add_u32 s30, s30, s22
	s_waitcnt lgkmcnt(0)
	v_fmac_f32_e32 v3, v5, v4
	s_addc_u32 s31, s31, 0
	v_mov_b64_e32 v[4:5], s[12:13]
	s_add_u32 s28, s28, s22
	v_cmp_lt_i64_e32 vcc, s[30:31], v[4:5]
	v_lshl_add_u64 v[24:25], v[24:25], 0, s[26:27]
	v_lshl_add_u64 v[26:27], v[26:27], 0, s[26:27]
	;; [unrolled: 1-line block ×17, first 2 shown]
	s_addc_u32 s29, 0, s29
	s_cbranch_vccz .LBB178_50
; %bb.41:                               ;   in Loop: Header=BB178_3 Depth=1
	v_mov_b32_e32 v60, v3
	s_branch .LBB178_3
.LBB178_42:                             ;   in Loop: Header=BB178_3 Depth=1
	v_lshl_add_u64 v[4:5], v[24:25], 0, v[22:23]
	global_load_ushort v3, v[4:5], off
	v_lshl_add_u64 v[4:5], v[26:27], 0, v[22:23]
	global_load_ushort v12, v[4:5], off
	v_mov_b32_e32 v5, v2
	v_mov_b32_e32 v6, v2
	;; [unrolled: 1-line block ×14, first 2 shown]
	s_waitcnt vmcnt(1)
	v_cvt_f32_f16_e32 v4, v3
	s_waitcnt vmcnt(0)
	v_cvt_f32_f16_e32 v12, v12
	s_or_b64 exec, exec, s[34:35]
	s_and_saveexec_b64 s[34:35], s[6:7]
	s_cbranch_execz .LBB178_32
.LBB178_43:                             ;   in Loop: Header=BB178_3 Depth=1
	v_lshl_add_u64 v[56:57], v[52:53], 0, v[22:23]
	global_load_ushort v3, v[56:57], off
	v_lshl_add_u64 v[56:57], v[54:55], 0, v[22:23]
	global_load_ushort v13, v[56:57], off
	s_waitcnt vmcnt(1)
	v_cvt_f32_f16_e32 v5, v3
	s_waitcnt vmcnt(0)
	v_cvt_f32_f16_e32 v13, v13
	s_or_b64 exec, exec, s[34:35]
	s_and_saveexec_b64 s[34:35], s[6:7]
	s_cbranch_execz .LBB178_33
.LBB178_44:                             ;   in Loop: Header=BB178_3 Depth=1
	v_lshl_add_u64 v[56:57], v[48:49], 0, v[22:23]
	global_load_ushort v3, v[56:57], off
	v_lshl_add_u64 v[56:57], v[50:51], 0, v[22:23]
	global_load_ushort v14, v[56:57], off
	s_waitcnt vmcnt(1)
	v_cvt_f32_f16_e32 v6, v3
	s_waitcnt vmcnt(0)
	v_cvt_f32_f16_e32 v14, v14
	s_or_b64 exec, exec, s[34:35]
	s_and_saveexec_b64 s[34:35], s[6:7]
	s_cbranch_execz .LBB178_34
.LBB178_45:                             ;   in Loop: Header=BB178_3 Depth=1
	v_lshl_add_u64 v[56:57], v[44:45], 0, v[22:23]
	global_load_ushort v3, v[56:57], off
	v_lshl_add_u64 v[56:57], v[46:47], 0, v[22:23]
	global_load_ushort v15, v[56:57], off
	s_waitcnt vmcnt(1)
	v_cvt_f32_f16_e32 v7, v3
	s_waitcnt vmcnt(0)
	v_cvt_f32_f16_e32 v15, v15
	s_or_b64 exec, exec, s[34:35]
	s_and_saveexec_b64 s[34:35], s[6:7]
	s_cbranch_execz .LBB178_35
.LBB178_46:                             ;   in Loop: Header=BB178_3 Depth=1
	v_lshl_add_u64 v[56:57], v[40:41], 0, v[22:23]
	global_load_ushort v3, v[56:57], off
	v_lshl_add_u64 v[56:57], v[42:43], 0, v[22:23]
	global_load_ushort v16, v[56:57], off
	s_waitcnt vmcnt(1)
	v_cvt_f32_f16_e32 v8, v3
	s_waitcnt vmcnt(0)
	v_cvt_f32_f16_e32 v16, v16
	s_or_b64 exec, exec, s[34:35]
	s_and_saveexec_b64 s[34:35], s[6:7]
	s_cbranch_execz .LBB178_36
.LBB178_47:                             ;   in Loop: Header=BB178_3 Depth=1
	v_lshl_add_u64 v[56:57], v[36:37], 0, v[22:23]
	global_load_ushort v3, v[56:57], off
	v_lshl_add_u64 v[56:57], v[38:39], 0, v[22:23]
	global_load_ushort v17, v[56:57], off
	s_waitcnt vmcnt(1)
	v_cvt_f32_f16_e32 v9, v3
	s_waitcnt vmcnt(0)
	v_cvt_f32_f16_e32 v17, v17
	s_or_b64 exec, exec, s[34:35]
	s_and_saveexec_b64 s[34:35], s[6:7]
	s_cbranch_execz .LBB178_37
.LBB178_48:                             ;   in Loop: Header=BB178_3 Depth=1
	v_lshl_add_u64 v[56:57], v[32:33], 0, v[22:23]
	global_load_ushort v3, v[56:57], off
	v_lshl_add_u64 v[56:57], v[34:35], 0, v[22:23]
	global_load_ushort v18, v[56:57], off
	s_waitcnt vmcnt(1)
	v_cvt_f32_f16_e32 v10, v3
	s_waitcnt vmcnt(0)
	v_cvt_f32_f16_e32 v18, v18
	s_or_b64 exec, exec, s[34:35]
	s_and_saveexec_b64 s[34:35], s[6:7]
	s_cbranch_execnz .LBB178_38
	s_branch .LBB178_39
.LBB178_49:
                                        ; implicit-def: $vgpr3
	s_load_dwordx2 s[6:7], s[0:1], 0x30
	s_branch .LBB178_51
.LBB178_50:
	s_load_dwordx2 s[6:7], s[0:1], 0x30
	s_cbranch_execnz .LBB178_83
.LBB178_51:
	s_and_b64 vcc, exec, s[4:5]
	v_mov_b32_e32 v3, 0
	s_cbranch_vccnz .LBB178_83
; %bb.52:
	v_mov_b32_e32 v2, 0
	v_bfe_u32 v86, v0, 10, 10
	v_lshlrev_b32_e32 v6, 4, v86
	v_mov_b32_e32 v7, v2
	v_lshl_add_u64 v[6:7], s[20:21], 1, v[6:7]
	v_lshl_add_u64 v[8:9], v[6:7], 0, 2
	v_mov_b64_e32 v[10:11], s[16:17]
	v_lshl_add_u64 v[12:13], v[6:7], 0, 4
	v_lshl_add_u64 v[14:15], v[6:7], 0, 6
	v_lshl_add_u64 v[16:17], v[6:7], 0, 8
	v_lshl_add_u64 v[18:19], v[6:7], 0, 10
	v_lshl_add_u64 v[46:47], v[6:7], 0, 12
	v_lshl_add_u64 v[6:7], v[6:7], 0, 14
	v_mad_u64_u32 v[22:23], s[4:5], s14, v8, v[10:11]
	v_mad_u64_u32 v[24:25], s[4:5], s14, v12, v[10:11]
	;; [unrolled: 1-line block ×7, first 2 shown]
	v_mov_b64_e32 v[10:11], s[18:19]
	v_mul_lo_u32 v9, s14, v9
	v_mul_lo_u32 v38, s15, v8
	v_mad_u64_u32 v[36:37], s[4:5], s14, v8, v[10:11]
	v_add3_u32 v23, v38, v23, v9
	v_mul_lo_u32 v13, s14, v13
	v_mul_lo_u32 v40, s15, v12
	v_add3_u32 v37, v38, v37, v9
	v_mad_u64_u32 v[38:39], s[4:5], s14, v12, v[10:11]
	v_add3_u32 v25, v40, v25, v13
	v_mul_lo_u32 v15, s14, v15
	v_mul_lo_u32 v42, s15, v14
	v_add3_u32 v39, v40, v39, v13
	;; [unrolled: 5-line block ×3, first 2 shown]
	v_mad_u64_u32 v[42:43], s[4:5], s14, v16, v[10:11]
	v_lshlrev_b32_e32 v20, 3, v86
	v_mov_b32_e32 v21, v2
	v_add3_u32 v29, v44, v29, v17
	v_mul_lo_u32 v19, s14, v19
	v_mul_lo_u32 v48, s15, v18
	;; [unrolled: 1-line block ×4, first 2 shown]
	v_add3_u32 v43, v44, v43, v17
	v_mad_u64_u32 v[44:45], s[4:5], s14, v18, v[10:11]
	v_mad_u64_u32 v[46:47], s[4:5], s14, v46, v[10:11]
	v_lshl_add_u64 v[4:5], v[20:21], 0, s[20:21]
	v_add3_u32 v31, v48, v31, v19
	v_add3_u32 v33, v51, v33, v49
	v_mul_lo_u32 v7, s14, v7
	v_mul_lo_u32 v8, s15, v6
	v_add3_u32 v45, v48, v45, v19
	v_add3_u32 v47, v51, v47, v49
	v_mad_u64_u32 v[48:49], s[4:5], s14, v6, v[10:11]
	v_add3_u32 v35, v8, v35, v7
	v_add3_u32 v49, v8, v49, v7
	v_lshl_add_u64 v[6:7], v[4:5], 0, 7
	v_mul_lo_u32 v8, s15, v6
	v_mul_lo_u32 v9, s14, v7
	v_mad_u64_u32 v[6:7], s[4:5], s14, v6, 0
	v_add3_u32 v7, v7, v9, v8
	v_lshl_add_u64 v[8:9], v[4:5], 0, 6
	v_mul_lo_u32 v10, s15, v8
	v_mul_lo_u32 v11, s14, v9
	v_mad_u64_u32 v[8:9], s[4:5], s14, v8, 0
	;; [unrolled: 5-line block ×5, first 2 shown]
	v_add3_u32 v15, v15, v17, v16
	v_lshl_add_u64 v[16:17], v[4:5], 0, 2
	v_mul_lo_u32 v50, s14, v5
	v_mul_lo_u32 v5, s15, v16
	;; [unrolled: 1-line block ×3, first 2 shown]
	v_mad_u64_u32 v[16:17], s[4:5], s14, v16, 0
	v_add3_u32 v17, v17, v18, v5
	v_mov_b64_e32 v[18:19], s[14:15]
	v_mul_lo_u32 v3, s15, v4
	v_mad_u64_u32 v[18:19], s[4:5], s14, v4, v[18:19]
	v_mad_u64_u32 v[4:5], s[4:5], s14, v4, 0
	v_and_b32_e32 v1, 0x3ff, v0
	v_add3_u32 v5, v5, v50, v3
	v_add3_u32 v19, v3, v19, v50
	v_add_u32_e32 v50, s3, v1
	s_load_dword s3, s[0:1], 0x44
	v_lshlrev_b64 v[4:5], 1, v[4:5]
	v_lshl_add_u64 v[52:53], s[16:17], 0, v[4:5]
	v_lshl_add_u64 v[54:55], s[18:19], 0, v[4:5]
	v_lshlrev_b64 v[4:5], 1, v[6:7]
	v_lshl_add_u64 v[56:57], s[16:17], 0, v[4:5]
	v_lshl_add_u64 v[58:59], s[18:19], 0, v[4:5]
	;; [unrolled: 3-line block ×3, first 2 shown]
	v_lshlrev_b64 v[4:5], 1, v[10:11]
	s_add_u32 s22, s0, 64
	v_lshl_add_u64 v[64:65], s[16:17], 0, v[4:5]
	v_lshl_add_u64 v[66:67], s[18:19], 0, v[4:5]
	v_lshlrev_b64 v[4:5], 1, v[12:13]
	s_addc_u32 s23, s1, 0
	s_waitcnt lgkmcnt(0)
	s_lshl_b32 s4, s3, 3
	v_lshl_add_u64 v[68:69], s[16:17], 0, v[4:5]
	v_lshl_add_u64 v[70:71], s[18:19], 0, v[4:5]
	v_lshlrev_b64 v[4:5], 1, v[14:15]
	v_mbcnt_lo_u32_b32 v3, -1, 0
	s_mul_i32 s3, s15, s4
	s_mul_hi_u32 s9, s14, s4
	v_lshl_add_u64 v[72:73], s[16:17], 0, v[4:5]
	v_lshl_add_u64 v[74:75], s[18:19], 0, v[4:5]
	v_lshlrev_b64 v[4:5], 1, v[16:17]
	v_mbcnt_hi_u32_b32 v3, -1, v3
	v_mov_b32_e32 v51, v2
	s_add_i32 s25, s9, s3
	s_mul_i32 s24, s14, s4
	v_lshl_add_u64 v[76:77], s[16:17], 0, v[4:5]
	v_lshl_add_u64 v[78:79], s[18:19], 0, v[4:5]
	v_lshlrev_b64 v[4:5], 1, v[18:19]
	v_lshlrev_b32_e32 v3, 2, v3
	s_mov_b32 s5, 0
	v_lshlrev_b64 v[50:51], 1, v[50:51]
	s_lshl_b64 s[24:25], s[24:25], 1
	s_mov_b64 s[26:27], 7
	v_lshl_add_u64 v[80:81], s[16:17], 0, v[4:5]
	v_lshl_add_u64 v[82:83], s[18:19], 0, v[4:5]
	v_and_b32_e32 v87, 0x100, v3
	s_mov_b64 s[16:17], s[20:21]
	v_mov_b32_e32 v88, 0
.LBB178_53:                             ; =>This Inner Loop Header: Depth=1
	s_add_u32 s18, s20, s26
	s_addc_u32 s19, 0, s27
	v_mov_b64_e32 v[4:5], s[12:13]
	v_cmp_ge_i64_e32 vcc, s[18:19], v[4:5]
	v_lshl_add_u64 v[84:85], s[20:21], 0, v[20:21]
	s_mov_b64 s[18:19], -1
                                        ; implicit-def: $vgpr3
	s_cbranch_vccz .LBB178_75
; %bb.54:                               ;   in Loop: Header=BB178_53 Depth=1
	s_load_dword s3, s[22:23], 0xc
	v_mov_b32_e32 v89, 0
	s_waitcnt lgkmcnt(0)
	s_and_b32 s3, s3, 0xffff
	v_mad_u32_u24 v3, v86, s3, v1
	v_and_b32_e32 v4, 63, v3
	v_cmp_gt_u32_e32 vcc, 8, v4
	s_and_saveexec_b64 s[18:19], vcc
	s_cbranch_execz .LBB178_58
; %bb.55:                               ;   in Loop: Header=BB178_53 Depth=1
	v_mov_b32_e32 v5, v2
	v_lshl_add_u64 v[4:5], v[84:85], 0, v[4:5]
	v_cmp_gt_i64_e32 vcc, s[12:13], v[4:5]
	v_mov_b32_e32 v89, 0
	s_and_saveexec_b64 s[28:29], vcc
	s_cbranch_execz .LBB178_57
; %bb.56:                               ;   in Loop: Header=BB178_53 Depth=1
	v_lshl_add_u64 v[4:5], v[4:5], 2, s[10:11]
	global_load_dword v89, v[4:5], off
.LBB178_57:                             ;   in Loop: Header=BB178_53 Depth=1
	s_or_b64 exec, exec, s[28:29]
.LBB178_58:                             ;   in Loop: Header=BB178_53 Depth=1
	s_or_b64 exec, exec, s[18:19]
	v_mov_b32_e32 v8, v2
	v_mov_b32_e32 v9, v2
	;; [unrolled: 1-line block ×7, first 2 shown]
	v_mov_b64_e32 v[18:19], v[8:9]
	v_mov_b64_e32 v[16:17], v[6:7]
	;; [unrolled: 1-line block ×5, first 2 shown]
	v_cmp_gt_i64_e32 vcc, s[12:13], v[84:85]
	v_mov_b64_e32 v[8:9], v[6:7]
	v_mov_b64_e32 v[6:7], v[4:5]
	;; [unrolled: 1-line block ×3, first 2 shown]
	s_and_saveexec_b64 s[18:19], vcc
	s_cbranch_execz .LBB178_60
; %bb.59:                               ;   in Loop: Header=BB178_53 Depth=1
	v_lshl_add_u64 v[4:5], v[52:53], 0, v[50:51]
	global_load_ushort v3, v[4:5], off
	v_lshl_add_u64 v[4:5], v[54:55], 0, v[50:51]
	global_load_ushort v12, v[4:5], off
	v_mov_b32_e32 v5, v2
	v_mov_b32_e32 v6, v2
	;; [unrolled: 1-line block ×14, first 2 shown]
	s_waitcnt vmcnt(1)
	v_cvt_f32_f16_e32 v4, v3
	s_waitcnt vmcnt(0)
	v_cvt_f32_f16_e32 v12, v12
.LBB178_60:                             ;   in Loop: Header=BB178_53 Depth=1
	s_or_b64 exec, exec, s[18:19]
	v_lshl_add_u64 v[90:91], v[84:85], 0, 1
	v_cmp_gt_i64_e32 vcc, s[12:13], v[90:91]
	s_and_saveexec_b64 s[18:19], vcc
	s_cbranch_execz .LBB178_62
; %bb.61:                               ;   in Loop: Header=BB178_53 Depth=1
	v_lshl_add_u64 v[90:91], v[80:81], 0, v[50:51]
	global_load_ushort v3, v[90:91], off
	v_lshl_add_u64 v[90:91], v[82:83], 0, v[50:51]
	global_load_ushort v13, v[90:91], off
	s_waitcnt vmcnt(1)
	v_cvt_f32_f16_e32 v5, v3
	s_waitcnt vmcnt(0)
	v_cvt_f32_f16_e32 v13, v13
.LBB178_62:                             ;   in Loop: Header=BB178_53 Depth=1
	s_or_b64 exec, exec, s[18:19]
	v_lshl_add_u64 v[90:91], v[84:85], 0, 2
	v_cmp_gt_i64_e32 vcc, s[12:13], v[90:91]
	s_and_saveexec_b64 s[18:19], vcc
	s_cbranch_execz .LBB178_64
; %bb.63:                               ;   in Loop: Header=BB178_53 Depth=1
	v_lshl_add_u64 v[90:91], v[76:77], 0, v[50:51]
	global_load_ushort v3, v[90:91], off
	v_lshl_add_u64 v[90:91], v[78:79], 0, v[50:51]
	global_load_ushort v14, v[90:91], off
	s_waitcnt vmcnt(1)
	v_cvt_f32_f16_e32 v6, v3
	s_waitcnt vmcnt(0)
	v_cvt_f32_f16_e32 v14, v14
.LBB178_64:                             ;   in Loop: Header=BB178_53 Depth=1
	;; [unrolled: 15-line block ×7, first 2 shown]
	s_or_b64 exec, exec, s[18:19]
	s_waitcnt vmcnt(0)
	ds_bpermute_b32 v90, v87, v89
	ds_bpermute_b32 v91, v87, v89 offset:4
	v_pk_mul_f32 v[6:7], v[14:15], v[6:7]
	ds_bpermute_b32 v14, v87, v89 offset:8
	ds_bpermute_b32 v15, v87, v89 offset:12
	v_pk_mul_f32 v[4:5], v[12:13], v[4:5]
	ds_bpermute_b32 v12, v87, v89 offset:24
	s_waitcnt lgkmcnt(3)
	v_pk_mul_f32 v[4:5], v[4:5], v[90:91]
	ds_bpermute_b32 v13, v87, v89 offset:28
	v_add_f32_e32 v3, v88, v4
	v_add_f32_e32 v3, v3, v5
	s_waitcnt lgkmcnt(2)
	v_pk_mul_f32 v[4:5], v[6:7], v[14:15]
	ds_bpermute_b32 v6, v87, v89 offset:16
	ds_bpermute_b32 v7, v87, v89 offset:20
	v_pk_mul_f32 v[8:9], v[16:17], v[8:9]
	v_add_f32_e32 v3, v3, v4
	v_add_f32_e32 v3, v3, v5
	v_pk_mul_f32 v[10:11], v[18:19], v[10:11]
	s_waitcnt lgkmcnt(0)
	v_pk_mul_f32 v[4:5], v[8:9], v[6:7]
	s_mov_b64 s[18:19], 0
	v_add_f32_e32 v3, v3, v4
	v_add_f32_e32 v3, v3, v5
	v_pk_mul_f32 v[4:5], v[10:11], v[12:13]
	s_nop 0
	v_add_f32_e32 v3, v3, v4
	v_add_f32_e32 v3, v3, v5
.LBB178_75:                             ;   in Loop: Header=BB178_53 Depth=1
	s_and_b64 vcc, exec, s[18:19]
	s_cbranch_vccz .LBB178_81
; %bb.76:                               ;   in Loop: Header=BB178_53 Depth=1
	s_load_dword s3, s[22:23], 0x0
	s_waitcnt lgkmcnt(0)
	s_cmp_lt_u32 s2, s3
	s_cselect_b32 s3, 12, 18
	s_add_u32 s18, s22, s3
	s_addc_u32 s19, s23, 0
	global_load_ushort v3, v2, s[18:19]
	s_waitcnt vmcnt(0)
	v_mad_u32_u24 v3, v86, v3, v1
	v_and_b32_e32 v4, 63, v3
	v_cmp_gt_u32_e32 vcc, 8, v4
	v_mov_b32_e32 v3, 0
	s_and_saveexec_b64 s[18:19], vcc
	s_cbranch_execz .LBB178_80
; %bb.77:                               ;   in Loop: Header=BB178_53 Depth=1
	v_mov_b32_e32 v5, v2
	v_lshl_add_u64 v[4:5], v[84:85], 0, v[4:5]
	v_cmp_gt_i64_e32 vcc, s[12:13], v[4:5]
	v_mov_b32_e32 v3, 0
	s_and_saveexec_b64 s[28:29], vcc
	s_cbranch_execz .LBB178_79
; %bb.78:                               ;   in Loop: Header=BB178_53 Depth=1
	v_lshl_add_u64 v[4:5], v[4:5], 2, s[10:11]
	global_load_dword v3, v[4:5], off
.LBB178_79:                             ;   in Loop: Header=BB178_53 Depth=1
	s_or_b64 exec, exec, s[28:29]
.LBB178_80:                             ;   in Loop: Header=BB178_53 Depth=1
	s_or_b64 exec, exec, s[18:19]
	v_lshl_add_u64 v[4:5], v[52:53], 0, v[50:51]
	global_load_ushort v12, v[4:5], off
	v_lshl_add_u64 v[4:5], v[54:55], 0, v[50:51]
	global_load_ushort v14, v[4:5], off
	v_lshl_add_u64 v[4:5], v[22:23], 0, v[50:51]
	global_load_ushort v13, v[4:5], off
	v_lshl_add_u64 v[4:5], v[36:37], 0, v[50:51]
	global_load_ushort v15, v[4:5], off
	v_lshl_add_u64 v[4:5], v[24:25], 0, v[50:51]
	global_load_ushort v16, v[4:5], off
	v_lshl_add_u64 v[4:5], v[38:39], 0, v[50:51]
	global_load_ushort v18, v[4:5], off
	v_lshl_add_u64 v[4:5], v[26:27], 0, v[50:51]
	global_load_ushort v17, v[4:5], off
	v_lshl_add_u64 v[4:5], v[40:41], 0, v[50:51]
	global_load_ushort v19, v[4:5], off
	v_lshl_add_u64 v[4:5], v[28:29], 0, v[50:51]
	global_load_ushort v84, v[4:5], off
	v_lshl_add_u64 v[4:5], v[42:43], 0, v[50:51]
	global_load_ushort v89, v[4:5], off
	v_lshl_add_u64 v[4:5], v[30:31], 0, v[50:51]
	global_load_ushort v85, v[4:5], off
	v_lshl_add_u64 v[4:5], v[44:45], 0, v[50:51]
	global_load_ushort v90, v[4:5], off
	v_lshl_add_u64 v[6:7], v[34:35], 0, v[50:51]
	v_lshl_add_u64 v[4:5], v[32:33], 0, v[50:51]
	global_load_ushort v93, v[6:7], off
	v_lshl_add_u64 v[6:7], v[48:49], 0, v[50:51]
	global_load_ushort v92, v[4:5], off
	;; [unrolled: 2-line block ×3, first 2 shown]
	global_load_ushort v96, v[4:5], off
	s_waitcnt vmcnt(16)
	ds_bpermute_b32 v4, v87, v3
	ds_bpermute_b32 v5, v87, v3 offset:4
	ds_bpermute_b32 v6, v87, v3 offset:8
	;; [unrolled: 1-line block ×7, first 2 shown]
	s_waitcnt vmcnt(15)
	v_cvt_f32_f16_e32 v12, v12
	s_waitcnt vmcnt(14)
	v_cvt_f32_f16_e32 v14, v14
	;; [unrolled: 2-line block ×6, first 2 shown]
	v_pk_mul_f32 v[12:13], v[12:13], v[14:15]
	s_waitcnt vmcnt(9)
	v_cvt_f32_f16_e32 v17, v17
	s_waitcnt lgkmcnt(6)
	v_pk_mul_f32 v[4:5], v[12:13], v[4:5]
	s_waitcnt vmcnt(8)
	v_cvt_f32_f16_e32 v19, v19
	v_add_f32_e32 v3, v88, v4
	s_waitcnt vmcnt(7)
	v_cvt_f32_f16_e32 v84, v84
	v_add_f32_e32 v3, v3, v5
	v_pk_mul_f32 v[14:15], v[16:17], v[18:19]
	s_waitcnt vmcnt(5)
	v_cvt_f32_f16_e32 v85, v85
	s_waitcnt lgkmcnt(4)
	v_pk_mul_f32 v[6:7], v[14:15], v[6:7]
	s_waitcnt vmcnt(4)
	v_cvt_f32_f16_e32 v91, v90
	v_cvt_f32_f16_e32 v90, v89
	v_add_f32_e32 v3, v3, v6
	s_waitcnt vmcnt(3)
	v_cvt_f32_f16_e32 v93, v93
	v_add_f32_e32 v3, v3, v7
	s_waitcnt vmcnt(2)
	v_cvt_f32_f16_e32 v92, v92
	s_waitcnt vmcnt(1)
	v_cvt_f32_f16_e32 v95, v94
	;; [unrolled: 2-line block ×3, first 2 shown]
	v_pk_mul_f32 v[16:17], v[84:85], v[90:91]
	v_pk_mul_f32 v[18:19], v[92:93], v[94:95]
	s_waitcnt lgkmcnt(2)
	v_pk_mul_f32 v[8:9], v[16:17], v[8:9]
	s_waitcnt lgkmcnt(0)
	v_pk_mul_f32 v[4:5], v[18:19], v[10:11]
	v_add_f32_e32 v3, v3, v8
	v_add_f32_e32 v3, v3, v9
	v_add_f32_e32 v3, v3, v4
	v_add_f32_e32 v3, v3, v5
.LBB178_81:                             ;   in Loop: Header=BB178_53 Depth=1
	s_add_u32 s16, s16, s4
	s_addc_u32 s17, s17, 0
	v_mov_b64_e32 v[4:5], s[12:13]
	s_add_u32 s26, s26, s4
	v_cmp_ge_i64_e32 vcc, s[16:17], v[4:5]
	v_lshl_add_u64 v[52:53], v[52:53], 0, s[24:25]
	v_lshl_add_u64 v[54:55], v[54:55], 0, s[24:25]
	;; [unrolled: 1-line block ×31, first 2 shown]
	s_addc_u32 s27, 0, s27
	s_cbranch_vccnz .LBB178_83
; %bb.82:                               ;   in Loop: Header=BB178_53 Depth=1
	v_mov_b32_e32 v88, v3
	s_branch .LBB178_53
.LBB178_83:
	s_mov_b32 s3, 0
	s_lshl_b64 s[2:3], s[2:3], 5
	v_and_b32_e32 v1, 0x3ff, v0
	v_or_b32_e32 v4, s2, v1
	v_mov_b32_e32 v5, s3
	s_waitcnt lgkmcnt(0)
	s_cmp_lg_u64 s[6:7], 0
	v_cmp_gt_i64_e32 vcc, s[14:15], v[4:5]
	s_cselect_b64 s[2:3], -1, 0
	s_and_b64 s[2:3], vcc, s[2:3]
	s_and_saveexec_b64 s[4:5], s[2:3]
	s_cbranch_execz .LBB178_85
; %bb.84:
	s_load_dword s0, s[0:1], 0x4c
	v_bfe_u32 v0, v0, 10, 10
	v_mov_b32_e32 v1, 0
	v_mov_b32_e32 v2, s8
	s_waitcnt lgkmcnt(0)
	s_lshr_b32 s0, s0, 16
	v_mad_u64_u32 v[0:1], s[0:1], s0, v2, v[0:1]
	v_cvt_f16_f32_e32 v2, v3
	v_mul_lo_u32 v3, v1, s14
	v_mul_lo_u32 v6, v0, s15
	v_mad_u64_u32 v[0:1], s[0:1], v0, s14, 0
	v_add3_u32 v1, v1, v6, v3
	v_lshl_add_u64 v[0:1], v[0:1], 1, s[6:7]
	v_lshl_add_u64 v[0:1], v[4:5], 1, v[0:1]
	global_store_short v[0:1], v2, off
.LBB178_85:
	s_endpgm
	.section	.rodata,"a",@progbits
	.p2align	6, 0x0
	.amdhsa_kernel _ZN2at6native12_GLOBAL__N_135GammaBetaBackwardCUDAKernelTemplateIN3c104HalfEfLj32ELj1ELj8ELb1ELb0ELb1EEEvllPKT_S7_PKT0_SA_PS5_SB_
		.amdhsa_group_segment_fixed_size 0
		.amdhsa_private_segment_fixed_size 0
		.amdhsa_kernarg_size 320
		.amdhsa_user_sgpr_count 2
		.amdhsa_user_sgpr_dispatch_ptr 0
		.amdhsa_user_sgpr_queue_ptr 0
		.amdhsa_user_sgpr_kernarg_segment_ptr 1
		.amdhsa_user_sgpr_dispatch_id 0
		.amdhsa_user_sgpr_kernarg_preload_length 0
		.amdhsa_user_sgpr_kernarg_preload_offset 0
		.amdhsa_user_sgpr_private_segment_size 0
		.amdhsa_uses_dynamic_stack 0
		.amdhsa_enable_private_segment 0
		.amdhsa_system_sgpr_workgroup_id_x 1
		.amdhsa_system_sgpr_workgroup_id_y 1
		.amdhsa_system_sgpr_workgroup_id_z 0
		.amdhsa_system_sgpr_workgroup_info 0
		.amdhsa_system_vgpr_workitem_id 1
		.amdhsa_next_free_vgpr 97
		.amdhsa_next_free_sgpr 38
		.amdhsa_accum_offset 100
		.amdhsa_reserve_vcc 1
		.amdhsa_float_round_mode_32 0
		.amdhsa_float_round_mode_16_64 0
		.amdhsa_float_denorm_mode_32 3
		.amdhsa_float_denorm_mode_16_64 3
		.amdhsa_dx10_clamp 1
		.amdhsa_ieee_mode 1
		.amdhsa_fp16_overflow 0
		.amdhsa_tg_split 0
		.amdhsa_exception_fp_ieee_invalid_op 0
		.amdhsa_exception_fp_denorm_src 0
		.amdhsa_exception_fp_ieee_div_zero 0
		.amdhsa_exception_fp_ieee_overflow 0
		.amdhsa_exception_fp_ieee_underflow 0
		.amdhsa_exception_fp_ieee_inexact 0
		.amdhsa_exception_int_div_zero 0
	.end_amdhsa_kernel
	.section	.text._ZN2at6native12_GLOBAL__N_135GammaBetaBackwardCUDAKernelTemplateIN3c104HalfEfLj32ELj1ELj8ELb1ELb0ELb1EEEvllPKT_S7_PKT0_SA_PS5_SB_,"axG",@progbits,_ZN2at6native12_GLOBAL__N_135GammaBetaBackwardCUDAKernelTemplateIN3c104HalfEfLj32ELj1ELj8ELb1ELb0ELb1EEEvllPKT_S7_PKT0_SA_PS5_SB_,comdat
.Lfunc_end178:
	.size	_ZN2at6native12_GLOBAL__N_135GammaBetaBackwardCUDAKernelTemplateIN3c104HalfEfLj32ELj1ELj8ELb1ELb0ELb1EEEvllPKT_S7_PKT0_SA_PS5_SB_, .Lfunc_end178-_ZN2at6native12_GLOBAL__N_135GammaBetaBackwardCUDAKernelTemplateIN3c104HalfEfLj32ELj1ELj8ELb1ELb0ELb1EEEvllPKT_S7_PKT0_SA_PS5_SB_
                                        ; -- End function
	.set _ZN2at6native12_GLOBAL__N_135GammaBetaBackwardCUDAKernelTemplateIN3c104HalfEfLj32ELj1ELj8ELb1ELb0ELb1EEEvllPKT_S7_PKT0_SA_PS5_SB_.num_vgpr, 97
	.set _ZN2at6native12_GLOBAL__N_135GammaBetaBackwardCUDAKernelTemplateIN3c104HalfEfLj32ELj1ELj8ELb1ELb0ELb1EEEvllPKT_S7_PKT0_SA_PS5_SB_.num_agpr, 0
	.set _ZN2at6native12_GLOBAL__N_135GammaBetaBackwardCUDAKernelTemplateIN3c104HalfEfLj32ELj1ELj8ELb1ELb0ELb1EEEvllPKT_S7_PKT0_SA_PS5_SB_.numbered_sgpr, 38
	.set _ZN2at6native12_GLOBAL__N_135GammaBetaBackwardCUDAKernelTemplateIN3c104HalfEfLj32ELj1ELj8ELb1ELb0ELb1EEEvllPKT_S7_PKT0_SA_PS5_SB_.num_named_barrier, 0
	.set _ZN2at6native12_GLOBAL__N_135GammaBetaBackwardCUDAKernelTemplateIN3c104HalfEfLj32ELj1ELj8ELb1ELb0ELb1EEEvllPKT_S7_PKT0_SA_PS5_SB_.private_seg_size, 0
	.set _ZN2at6native12_GLOBAL__N_135GammaBetaBackwardCUDAKernelTemplateIN3c104HalfEfLj32ELj1ELj8ELb1ELb0ELb1EEEvllPKT_S7_PKT0_SA_PS5_SB_.uses_vcc, 1
	.set _ZN2at6native12_GLOBAL__N_135GammaBetaBackwardCUDAKernelTemplateIN3c104HalfEfLj32ELj1ELj8ELb1ELb0ELb1EEEvllPKT_S7_PKT0_SA_PS5_SB_.uses_flat_scratch, 0
	.set _ZN2at6native12_GLOBAL__N_135GammaBetaBackwardCUDAKernelTemplateIN3c104HalfEfLj32ELj1ELj8ELb1ELb0ELb1EEEvllPKT_S7_PKT0_SA_PS5_SB_.has_dyn_sized_stack, 0
	.set _ZN2at6native12_GLOBAL__N_135GammaBetaBackwardCUDAKernelTemplateIN3c104HalfEfLj32ELj1ELj8ELb1ELb0ELb1EEEvllPKT_S7_PKT0_SA_PS5_SB_.has_recursion, 0
	.set _ZN2at6native12_GLOBAL__N_135GammaBetaBackwardCUDAKernelTemplateIN3c104HalfEfLj32ELj1ELj8ELb1ELb0ELb1EEEvllPKT_S7_PKT0_SA_PS5_SB_.has_indirect_call, 0
	.section	.AMDGPU.csdata,"",@progbits
; Kernel info:
; codeLenInByte = 6172
; TotalNumSgprs: 44
; NumVgprs: 97
; NumAgprs: 0
; TotalNumVgprs: 97
; ScratchSize: 0
; MemoryBound: 0
; FloatMode: 240
; IeeeMode: 1
; LDSByteSize: 0 bytes/workgroup (compile time only)
; SGPRBlocks: 5
; VGPRBlocks: 12
; NumSGPRsForWavesPerEU: 44
; NumVGPRsForWavesPerEU: 97
; AccumOffset: 100
; Occupancy: 4
; WaveLimiterHint : 0
; COMPUTE_PGM_RSRC2:SCRATCH_EN: 0
; COMPUTE_PGM_RSRC2:USER_SGPR: 2
; COMPUTE_PGM_RSRC2:TRAP_HANDLER: 0
; COMPUTE_PGM_RSRC2:TGID_X_EN: 1
; COMPUTE_PGM_RSRC2:TGID_Y_EN: 1
; COMPUTE_PGM_RSRC2:TGID_Z_EN: 0
; COMPUTE_PGM_RSRC2:TIDIG_COMP_CNT: 1
; COMPUTE_PGM_RSRC3_GFX90A:ACCUM_OFFSET: 24
; COMPUTE_PGM_RSRC3_GFX90A:TG_SPLIT: 0
	.section	.text._ZN2at6native12_GLOBAL__N_135GammaBetaBackwardCUDAKernelTemplateIN3c104HalfEfLj32ELj8ELj64ELb0ELb1ELb1EEEvllPKT_S7_PKT0_SA_PS5_SB_,"axG",@progbits,_ZN2at6native12_GLOBAL__N_135GammaBetaBackwardCUDAKernelTemplateIN3c104HalfEfLj32ELj8ELj64ELb0ELb1ELb1EEEvllPKT_S7_PKT0_SA_PS5_SB_,comdat
	.globl	_ZN2at6native12_GLOBAL__N_135GammaBetaBackwardCUDAKernelTemplateIN3c104HalfEfLj32ELj8ELj64ELb0ELb1ELb1EEEvllPKT_S7_PKT0_SA_PS5_SB_ ; -- Begin function _ZN2at6native12_GLOBAL__N_135GammaBetaBackwardCUDAKernelTemplateIN3c104HalfEfLj32ELj8ELj64ELb0ELb1ELb1EEEvllPKT_S7_PKT0_SA_PS5_SB_
	.p2align	8
	.type	_ZN2at6native12_GLOBAL__N_135GammaBetaBackwardCUDAKernelTemplateIN3c104HalfEfLj32ELj8ELj64ELb0ELb1ELb1EEEvllPKT_S7_PKT0_SA_PS5_SB_,@function
_ZN2at6native12_GLOBAL__N_135GammaBetaBackwardCUDAKernelTemplateIN3c104HalfEfLj32ELj8ELj64ELb0ELb1ELb1EEEvllPKT_S7_PKT0_SA_PS5_SB_: ; @_ZN2at6native12_GLOBAL__N_135GammaBetaBackwardCUDAKernelTemplateIN3c104HalfEfLj32ELj8ELj64ELb0ELb1ELb1EEEvllPKT_S7_PKT0_SA_PS5_SB_
; %bb.0:
	s_load_dwordx4 s[4:7], s[0:1], 0x0
	s_lshl_b32 s14, s3, 6
	s_mov_b32 s15, 0
	v_mov_b64_e32 v[2:3], s[14:15]
	v_bfe_u32 v12, v0, 10, 10
	s_waitcnt lgkmcnt(0)
	v_cmp_gt_i64_e32 vcc, s[4:5], v[2:3]
	s_cbranch_vccnz .LBB179_2
; %bb.1:
	s_mov_b64 s[8:9], 0
	v_bfe_u32 v2, v0, 10, 10
	s_branch .LBB179_3
.LBB179_2:
	s_mov_b64 s[8:9], -1
                                        ; implicit-def: $vgpr2
.LBB179_3:
	s_load_dwordx2 s[12:13], s[0:1], 0x30
	v_and_b32_e32 v10, 0x3ff, v0
	v_mov_b32_e32 v1, 0
	s_andn2_b64 vcc, exec, s[8:9]
	v_mbcnt_lo_u32_b32 v11, -1, 0
	s_cbranch_vccnz .LBB179_11
; %bb.4:
	s_load_dword s3, s[0:1], 0x4c
	s_load_dword s16, s[0:1], 0x44
	s_load_dwordx2 s[18:19], s[0:1], 0x28
	s_load_dwordx4 s[8:11], s[0:1], 0x10
	v_lshlrev_b32_e32 v0, 3, v12
	s_waitcnt lgkmcnt(0)
	s_and_b32 s0, s3, 0xffff
	v_mad_u32_u24 v1, v12, s0, v10
	v_and_b32_e32 v2, 63, v1
	v_mov_b32_e32 v1, 0
	v_mov_b32_e32 v3, v1
	v_lshl_add_u64 v[8:9], v[0:1], 0, s[14:15]
	v_cmp_gt_u32_e64 s[0:1], 8, v2
	v_mbcnt_hi_u32_b32 v4, -1, v11
	s_lshl_b32 s16, s16, 6
	v_lshl_add_u64 v[2:3], v[8:9], 0, v[2:3]
	v_mul_lo_u32 v0, s7, v8
	v_mul_lo_u32 v21, s6, v9
	v_mad_u64_u32 v[8:9], s[20:21], s6, v8, 0
	v_lshl_add_u32 v6, s2, 5, v10
	v_mov_b32_e32 v7, v1
	v_lshlrev_b32_e32 v4, 2, v4
	s_mul_i32 s3, s7, s16
	s_mul_hi_u32 s20, s6, s16
	s_mov_b32 s17, 0
	v_and_b32_e32 v13, 0x100, v4
	v_add3_u32 v9, v9, v21, v0
	v_lshlrev_b64 v[6:7], 1, v[6:7]
	s_add_i32 s21, s20, s3
	s_mul_i32 s20, s6, s16
	v_or_b32_e32 v14, 4, v13
	v_or_b32_e32 v15, 8, v13
	;; [unrolled: 1-line block ×7, first 2 shown]
	v_lshl_add_u64 v[4:5], v[2:3], 2, s[18:19]
	s_lshl_b64 s[18:19], s[16:17], 2
	v_lshl_add_u64 v[6:7], v[8:9], 1, v[6:7]
	s_lshl_b64 s[20:21], s[20:21], 1
	s_lshl_b64 s[6:7], s[6:7], 1
	v_mov_b64_e32 v[8:9], s[4:5]
	s_branch .LBB179_7
.LBB179_5:                              ;   in Loop: Header=BB179_7 Depth=1
	s_or_b64 exec, exec, s[24:25]
.LBB179_6:                              ;   in Loop: Header=BB179_7 Depth=1
	s_or_b64 exec, exec, s[22:23]
	v_lshl_add_u64 v[22:23], s[8:9], 0, v[6:7]
	global_load_ushort v21, v[22:23], off
	v_lshl_add_u64 v[24:25], s[10:11], 0, v[6:7]
	v_lshl_add_u64 v[22:23], v[22:23], 0, s[6:7]
	global_load_ushort v31, v[24:25], off
	global_load_ushort v33, v[22:23], off
	v_lshl_add_u64 v[24:25], v[24:25], 0, s[6:7]
	v_lshl_add_u64 v[22:23], v[22:23], 0, s[6:7]
	global_load_ushort v34, v[24:25], off
	;; [unrolled: 4-line block ×7, first 2 shown]
	v_lshl_add_u64 v[22:23], v[24:25], 0, s[6:7]
	global_load_ushort v44, v[24:25], off
	global_load_ushort v46, v[22:23], off
	s_waitcnt vmcnt(16)
	ds_bpermute_b32 v22, v13, v0
	ds_bpermute_b32 v23, v14, v0
	;; [unrolled: 1-line block ×8, first 2 shown]
	s_add_u32 s14, s14, s16
	s_addc_u32 s15, s15, 0
	v_cmp_lt_i64_e32 vcc, s[14:15], v[8:9]
	v_lshl_add_u64 v[4:5], v[4:5], 0, s[18:19]
	v_lshl_add_u64 v[2:3], v[2:3], 0, s[16:17]
	;; [unrolled: 1-line block ×3, first 2 shown]
	s_and_b64 vcc, exec, vcc
	s_waitcnt vmcnt(15)
	v_cvt_f32_f16_e32 v30, v21
	s_waitcnt vmcnt(14)
	v_cvt_f32_f16_e32 v32, v31
	;; [unrolled: 2-line block ×7, first 2 shown]
	v_pk_mul_f32 v[30:31], v[30:31], v[32:33]
	s_waitcnt vmcnt(8)
	v_cvt_f32_f16_e32 v37, v38
	s_waitcnt vmcnt(7)
	v_cvt_f32_f16_e32 v38, v39
	s_waitcnt lgkmcnt(6)
	v_pk_mul_f32 v[22:23], v[30:31], v[22:23]
	s_waitcnt vmcnt(6)
	v_cvt_f32_f16_e32 v40, v40
	s_waitcnt vmcnt(5)
	v_cvt_f32_f16_e32 v39, v41
	v_add_f32_e32 v21, v1, v22
	v_pk_mul_f32 v[32:33], v[34:35], v[36:37]
	s_waitcnt vmcnt(4)
	v_cvt_f32_f16_e32 v41, v42
	s_waitcnt vmcnt(3)
	v_cvt_f32_f16_e32 v0, v43
	v_add_f32_e32 v21, v21, v23
	s_waitcnt lgkmcnt(4)
	v_pk_mul_f32 v[22:23], v[32:33], v[24:25]
	s_waitcnt vmcnt(2)
	v_cvt_f32_f16_e32 v1, v45
	v_add_f32_e32 v21, v21, v22
	s_waitcnt vmcnt(1)
	v_cvt_f32_f16_e32 v30, v44
	s_waitcnt vmcnt(0)
	v_cvt_f32_f16_e32 v31, v46
	v_pk_mul_f32 v[24:25], v[38:39], v[40:41]
	v_add_f32_e32 v21, v21, v23
	s_waitcnt lgkmcnt(2)
	v_pk_mul_f32 v[22:23], v[24:25], v[26:27]
	v_pk_mul_f32 v[0:1], v[0:1], v[30:31]
	v_add_f32_e32 v21, v21, v22
	v_add_f32_e32 v21, v21, v23
	s_waitcnt lgkmcnt(0)
	v_pk_mul_f32 v[0:1], v[0:1], v[28:29]
	s_nop 0
	v_add_f32_e32 v0, v21, v0
	v_add_f32_e32 v1, v0, v1
	s_cbranch_vccz .LBB179_10
.LBB179_7:                              ; =>This Inner Loop Header: Depth=1
	v_mov_b32_e32 v0, 0
	s_and_saveexec_b64 s[22:23], s[0:1]
	s_cbranch_execz .LBB179_6
; %bb.8:                                ;   in Loop: Header=BB179_7 Depth=1
	v_cmp_gt_i64_e32 vcc, s[4:5], v[2:3]
	v_mov_b32_e32 v0, 0
	s_and_saveexec_b64 s[24:25], vcc
	s_cbranch_execz .LBB179_5
; %bb.9:                                ;   in Loop: Header=BB179_7 Depth=1
	global_load_dword v0, v[4:5], off
	s_branch .LBB179_5
.LBB179_10:
	v_mov_b32_e32 v2, v12
.LBB179_11:
	v_mad_u32_u24 v0, v2, 33, v10
	v_lshl_add_u32 v3, v0, 2, 0
	v_sub_u32_e32 v2, v0, v2
	s_movk_i32 s0, 0x800
	ds_write_b32 v3, v1
	v_mov_b32_e32 v1, 0
	v_cmp_gt_u32_e32 vcc, s0, v2
	ds_write_b32 v3, v1 offset:1056
	s_waitcnt lgkmcnt(0)
	s_barrier
	s_and_saveexec_b64 s[0:1], vcc
	s_cbranch_execz .LBB179_51
; %bb.12:
	v_and_b32_e32 v1, 63, v2
	v_lshrrev_b32_e32 v0, 6, v2
	v_cmp_gt_u32_e32 vcc, 8, v1
	v_mul_u32_u24_e32 v1, 33, v1
                                        ; implicit-def: $vgpr4
	s_and_saveexec_b64 s[0:1], vcc
; %bb.13:
	v_lshlrev_b32_e32 v3, 2, v0
	v_lshlrev_b32_e32 v4, 2, v1
	v_add3_u32 v3, 0, v3, v4
	ds_read_b32 v4, v3
; %bb.14:
	s_or_b64 exec, exec, s[0:1]
	v_mbcnt_hi_u32_b32 v5, -1, v11
	v_and_b32_e32 v3, 64, v5
	v_add_u32_e32 v6, 64, v3
	v_xor_b32_e32 v3, 4, v5
	v_cmp_lt_i32_e64 s[0:1], v3, v6
	v_xor_b32_e32 v8, 2, v5
	s_cmp_lg_u64 s[12:13], 0
	v_cndmask_b32_e64 v3, v5, v3, s[0:1]
	v_lshlrev_b32_e32 v3, 2, v3
	s_waitcnt lgkmcnt(0)
	ds_bpermute_b32 v7, v3, v4
	v_cmp_lt_i32_e64 s[0:1], v8, v6
	s_mov_b32 s3, 0
	s_cselect_b64 s[6:7], -1, 0
	s_waitcnt lgkmcnt(0)
	v_add_f32_e32 v7, v4, v7
	v_cndmask_b32_e64 v4, v5, v8, s[0:1]
	v_lshlrev_b32_e32 v4, 2, v4
	ds_bpermute_b32 v8, v4, v7
	v_cmp_eq_u32_e64 s[0:1], 0, v10
	s_waitcnt lgkmcnt(0)
	v_add_f32_e32 v7, v7, v8
	v_xor_b32_e32 v8, 1, v5
	v_cmp_lt_i32_e64 s[4:5], v8, v6
	s_nop 1
	v_cndmask_b32_e64 v5, v5, v8, s[4:5]
	v_lshlrev_b32_e32 v5, 2, v5
	ds_bpermute_b32 v6, v5, v7
	s_and_b64 s[4:5], s[0:1], s[6:7]
	s_lshl_b64 s[0:1], s[2:3], 6
	s_add_u32 s2, s12, s0
	s_addc_u32 s3, s13, s1
	s_waitcnt lgkmcnt(0)
	v_add_f32_e32 v6, v7, v6
	s_and_saveexec_b64 s[0:1], s[4:5]
	s_cbranch_execz .LBB179_16
; %bb.15:
	v_cvt_f16_f32_e32 v7, v6
	v_lshlrev_b32_e32 v8, 1, v0
	global_store_short v8, v7, s[2:3]
.LBB179_16:
	s_or_b64 exec, exec, s[0:1]
	s_movk_i32 s0, 0x700
	v_cmp_gt_u32_e64 s[0:1], s0, v2
	s_and_b64 exec, exec, s[0:1]
	s_cbranch_execz .LBB179_51
; %bb.17:
	s_and_saveexec_b64 s[0:1], vcc
; %bb.18:
	v_lshlrev_b32_e32 v6, 2, v0
	v_lshlrev_b32_e32 v7, 2, v1
	v_add3_u32 v6, 0, v6, v7
	ds_read_b32 v6, v6 offset:16
; %bb.19:
	s_or_b64 exec, exec, s[0:1]
	s_waitcnt lgkmcnt(0)
	ds_bpermute_b32 v7, v3, v6
	s_waitcnt lgkmcnt(0)
	v_add_f32_e32 v6, v6, v7
	ds_bpermute_b32 v7, v4, v6
	s_waitcnt lgkmcnt(0)
	v_add_f32_e32 v6, v6, v7
	ds_bpermute_b32 v7, v5, v6
	s_waitcnt lgkmcnt(0)
	v_add_f32_e32 v6, v6, v7
	s_and_saveexec_b64 s[0:1], s[4:5]
	s_cbranch_execz .LBB179_21
; %bb.20:
	v_cvt_f16_f32_e32 v7, v6
	v_lshlrev_b32_e32 v8, 1, v0
	global_store_short v8, v7, s[2:3] offset:8
.LBB179_21:
	s_or_b64 exec, exec, s[0:1]
	s_movk_i32 s0, 0x600
	v_cmp_gt_u32_e64 s[0:1], s0, v2
	s_and_b64 exec, exec, s[0:1]
	s_cbranch_execz .LBB179_51
; %bb.22:
	s_and_saveexec_b64 s[0:1], vcc
; %bb.23:
	v_lshlrev_b32_e32 v6, 2, v0
	v_lshlrev_b32_e32 v7, 2, v1
	v_add3_u32 v6, 0, v6, v7
	ds_read_b32 v6, v6 offset:32
; %bb.24:
	s_or_b64 exec, exec, s[0:1]
	s_waitcnt lgkmcnt(0)
	ds_bpermute_b32 v7, v3, v6
	s_waitcnt lgkmcnt(0)
	v_add_f32_e32 v6, v6, v7
	ds_bpermute_b32 v7, v4, v6
	s_waitcnt lgkmcnt(0)
	v_add_f32_e32 v6, v6, v7
	ds_bpermute_b32 v7, v5, v6
	s_waitcnt lgkmcnt(0)
	v_add_f32_e32 v6, v6, v7
	s_and_saveexec_b64 s[0:1], s[4:5]
	s_cbranch_execz .LBB179_26
; %bb.25:
	v_cvt_f16_f32_e32 v7, v6
	v_lshlrev_b32_e32 v8, 1, v0
	global_store_short v8, v7, s[2:3] offset:16
.LBB179_26:
	;; [unrolled: 31-line block ×6, first 2 shown]
	s_or_b64 exec, exec, s[0:1]
	s_movk_i32 s0, 0x100
	v_cmp_gt_u32_e64 s[0:1], s0, v2
	s_and_b64 exec, exec, s[0:1]
	s_cbranch_execz .LBB179_51
; %bb.47:
	s_and_saveexec_b64 s[0:1], vcc
; %bb.48:
	v_lshlrev_b32_e32 v2, 2, v0
	v_lshlrev_b32_e32 v1, 2, v1
	v_add3_u32 v1, 0, v2, v1
	ds_read_b32 v6, v1 offset:112
; %bb.49:
	s_or_b64 exec, exec, s[0:1]
	s_waitcnt lgkmcnt(0)
	ds_bpermute_b32 v1, v3, v6
	s_waitcnt lgkmcnt(0)
	v_add_f32_e32 v1, v6, v1
	ds_bpermute_b32 v2, v4, v1
	s_waitcnt lgkmcnt(0)
	v_add_f32_e32 v1, v1, v2
	ds_bpermute_b32 v2, v5, v1
	s_and_saveexec_b64 s[0:1], s[4:5]
	s_xor_b64 s[0:1], exec, s[0:1]
	s_cbranch_execz .LBB179_51
; %bb.50:
	s_waitcnt lgkmcnt(0)
	v_add_f32_e32 v1, v1, v2
	v_cvt_f16_f32_e32 v1, v1
	v_lshlrev_b32_e32 v0, 1, v0
	global_store_short v0, v1, s[2:3] offset:56
.LBB179_51:
	s_endpgm
	.section	.rodata,"a",@progbits
	.p2align	6, 0x0
	.amdhsa_kernel _ZN2at6native12_GLOBAL__N_135GammaBetaBackwardCUDAKernelTemplateIN3c104HalfEfLj32ELj8ELj64ELb0ELb1ELb1EEEvllPKT_S7_PKT0_SA_PS5_SB_
		.amdhsa_group_segment_fixed_size 0
		.amdhsa_private_segment_fixed_size 0
		.amdhsa_kernarg_size 320
		.amdhsa_user_sgpr_count 2
		.amdhsa_user_sgpr_dispatch_ptr 0
		.amdhsa_user_sgpr_queue_ptr 0
		.amdhsa_user_sgpr_kernarg_segment_ptr 1
		.amdhsa_user_sgpr_dispatch_id 0
		.amdhsa_user_sgpr_kernarg_preload_length 0
		.amdhsa_user_sgpr_kernarg_preload_offset 0
		.amdhsa_user_sgpr_private_segment_size 0
		.amdhsa_uses_dynamic_stack 0
		.amdhsa_enable_private_segment 0
		.amdhsa_system_sgpr_workgroup_id_x 1
		.amdhsa_system_sgpr_workgroup_id_y 1
		.amdhsa_system_sgpr_workgroup_id_z 0
		.amdhsa_system_sgpr_workgroup_info 0
		.amdhsa_system_vgpr_workitem_id 1
		.amdhsa_next_free_vgpr 47
		.amdhsa_next_free_sgpr 26
		.amdhsa_accum_offset 48
		.amdhsa_reserve_vcc 1
		.amdhsa_float_round_mode_32 0
		.amdhsa_float_round_mode_16_64 0
		.amdhsa_float_denorm_mode_32 3
		.amdhsa_float_denorm_mode_16_64 3
		.amdhsa_dx10_clamp 1
		.amdhsa_ieee_mode 1
		.amdhsa_fp16_overflow 0
		.amdhsa_tg_split 0
		.amdhsa_exception_fp_ieee_invalid_op 0
		.amdhsa_exception_fp_denorm_src 0
		.amdhsa_exception_fp_ieee_div_zero 0
		.amdhsa_exception_fp_ieee_overflow 0
		.amdhsa_exception_fp_ieee_underflow 0
		.amdhsa_exception_fp_ieee_inexact 0
		.amdhsa_exception_int_div_zero 0
	.end_amdhsa_kernel
	.section	.text._ZN2at6native12_GLOBAL__N_135GammaBetaBackwardCUDAKernelTemplateIN3c104HalfEfLj32ELj8ELj64ELb0ELb1ELb1EEEvllPKT_S7_PKT0_SA_PS5_SB_,"axG",@progbits,_ZN2at6native12_GLOBAL__N_135GammaBetaBackwardCUDAKernelTemplateIN3c104HalfEfLj32ELj8ELj64ELb0ELb1ELb1EEEvllPKT_S7_PKT0_SA_PS5_SB_,comdat
.Lfunc_end179:
	.size	_ZN2at6native12_GLOBAL__N_135GammaBetaBackwardCUDAKernelTemplateIN3c104HalfEfLj32ELj8ELj64ELb0ELb1ELb1EEEvllPKT_S7_PKT0_SA_PS5_SB_, .Lfunc_end179-_ZN2at6native12_GLOBAL__N_135GammaBetaBackwardCUDAKernelTemplateIN3c104HalfEfLj32ELj8ELj64ELb0ELb1ELb1EEEvllPKT_S7_PKT0_SA_PS5_SB_
                                        ; -- End function
	.set _ZN2at6native12_GLOBAL__N_135GammaBetaBackwardCUDAKernelTemplateIN3c104HalfEfLj32ELj8ELj64ELb0ELb1ELb1EEEvllPKT_S7_PKT0_SA_PS5_SB_.num_vgpr, 47
	.set _ZN2at6native12_GLOBAL__N_135GammaBetaBackwardCUDAKernelTemplateIN3c104HalfEfLj32ELj8ELj64ELb0ELb1ELb1EEEvllPKT_S7_PKT0_SA_PS5_SB_.num_agpr, 0
	.set _ZN2at6native12_GLOBAL__N_135GammaBetaBackwardCUDAKernelTemplateIN3c104HalfEfLj32ELj8ELj64ELb0ELb1ELb1EEEvllPKT_S7_PKT0_SA_PS5_SB_.numbered_sgpr, 26
	.set _ZN2at6native12_GLOBAL__N_135GammaBetaBackwardCUDAKernelTemplateIN3c104HalfEfLj32ELj8ELj64ELb0ELb1ELb1EEEvllPKT_S7_PKT0_SA_PS5_SB_.num_named_barrier, 0
	.set _ZN2at6native12_GLOBAL__N_135GammaBetaBackwardCUDAKernelTemplateIN3c104HalfEfLj32ELj8ELj64ELb0ELb1ELb1EEEvllPKT_S7_PKT0_SA_PS5_SB_.private_seg_size, 0
	.set _ZN2at6native12_GLOBAL__N_135GammaBetaBackwardCUDAKernelTemplateIN3c104HalfEfLj32ELj8ELj64ELb0ELb1ELb1EEEvllPKT_S7_PKT0_SA_PS5_SB_.uses_vcc, 1
	.set _ZN2at6native12_GLOBAL__N_135GammaBetaBackwardCUDAKernelTemplateIN3c104HalfEfLj32ELj8ELj64ELb0ELb1ELb1EEEvllPKT_S7_PKT0_SA_PS5_SB_.uses_flat_scratch, 0
	.set _ZN2at6native12_GLOBAL__N_135GammaBetaBackwardCUDAKernelTemplateIN3c104HalfEfLj32ELj8ELj64ELb0ELb1ELb1EEEvllPKT_S7_PKT0_SA_PS5_SB_.has_dyn_sized_stack, 0
	.set _ZN2at6native12_GLOBAL__N_135GammaBetaBackwardCUDAKernelTemplateIN3c104HalfEfLj32ELj8ELj64ELb0ELb1ELb1EEEvllPKT_S7_PKT0_SA_PS5_SB_.has_recursion, 0
	.set _ZN2at6native12_GLOBAL__N_135GammaBetaBackwardCUDAKernelTemplateIN3c104HalfEfLj32ELj8ELj64ELb0ELb1ELb1EEEvllPKT_S7_PKT0_SA_PS5_SB_.has_indirect_call, 0
	.section	.AMDGPU.csdata,"",@progbits
; Kernel info:
; codeLenInByte = 2260
; TotalNumSgprs: 32
; NumVgprs: 47
; NumAgprs: 0
; TotalNumVgprs: 47
; ScratchSize: 0
; MemoryBound: 0
; FloatMode: 240
; IeeeMode: 1
; LDSByteSize: 0 bytes/workgroup (compile time only)
; SGPRBlocks: 3
; VGPRBlocks: 5
; NumSGPRsForWavesPerEU: 32
; NumVGPRsForWavesPerEU: 47
; AccumOffset: 48
; Occupancy: 8
; WaveLimiterHint : 0
; COMPUTE_PGM_RSRC2:SCRATCH_EN: 0
; COMPUTE_PGM_RSRC2:USER_SGPR: 2
; COMPUTE_PGM_RSRC2:TRAP_HANDLER: 0
; COMPUTE_PGM_RSRC2:TGID_X_EN: 1
; COMPUTE_PGM_RSRC2:TGID_Y_EN: 1
; COMPUTE_PGM_RSRC2:TGID_Z_EN: 0
; COMPUTE_PGM_RSRC2:TIDIG_COMP_CNT: 1
; COMPUTE_PGM_RSRC3_GFX90A:ACCUM_OFFSET: 11
; COMPUTE_PGM_RSRC3_GFX90A:TG_SPLIT: 0
	.section	.text._ZN2at6native12_GLOBAL__N_135GammaBetaBackwardCUDAKernelTemplateIN3c104HalfEfLj32ELj8ELj64ELb0ELb0ELb1EEEvllPKT_S7_PKT0_SA_PS5_SB_,"axG",@progbits,_ZN2at6native12_GLOBAL__N_135GammaBetaBackwardCUDAKernelTemplateIN3c104HalfEfLj32ELj8ELj64ELb0ELb0ELb1EEEvllPKT_S7_PKT0_SA_PS5_SB_,comdat
	.globl	_ZN2at6native12_GLOBAL__N_135GammaBetaBackwardCUDAKernelTemplateIN3c104HalfEfLj32ELj8ELj64ELb0ELb0ELb1EEEvllPKT_S7_PKT0_SA_PS5_SB_ ; -- Begin function _ZN2at6native12_GLOBAL__N_135GammaBetaBackwardCUDAKernelTemplateIN3c104HalfEfLj32ELj8ELj64ELb0ELb0ELb1EEEvllPKT_S7_PKT0_SA_PS5_SB_
	.p2align	8
	.type	_ZN2at6native12_GLOBAL__N_135GammaBetaBackwardCUDAKernelTemplateIN3c104HalfEfLj32ELj8ELj64ELb0ELb0ELb1EEEvllPKT_S7_PKT0_SA_PS5_SB_,@function
_ZN2at6native12_GLOBAL__N_135GammaBetaBackwardCUDAKernelTemplateIN3c104HalfEfLj32ELj8ELj64ELb0ELb0ELb1EEEvllPKT_S7_PKT0_SA_PS5_SB_: ; @_ZN2at6native12_GLOBAL__N_135GammaBetaBackwardCUDAKernelTemplateIN3c104HalfEfLj32ELj8ELj64ELb0ELb0ELb1EEEvllPKT_S7_PKT0_SA_PS5_SB_
; %bb.0:
	s_load_dwordx8 s[8:15], s[0:1], 0x0
	s_load_dwordx2 s[16:17], s[0:1], 0x28
	s_lshl_b32 s33, s2, 5
	s_mov_b32 s19, 0
	s_lshl_b32 s18, s3, 6
	s_or_b32 s4, s33, 31
	v_mov_b64_e32 v[4:5], s[18:19]
	v_mov_b32_e32 v2, s4
	v_mov_b32_e32 v3, 0
	s_waitcnt lgkmcnt(0)
	v_cmp_gt_i64_e64 s[4:5], s[8:9], v[4:5]
	v_cmp_le_i64_e32 vcc, s[10:11], v[2:3]
	s_nop 0
	v_cndmask_b32_e64 v1, 0, 1, s[4:5]
	v_cmp_ne_u32_e64 s[4:5], 1, v1
	s_cbranch_vccz .LBB180_49
; %bb.1:
	s_and_b64 vcc, exec, s[4:5]
	s_cbranch_vccnz .LBB180_50
; %bb.2:
	v_and_b32_e32 v1, 0x3ff, v0
	v_mov_b32_e32 v2, 0
	v_bfe_u32 v58, v0, 10, 10
	v_add_u32_e32 v4, s33, v1
	v_mov_b32_e32 v5, v2
	v_lshlrev_b32_e32 v20, 3, v58
	v_mov_b32_e32 v21, v2
	v_cmp_gt_i64_e64 s[6:7], s[10:11], v[4:5]
	v_lshlrev_b64 v[22:23], 1, v[4:5]
	v_lshl_add_u64 v[4:5], v[20:21], 0, s[18:19]
	v_mul_lo_u32 v3, s11, v4
	v_mul_lo_u32 v8, s10, v5
	v_mad_u64_u32 v[6:7], s[22:23], s10, v4, 0
	v_add3_u32 v7, v7, v8, v3
	v_lshlrev_b64 v[6:7], 1, v[6:7]
	v_lshl_add_u64 v[24:25], s[12:13], 0, v[6:7]
	v_lshl_add_u64 v[26:27], s[14:15], 0, v[6:7]
	v_lshl_add_u64 v[6:7], v[4:5], 0, 7
	v_mul_lo_u32 v9, s11, v6
	v_mul_lo_u32 v10, s10, v7
	v_mad_u64_u32 v[6:7], s[24:25], s10, v6, 0
	v_add3_u32 v7, v7, v10, v9
	v_lshlrev_b64 v[6:7], 1, v[6:7]
	v_lshl_add_u64 v[28:29], s[12:13], 0, v[6:7]
	v_lshl_add_u64 v[30:31], s[14:15], 0, v[6:7]
	;; [unrolled: 8-line block ×5, first 2 shown]
	v_lshl_add_u64 v[6:7], v[4:5], 0, 3
	v_mul_lo_u32 v9, s11, v6
	v_mul_lo_u32 v10, s10, v7
	v_mad_u64_u32 v[6:7], s[24:25], s10, v6, 0
	v_add3_u32 v7, v7, v10, v9
	s_load_dword s3, s[0:1], 0x44
	v_lshlrev_b64 v[6:7], 1, v[6:7]
	v_lshl_add_u64 v[44:45], s[12:13], 0, v[6:7]
	v_lshl_add_u64 v[46:47], s[14:15], 0, v[6:7]
	;; [unrolled: 1-line block ×3, first 2 shown]
	v_mul_lo_u32 v5, s11, v6
	v_mul_lo_u32 v9, s10, v7
	v_mad_u64_u32 v[6:7], s[24:25], s10, v6, 0
	v_add3_u32 v7, v7, v9, v5
	s_add_u32 s20, s0, 64
	v_lshlrev_b64 v[6:7], 1, v[6:7]
	s_addc_u32 s21, s1, 0
	s_waitcnt lgkmcnt(0)
	s_lshl_b32 s3, s3, 6
	v_lshl_add_u64 v[48:49], s[12:13], 0, v[6:7]
	v_lshl_add_u64 v[50:51], s[14:15], 0, v[6:7]
	v_mov_b64_e32 v[6:7], s[10:11]
	s_mul_i32 s22, s11, s3
	s_mul_hi_u32 s23, s10, s3
	v_mad_u64_u32 v[4:5], s[24:25], s10, v4, v[6:7]
	s_add_i32 s23, s23, s22
	s_mul_i32 s22, s10, s3
	v_add3_u32 v5, v3, v5, v8
	v_mbcnt_lo_u32_b32 v3, -1, 0
	s_lshl_b64 s[22:23], s[22:23], 1
	v_mbcnt_hi_u32_b32 v3, -1, v3
	v_lshlrev_b64 v[4:5], 1, v[4:5]
	s_add_u32 s24, s18, 63
	s_movk_i32 s26, 0xffc1
	s_movk_i32 s28, 0xffc2
	;; [unrolled: 1-line block ×8, first 2 shown]
	v_lshlrev_b32_e32 v3, 2, v3
	v_lshl_add_u64 v[52:53], s[12:13], 0, v[4:5]
	v_lshl_add_u64 v[54:55], s[14:15], 0, v[4:5]
	s_addc_u32 s25, 0, 0
	s_mov_b32 s27, -1
	s_mov_b32 s29, -1
	;; [unrolled: 1-line block ×8, first 2 shown]
	v_and_b32_e32 v59, 0x100, v3
	s_mov_b64 s[44:45], s[18:19]
	v_mov_b32_e32 v60, 0
.LBB180_3:                              ; =>This Inner Loop Header: Depth=1
	v_mov_b64_e32 v[4:5], s[8:9]
	v_cmp_ge_i64_e32 vcc, s[24:25], v[4:5]
	v_lshl_add_u64 v[56:57], v[20:21], 0, s[24:25]
	s_mov_b64 s[46:47], -1
	s_and_b64 vcc, exec, vcc
                                        ; implicit-def: $vgpr4_vgpr5_vgpr6_vgpr7_vgpr8_vgpr9_vgpr10_vgpr11
                                        ; implicit-def: $vgpr3
                                        ; implicit-def: $vgpr12_vgpr13_vgpr14_vgpr15_vgpr16_vgpr17_vgpr18_vgpr19
                                        ; implicit-def: $vgpr4
	s_cbranch_vccz .LBB180_25
; %bb.4:                                ;   in Loop: Header=BB180_3 Depth=1
	s_load_dword s46, s[20:21], 0xc
	v_mov_b32_e32 v61, 0
	s_waitcnt lgkmcnt(0)
	s_and_b32 s46, s46, 0xffff
	v_mad_u32_u24 v3, v58, s46, v1
	v_and_b32_e32 v4, 63, v3
	v_cmp_gt_u32_e32 vcc, 8, v4
	s_and_saveexec_b64 s[46:47], vcc
	s_cbranch_execz .LBB180_8
; %bb.5:                                ;   in Loop: Header=BB180_3 Depth=1
	v_mov_b32_e32 v5, v2
	v_lshl_add_u64 v[4:5], v[56:57], 0, v[4:5]
	v_lshl_add_u64 v[4:5], v[4:5], 0, s[26:27]
	v_cmp_gt_i64_e32 vcc, s[8:9], v[4:5]
	v_mov_b32_e32 v61, 0
	s_and_saveexec_b64 s[48:49], vcc
	s_cbranch_execz .LBB180_7
; %bb.6:                                ;   in Loop: Header=BB180_3 Depth=1
	v_lshl_add_u64 v[4:5], v[4:5], 2, s[16:17]
	global_load_dword v61, v[4:5], off
.LBB180_7:                              ;   in Loop: Header=BB180_3 Depth=1
	s_or_b64 exec, exec, s[48:49]
.LBB180_8:                              ;   in Loop: Header=BB180_3 Depth=1
	s_or_b64 exec, exec, s[46:47]
	v_lshl_add_u64 v[4:5], v[56:57], 0, s[26:27]
	v_mov_b32_e32 v8, v2
	v_mov_b32_e32 v9, v2
	v_cmp_gt_i64_e32 vcc, s[8:9], v[4:5]
	v_mov_b32_e32 v3, v2
	v_mov_b32_e32 v4, v2
	;; [unrolled: 1-line block ×5, first 2 shown]
	v_mov_b64_e32 v[18:19], v[8:9]
	v_mov_b64_e32 v[16:17], v[6:7]
	;; [unrolled: 1-line block ×5, first 2 shown]
	s_and_b64 s[48:49], s[6:7], vcc
	v_mov_b64_e32 v[8:9], v[6:7]
	v_mov_b64_e32 v[6:7], v[4:5]
	;; [unrolled: 1-line block ×3, first 2 shown]
	s_and_saveexec_b64 s[46:47], s[48:49]
	s_cbranch_execz .LBB180_10
; %bb.9:                                ;   in Loop: Header=BB180_3 Depth=1
	v_lshl_add_u64 v[4:5], v[24:25], 0, v[22:23]
	global_load_ushort v3, v[4:5], off
	v_lshl_add_u64 v[4:5], v[26:27], 0, v[22:23]
	global_load_ushort v12, v[4:5], off
	v_mov_b32_e32 v5, v2
	v_mov_b32_e32 v6, v2
	;; [unrolled: 1-line block ×14, first 2 shown]
	s_waitcnt vmcnt(1)
	v_cvt_f32_f16_e32 v4, v3
	s_waitcnt vmcnt(0)
	v_cvt_f32_f16_e32 v12, v12
.LBB180_10:                             ;   in Loop: Header=BB180_3 Depth=1
	s_or_b64 exec, exec, s[46:47]
	v_lshl_add_u64 v[62:63], v[56:57], 0, s[28:29]
	v_cmp_gt_i64_e32 vcc, s[8:9], v[62:63]
	s_and_b64 s[48:49], s[6:7], vcc
	s_and_saveexec_b64 s[46:47], s[48:49]
	s_cbranch_execz .LBB180_12
; %bb.11:                               ;   in Loop: Header=BB180_3 Depth=1
	v_lshl_add_u64 v[62:63], v[52:53], 0, v[22:23]
	global_load_ushort v3, v[62:63], off
	v_lshl_add_u64 v[62:63], v[54:55], 0, v[22:23]
	global_load_ushort v13, v[62:63], off
	s_waitcnt vmcnt(1)
	v_cvt_f32_f16_e32 v5, v3
	s_waitcnt vmcnt(0)
	v_cvt_f32_f16_e32 v13, v13
.LBB180_12:                             ;   in Loop: Header=BB180_3 Depth=1
	s_or_b64 exec, exec, s[46:47]
	v_lshl_add_u64 v[62:63], v[56:57], 0, s[30:31]
	v_cmp_gt_i64_e32 vcc, s[8:9], v[62:63]
	s_and_b64 s[48:49], s[6:7], vcc
	s_and_saveexec_b64 s[46:47], s[48:49]
	s_cbranch_execz .LBB180_14
; %bb.13:                               ;   in Loop: Header=BB180_3 Depth=1
	v_lshl_add_u64 v[62:63], v[48:49], 0, v[22:23]
	global_load_ushort v3, v[62:63], off
	v_lshl_add_u64 v[62:63], v[50:51], 0, v[22:23]
	global_load_ushort v14, v[62:63], off
	s_waitcnt vmcnt(1)
	v_cvt_f32_f16_e32 v6, v3
	s_waitcnt vmcnt(0)
	v_cvt_f32_f16_e32 v14, v14
.LBB180_14:                             ;   in Loop: Header=BB180_3 Depth=1
	;; [unrolled: 16-line block ×7, first 2 shown]
	s_or_b64 exec, exec, s[46:47]
	s_waitcnt vmcnt(0)
	ds_bpermute_b32 v3, v59, v61
	ds_bpermute_b32 v62, v59, v61 offset:4
	ds_bpermute_b32 v63, v59, v61 offset:8
	v_mul_f32_e32 v4, v12, v4
	v_pk_mul_f32 v[8:9], v[16:17], v[8:9]
	s_waitcnt lgkmcnt(2)
	v_fma_f32 v16, v4, v3, v60
	v_pk_mul_f32 v[6:7], v[14:15], v[6:7]
	v_mul_f32_e32 v3, v13, v5
	ds_bpermute_b32 v14, v59, v61 offset:12
	ds_bpermute_b32 v15, v59, v61 offset:16
	v_pk_mov_b32 v[12:13], v[2:3], v[6:7] op_sel:[1,0]
	v_pk_mov_b32 v[6:7], v[6:7], v[8:9] op_sel:[1,0]
	s_waitcnt lgkmcnt(2)
	v_pk_mul_f32 v[12:13], v[12:13], v[62:63]
	v_mul_f32_e32 v4, v18, v10
	v_add_f32_e32 v3, v16, v12
	v_add_f32_e32 v3, v3, v13
	ds_bpermute_b32 v12, v59, v61 offset:20
	ds_bpermute_b32 v13, v59, v61 offset:24
	s_waitcnt lgkmcnt(2)
	v_pk_mul_f32 v[6:7], v[6:7], v[14:15]
	s_mov_b64 s[46:47], 0
	v_add_f32_e32 v3, v3, v6
	v_add_f32_e32 v3, v3, v7
	v_pk_mov_b32 v[6:7], v[8:9], v[4:5] op_sel:[1,0]
	ds_bpermute_b32 v4, v59, v61 offset:28
	s_waitcnt lgkmcnt(1)
	v_pk_mul_f32 v[6:7], v[6:7], v[12:13]
	s_nop 0
	v_add_f32_e32 v3, v3, v6
	v_add_f32_e32 v3, v3, v7
.LBB180_25:                             ;   in Loop: Header=BB180_3 Depth=1
	s_and_b64 vcc, exec, s[46:47]
	s_cbranch_vccz .LBB180_40
; %bb.26:                               ;   in Loop: Header=BB180_3 Depth=1
	s_load_dword s46, s[20:21], 0x0
	v_mov_b32_e32 v61, 0
	s_waitcnt lgkmcnt(0)
	s_cmp_lt_u32 s2, s46
	s_cselect_b32 s46, 12, 18
	s_add_u32 s46, s20, s46
	s_addc_u32 s47, s21, 0
	global_load_ushort v3, v2, s[46:47]
	s_waitcnt vmcnt(0)
	v_mad_u32_u24 v3, v58, v3, v1
	v_and_b32_e32 v4, 63, v3
	v_cmp_gt_u32_e32 vcc, 8, v4
	s_and_saveexec_b64 s[46:47], vcc
	s_cbranch_execz .LBB180_30
; %bb.27:                               ;   in Loop: Header=BB180_3 Depth=1
	v_mov_b32_e32 v5, v2
	v_lshl_add_u64 v[4:5], v[56:57], 0, v[4:5]
	v_lshl_add_u64 v[4:5], v[4:5], 0, s[26:27]
	v_cmp_gt_i64_e32 vcc, s[8:9], v[4:5]
	v_mov_b32_e32 v61, 0
	s_and_saveexec_b64 s[48:49], vcc
	s_cbranch_execz .LBB180_29
; %bb.28:                               ;   in Loop: Header=BB180_3 Depth=1
	v_lshl_add_u64 v[4:5], v[4:5], 2, s[16:17]
	global_load_dword v61, v[4:5], off
.LBB180_29:                             ;   in Loop: Header=BB180_3 Depth=1
	s_or_b64 exec, exec, s[48:49]
.LBB180_30:                             ;   in Loop: Header=BB180_3 Depth=1
	s_or_b64 exec, exec, s[46:47]
	v_mov_b32_e32 v8, v2
	v_mov_b32_e32 v9, v2
	;; [unrolled: 1-line block ×7, first 2 shown]
	v_mov_b64_e32 v[18:19], v[8:9]
	v_mov_b64_e32 v[16:17], v[6:7]
	;; [unrolled: 1-line block ×8, first 2 shown]
	s_and_saveexec_b64 s[46:47], s[6:7]
	s_cbranch_execnz .LBB180_42
; %bb.31:                               ;   in Loop: Header=BB180_3 Depth=1
	s_or_b64 exec, exec, s[46:47]
	s_and_saveexec_b64 s[46:47], s[6:7]
	s_cbranch_execnz .LBB180_43
.LBB180_32:                             ;   in Loop: Header=BB180_3 Depth=1
	s_or_b64 exec, exec, s[46:47]
	s_and_saveexec_b64 s[46:47], s[6:7]
	s_cbranch_execnz .LBB180_44
.LBB180_33:                             ;   in Loop: Header=BB180_3 Depth=1
	s_or_b64 exec, exec, s[46:47]
	s_and_saveexec_b64 s[46:47], s[6:7]
	s_cbranch_execnz .LBB180_45
.LBB180_34:                             ;   in Loop: Header=BB180_3 Depth=1
	s_or_b64 exec, exec, s[46:47]
	s_and_saveexec_b64 s[46:47], s[6:7]
	s_cbranch_execnz .LBB180_46
.LBB180_35:                             ;   in Loop: Header=BB180_3 Depth=1
	s_or_b64 exec, exec, s[46:47]
	s_and_saveexec_b64 s[46:47], s[6:7]
	s_cbranch_execnz .LBB180_47
.LBB180_36:                             ;   in Loop: Header=BB180_3 Depth=1
	s_or_b64 exec, exec, s[46:47]
	s_and_saveexec_b64 s[46:47], s[6:7]
	s_cbranch_execnz .LBB180_48
.LBB180_37:                             ;   in Loop: Header=BB180_3 Depth=1
	s_or_b64 exec, exec, s[46:47]
	s_and_saveexec_b64 s[46:47], s[6:7]
	s_cbranch_execz .LBB180_39
.LBB180_38:                             ;   in Loop: Header=BB180_3 Depth=1
	v_lshl_add_u64 v[56:57], v[28:29], 0, v[22:23]
	global_load_ushort v3, v[56:57], off
	v_lshl_add_u64 v[56:57], v[30:31], 0, v[22:23]
	global_load_ushort v19, v[56:57], off
	s_waitcnt vmcnt(1)
	v_cvt_f32_f16_e32 v11, v3
	s_waitcnt vmcnt(0)
	v_cvt_f32_f16_e32 v19, v19
.LBB180_39:                             ;   in Loop: Header=BB180_3 Depth=1
	s_or_b64 exec, exec, s[46:47]
	s_waitcnt vmcnt(0)
	ds_bpermute_b32 v3, v59, v61
	ds_bpermute_b32 v56, v59, v61 offset:4
	ds_bpermute_b32 v57, v59, v61 offset:8
	v_mul_f32_e32 v4, v12, v4
	v_pk_mul_f32 v[6:7], v[14:15], v[6:7]
	s_waitcnt lgkmcnt(2)
	v_fmac_f32_e32 v60, v4, v3
	v_mul_f32_e32 v3, v13, v5
	v_pk_mov_b32 v[4:5], v[2:3], v[6:7] op_sel:[1,0]
	ds_bpermute_b32 v12, v59, v61 offset:12
	ds_bpermute_b32 v13, v59, v61 offset:16
	s_waitcnt lgkmcnt(2)
	v_pk_mul_f32 v[4:5], v[4:5], v[56:57]
	v_pk_mul_f32 v[8:9], v[16:17], v[8:9]
	v_add_f32_e32 v3, v60, v4
	v_add_f32_e32 v3, v3, v5
	v_pk_mov_b32 v[4:5], v[6:7], v[8:9] op_sel:[1,0]
	ds_bpermute_b32 v6, v59, v61 offset:20
	ds_bpermute_b32 v7, v59, v61 offset:24
	s_waitcnt lgkmcnt(2)
	v_pk_mul_f32 v[4:5], v[4:5], v[12:13]
	v_mul_f32_e32 v10, v18, v10
	v_add_f32_e32 v3, v3, v4
	ds_bpermute_b32 v4, v59, v61 offset:28
	v_pk_mov_b32 v[8:9], v[8:9], v[10:11] op_sel:[1,0]
	v_add_f32_e32 v3, v3, v5
	s_waitcnt lgkmcnt(1)
	v_pk_mul_f32 v[6:7], v[8:9], v[6:7]
	s_nop 0
	v_add_f32_e32 v3, v3, v6
	v_add_f32_e32 v3, v3, v7
.LBB180_40:                             ;   in Loop: Header=BB180_3 Depth=1
	v_mul_f32_e32 v5, v11, v19
	s_add_u32 s44, s44, s3
	s_waitcnt lgkmcnt(0)
	v_fmac_f32_e32 v3, v5, v4
	s_addc_u32 s45, s45, 0
	v_mov_b64_e32 v[4:5], s[8:9]
	s_add_u32 s24, s24, s3
	v_cmp_lt_i64_e32 vcc, s[44:45], v[4:5]
	v_lshl_add_u64 v[24:25], v[24:25], 0, s[22:23]
	v_lshl_add_u64 v[26:27], v[26:27], 0, s[22:23]
	;; [unrolled: 1-line block ×16, first 2 shown]
	s_addc_u32 s25, s25, 0
	s_cbranch_vccz .LBB180_50
; %bb.41:                               ;   in Loop: Header=BB180_3 Depth=1
	v_mov_b32_e32 v60, v3
	s_branch .LBB180_3
.LBB180_42:                             ;   in Loop: Header=BB180_3 Depth=1
	v_lshl_add_u64 v[4:5], v[24:25], 0, v[22:23]
	global_load_ushort v3, v[4:5], off
	v_lshl_add_u64 v[4:5], v[26:27], 0, v[22:23]
	global_load_ushort v12, v[4:5], off
	v_mov_b32_e32 v5, v2
	v_mov_b32_e32 v6, v2
	;; [unrolled: 1-line block ×14, first 2 shown]
	s_waitcnt vmcnt(1)
	v_cvt_f32_f16_e32 v4, v3
	s_waitcnt vmcnt(0)
	v_cvt_f32_f16_e32 v12, v12
	s_or_b64 exec, exec, s[46:47]
	s_and_saveexec_b64 s[46:47], s[6:7]
	s_cbranch_execz .LBB180_32
.LBB180_43:                             ;   in Loop: Header=BB180_3 Depth=1
	v_lshl_add_u64 v[56:57], v[52:53], 0, v[22:23]
	global_load_ushort v3, v[56:57], off
	v_lshl_add_u64 v[56:57], v[54:55], 0, v[22:23]
	global_load_ushort v13, v[56:57], off
	s_waitcnt vmcnt(1)
	v_cvt_f32_f16_e32 v5, v3
	s_waitcnt vmcnt(0)
	v_cvt_f32_f16_e32 v13, v13
	s_or_b64 exec, exec, s[46:47]
	s_and_saveexec_b64 s[46:47], s[6:7]
	s_cbranch_execz .LBB180_33
.LBB180_44:                             ;   in Loop: Header=BB180_3 Depth=1
	v_lshl_add_u64 v[56:57], v[48:49], 0, v[22:23]
	global_load_ushort v3, v[56:57], off
	v_lshl_add_u64 v[56:57], v[50:51], 0, v[22:23]
	global_load_ushort v14, v[56:57], off
	s_waitcnt vmcnt(1)
	v_cvt_f32_f16_e32 v6, v3
	s_waitcnt vmcnt(0)
	v_cvt_f32_f16_e32 v14, v14
	s_or_b64 exec, exec, s[46:47]
	s_and_saveexec_b64 s[46:47], s[6:7]
	s_cbranch_execz .LBB180_34
.LBB180_45:                             ;   in Loop: Header=BB180_3 Depth=1
	v_lshl_add_u64 v[56:57], v[44:45], 0, v[22:23]
	global_load_ushort v3, v[56:57], off
	v_lshl_add_u64 v[56:57], v[46:47], 0, v[22:23]
	global_load_ushort v15, v[56:57], off
	s_waitcnt vmcnt(1)
	v_cvt_f32_f16_e32 v7, v3
	s_waitcnt vmcnt(0)
	v_cvt_f32_f16_e32 v15, v15
	s_or_b64 exec, exec, s[46:47]
	s_and_saveexec_b64 s[46:47], s[6:7]
	s_cbranch_execz .LBB180_35
.LBB180_46:                             ;   in Loop: Header=BB180_3 Depth=1
	v_lshl_add_u64 v[56:57], v[40:41], 0, v[22:23]
	global_load_ushort v3, v[56:57], off
	v_lshl_add_u64 v[56:57], v[42:43], 0, v[22:23]
	global_load_ushort v16, v[56:57], off
	s_waitcnt vmcnt(1)
	v_cvt_f32_f16_e32 v8, v3
	s_waitcnt vmcnt(0)
	v_cvt_f32_f16_e32 v16, v16
	s_or_b64 exec, exec, s[46:47]
	s_and_saveexec_b64 s[46:47], s[6:7]
	s_cbranch_execz .LBB180_36
.LBB180_47:                             ;   in Loop: Header=BB180_3 Depth=1
	v_lshl_add_u64 v[56:57], v[36:37], 0, v[22:23]
	global_load_ushort v3, v[56:57], off
	v_lshl_add_u64 v[56:57], v[38:39], 0, v[22:23]
	global_load_ushort v17, v[56:57], off
	s_waitcnt vmcnt(1)
	v_cvt_f32_f16_e32 v9, v3
	s_waitcnt vmcnt(0)
	v_cvt_f32_f16_e32 v17, v17
	s_or_b64 exec, exec, s[46:47]
	s_and_saveexec_b64 s[46:47], s[6:7]
	s_cbranch_execz .LBB180_37
.LBB180_48:                             ;   in Loop: Header=BB180_3 Depth=1
	v_lshl_add_u64 v[56:57], v[32:33], 0, v[22:23]
	global_load_ushort v3, v[56:57], off
	v_lshl_add_u64 v[56:57], v[34:35], 0, v[22:23]
	global_load_ushort v18, v[56:57], off
	s_waitcnt vmcnt(1)
	v_cvt_f32_f16_e32 v10, v3
	s_waitcnt vmcnt(0)
	v_cvt_f32_f16_e32 v18, v18
	s_or_b64 exec, exec, s[46:47]
	s_and_saveexec_b64 s[46:47], s[6:7]
	s_cbranch_execnz .LBB180_38
	s_branch .LBB180_39
.LBB180_49:
                                        ; implicit-def: $vgpr3
	s_branch .LBB180_51
.LBB180_50:
	s_cbranch_execnz .LBB180_83
.LBB180_51:
	s_and_b64 vcc, exec, s[4:5]
	v_mov_b32_e32 v3, 0
	s_cbranch_vccnz .LBB180_83
; %bb.52:
	v_mov_b32_e32 v2, 0
	v_bfe_u32 v86, v0, 10, 10
	v_lshlrev_b32_e32 v6, 4, v86
	v_mov_b32_e32 v7, v2
	v_lshl_add_u64 v[6:7], s[18:19], 1, v[6:7]
	v_lshl_add_u64 v[8:9], v[6:7], 0, 2
	v_mov_b64_e32 v[10:11], s[12:13]
	v_lshl_add_u64 v[12:13], v[6:7], 0, 4
	v_lshl_add_u64 v[14:15], v[6:7], 0, 6
	;; [unrolled: 1-line block ×6, first 2 shown]
	v_mad_u64_u32 v[22:23], s[4:5], s10, v8, v[10:11]
	v_mad_u64_u32 v[24:25], s[4:5], s10, v12, v[10:11]
	v_mad_u64_u32 v[26:27], s[4:5], s10, v14, v[10:11]
	v_mad_u64_u32 v[28:29], s[4:5], s10, v16, v[10:11]
	v_mad_u64_u32 v[30:31], s[4:5], s10, v18, v[10:11]
	v_mad_u64_u32 v[32:33], s[4:5], s10, v46, v[10:11]
	v_mad_u64_u32 v[34:35], s[4:5], s10, v6, v[10:11]
	v_mov_b64_e32 v[10:11], s[14:15]
	v_mul_lo_u32 v9, s10, v9
	v_mul_lo_u32 v38, s11, v8
	v_mad_u64_u32 v[36:37], s[4:5], s10, v8, v[10:11]
	v_add3_u32 v23, v38, v23, v9
	v_mul_lo_u32 v13, s10, v13
	v_mul_lo_u32 v40, s11, v12
	v_add3_u32 v37, v38, v37, v9
	v_mad_u64_u32 v[38:39], s[4:5], s10, v12, v[10:11]
	v_add3_u32 v25, v40, v25, v13
	v_mul_lo_u32 v15, s10, v15
	v_mul_lo_u32 v42, s11, v14
	v_add3_u32 v39, v40, v39, v13
	;; [unrolled: 5-line block ×3, first 2 shown]
	v_mad_u64_u32 v[42:43], s[4:5], s10, v16, v[10:11]
	v_lshlrev_b32_e32 v20, 3, v86
	v_mov_b32_e32 v21, v2
	v_add3_u32 v29, v44, v29, v17
	v_mul_lo_u32 v19, s10, v19
	v_mul_lo_u32 v48, s11, v18
	v_mul_lo_u32 v49, s10, v47
	v_mul_lo_u32 v51, s11, v46
	v_add3_u32 v43, v44, v43, v17
	v_mad_u64_u32 v[44:45], s[4:5], s10, v18, v[10:11]
	v_mad_u64_u32 v[46:47], s[4:5], s10, v46, v[10:11]
	v_lshl_add_u64 v[4:5], v[20:21], 0, s[18:19]
	v_add3_u32 v31, v48, v31, v19
	v_add3_u32 v33, v51, v33, v49
	v_mul_lo_u32 v7, s10, v7
	v_mul_lo_u32 v8, s11, v6
	v_add3_u32 v45, v48, v45, v19
	v_add3_u32 v47, v51, v47, v49
	v_mad_u64_u32 v[48:49], s[4:5], s10, v6, v[10:11]
	v_add3_u32 v35, v8, v35, v7
	v_add3_u32 v49, v8, v49, v7
	v_lshl_add_u64 v[6:7], v[4:5], 0, 7
	v_mul_lo_u32 v8, s11, v6
	v_mul_lo_u32 v9, s10, v7
	v_mad_u64_u32 v[6:7], s[4:5], s10, v6, 0
	v_add3_u32 v7, v7, v9, v8
	v_lshl_add_u64 v[8:9], v[4:5], 0, 6
	v_mul_lo_u32 v10, s11, v8
	v_mul_lo_u32 v11, s10, v9
	v_mad_u64_u32 v[8:9], s[4:5], s10, v8, 0
	;; [unrolled: 5-line block ×5, first 2 shown]
	v_add3_u32 v15, v15, v17, v16
	v_lshl_add_u64 v[16:17], v[4:5], 0, 2
	v_mul_lo_u32 v50, s10, v5
	v_mul_lo_u32 v5, s11, v16
	;; [unrolled: 1-line block ×3, first 2 shown]
	v_mad_u64_u32 v[16:17], s[4:5], s10, v16, 0
	v_add3_u32 v17, v17, v18, v5
	v_mov_b64_e32 v[18:19], s[10:11]
	v_mul_lo_u32 v3, s11, v4
	v_mad_u64_u32 v[18:19], s[4:5], s10, v4, v[18:19]
	v_mad_u64_u32 v[4:5], s[4:5], s10, v4, 0
	s_load_dword s3, s[0:1], 0x44
	v_add3_u32 v5, v5, v50, v3
	v_lshlrev_b64 v[4:5], 1, v[4:5]
	v_lshl_add_u64 v[52:53], s[12:13], 0, v[4:5]
	v_lshl_add_u64 v[54:55], s[14:15], 0, v[4:5]
	v_lshlrev_b64 v[4:5], 1, v[6:7]
	v_lshl_add_u64 v[56:57], s[12:13], 0, v[4:5]
	v_lshl_add_u64 v[58:59], s[14:15], 0, v[4:5]
	v_lshlrev_b64 v[4:5], 1, v[8:9]
	s_add_u32 s4, s0, 64
	v_lshl_add_u64 v[60:61], s[12:13], 0, v[4:5]
	v_lshl_add_u64 v[62:63], s[14:15], 0, v[4:5]
	v_lshlrev_b64 v[4:5], 1, v[10:11]
	s_addc_u32 s5, s1, 0
	s_waitcnt lgkmcnt(0)
	s_lshl_b32 s3, s3, 6
	v_lshl_add_u64 v[64:65], s[12:13], 0, v[4:5]
	v_lshl_add_u64 v[66:67], s[14:15], 0, v[4:5]
	v_lshlrev_b64 v[4:5], 1, v[12:13]
	s_mul_i32 s6, s11, s3
	s_mul_hi_u32 s7, s10, s3
	v_lshl_add_u64 v[68:69], s[12:13], 0, v[4:5]
	v_lshl_add_u64 v[70:71], s[14:15], 0, v[4:5]
	v_lshlrev_b64 v[4:5], 1, v[14:15]
	v_add3_u32 v19, v3, v19, v50
	s_add_i32 s7, s7, s6
	s_mul_i32 s6, s10, s3
	v_lshl_add_u64 v[72:73], s[12:13], 0, v[4:5]
	v_lshl_add_u64 v[74:75], s[14:15], 0, v[4:5]
	v_lshlrev_b64 v[4:5], 1, v[16:17]
	v_mbcnt_lo_u32_b32 v3, -1, 0
	v_and_b32_e32 v1, 0x3ff, v0
	s_lshl_b64 s[6:7], s[6:7], 1
	v_lshl_add_u64 v[76:77], s[12:13], 0, v[4:5]
	v_lshl_add_u64 v[78:79], s[14:15], 0, v[4:5]
	v_lshlrev_b64 v[4:5], 1, v[18:19]
	v_mbcnt_hi_u32_b32 v3, -1, v3
	v_add_u32_e32 v50, s33, v1
	v_mov_b32_e32 v51, v2
	s_add_u32 s20, s18, 63
	v_lshl_add_u64 v[80:81], s[12:13], 0, v[4:5]
	v_lshl_add_u64 v[82:83], s[14:15], 0, v[4:5]
	s_movk_i32 s12, 0xffc1
	s_movk_i32 s14, 0xffc2
	;; [unrolled: 1-line block ×8, first 2 shown]
	v_lshlrev_b32_e32 v3, 2, v3
	v_lshlrev_b64 v[50:51], 1, v[50:51]
	s_addc_u32 s21, 0, 0
	s_mov_b32 s13, -1
	s_mov_b32 s15, -1
	;; [unrolled: 1-line block ×8, first 2 shown]
	v_and_b32_e32 v87, 0x100, v3
	v_mov_b32_e32 v88, 0
.LBB180_53:                             ; =>This Inner Loop Header: Depth=1
	v_mov_b64_e32 v[4:5], s[8:9]
	v_cmp_ge_i64_e32 vcc, s[20:21], v[4:5]
	v_lshl_add_u64 v[84:85], v[20:21], 0, s[20:21]
	s_mov_b64 s[36:37], -1
                                        ; implicit-def: $vgpr3
	s_cbranch_vccz .LBB180_75
; %bb.54:                               ;   in Loop: Header=BB180_53 Depth=1
	s_load_dword s33, s[4:5], 0xc
	v_mov_b32_e32 v89, 0
	s_waitcnt lgkmcnt(0)
	s_and_b32 s33, s33, 0xffff
	v_mad_u32_u24 v3, v86, s33, v1
	v_and_b32_e32 v4, 63, v3
	v_cmp_gt_u32_e32 vcc, 8, v4
	s_and_saveexec_b64 s[36:37], vcc
	s_cbranch_execz .LBB180_58
; %bb.55:                               ;   in Loop: Header=BB180_53 Depth=1
	v_mov_b32_e32 v5, v2
	v_lshl_add_u64 v[4:5], v[84:85], 0, v[4:5]
	v_lshl_add_u64 v[4:5], v[4:5], 0, s[12:13]
	v_cmp_gt_i64_e32 vcc, s[8:9], v[4:5]
	v_mov_b32_e32 v89, 0
	s_and_saveexec_b64 s[38:39], vcc
	s_cbranch_execz .LBB180_57
; %bb.56:                               ;   in Loop: Header=BB180_53 Depth=1
	v_lshl_add_u64 v[4:5], v[4:5], 2, s[16:17]
	global_load_dword v89, v[4:5], off
.LBB180_57:                             ;   in Loop: Header=BB180_53 Depth=1
	s_or_b64 exec, exec, s[38:39]
.LBB180_58:                             ;   in Loop: Header=BB180_53 Depth=1
	s_or_b64 exec, exec, s[36:37]
	v_lshl_add_u64 v[4:5], v[84:85], 0, s[12:13]
	v_mov_b32_e32 v8, v2
	v_mov_b32_e32 v9, v2
	v_cmp_gt_i64_e32 vcc, s[8:9], v[4:5]
	v_mov_b32_e32 v3, v2
	v_mov_b32_e32 v4, v2
	;; [unrolled: 1-line block ×5, first 2 shown]
	v_mov_b64_e32 v[18:19], v[8:9]
	v_mov_b64_e32 v[16:17], v[6:7]
	;; [unrolled: 1-line block ×8, first 2 shown]
	s_and_saveexec_b64 s[36:37], vcc
	s_cbranch_execz .LBB180_60
; %bb.59:                               ;   in Loop: Header=BB180_53 Depth=1
	v_lshl_add_u64 v[4:5], v[52:53], 0, v[50:51]
	global_load_ushort v3, v[4:5], off
	v_lshl_add_u64 v[4:5], v[54:55], 0, v[50:51]
	global_load_ushort v12, v[4:5], off
	v_mov_b32_e32 v5, v2
	v_mov_b32_e32 v6, v2
	;; [unrolled: 1-line block ×14, first 2 shown]
	s_waitcnt vmcnt(1)
	v_cvt_f32_f16_e32 v4, v3
	s_waitcnt vmcnt(0)
	v_cvt_f32_f16_e32 v12, v12
.LBB180_60:                             ;   in Loop: Header=BB180_53 Depth=1
	s_or_b64 exec, exec, s[36:37]
	v_lshl_add_u64 v[90:91], v[84:85], 0, s[14:15]
	v_cmp_gt_i64_e32 vcc, s[8:9], v[90:91]
	s_and_saveexec_b64 s[36:37], vcc
	s_cbranch_execz .LBB180_62
; %bb.61:                               ;   in Loop: Header=BB180_53 Depth=1
	v_lshl_add_u64 v[90:91], v[80:81], 0, v[50:51]
	global_load_ushort v3, v[90:91], off
	v_lshl_add_u64 v[90:91], v[82:83], 0, v[50:51]
	global_load_ushort v13, v[90:91], off
	s_waitcnt vmcnt(1)
	v_cvt_f32_f16_e32 v5, v3
	s_waitcnt vmcnt(0)
	v_cvt_f32_f16_e32 v13, v13
.LBB180_62:                             ;   in Loop: Header=BB180_53 Depth=1
	s_or_b64 exec, exec, s[36:37]
	v_lshl_add_u64 v[90:91], v[84:85], 0, s[22:23]
	v_cmp_gt_i64_e32 vcc, s[8:9], v[90:91]
	s_and_saveexec_b64 s[36:37], vcc
	s_cbranch_execz .LBB180_64
; %bb.63:                               ;   in Loop: Header=BB180_53 Depth=1
	v_lshl_add_u64 v[90:91], v[76:77], 0, v[50:51]
	global_load_ushort v3, v[90:91], off
	v_lshl_add_u64 v[90:91], v[78:79], 0, v[50:51]
	global_load_ushort v14, v[90:91], off
	s_waitcnt vmcnt(1)
	v_cvt_f32_f16_e32 v6, v3
	s_waitcnt vmcnt(0)
	v_cvt_f32_f16_e32 v14, v14
.LBB180_64:                             ;   in Loop: Header=BB180_53 Depth=1
	;; [unrolled: 15-line block ×7, first 2 shown]
	s_or_b64 exec, exec, s[36:37]
	s_waitcnt vmcnt(0)
	ds_bpermute_b32 v90, v87, v89
	ds_bpermute_b32 v91, v87, v89 offset:4
	v_pk_mul_f32 v[6:7], v[14:15], v[6:7]
	ds_bpermute_b32 v14, v87, v89 offset:8
	ds_bpermute_b32 v15, v87, v89 offset:12
	v_pk_mul_f32 v[4:5], v[12:13], v[4:5]
	ds_bpermute_b32 v12, v87, v89 offset:24
	s_waitcnt lgkmcnt(3)
	v_pk_mul_f32 v[4:5], v[4:5], v[90:91]
	ds_bpermute_b32 v13, v87, v89 offset:28
	v_add_f32_e32 v3, v88, v4
	v_add_f32_e32 v3, v3, v5
	s_waitcnt lgkmcnt(2)
	v_pk_mul_f32 v[4:5], v[6:7], v[14:15]
	ds_bpermute_b32 v6, v87, v89 offset:16
	ds_bpermute_b32 v7, v87, v89 offset:20
	v_pk_mul_f32 v[8:9], v[16:17], v[8:9]
	v_add_f32_e32 v3, v3, v4
	v_add_f32_e32 v3, v3, v5
	v_pk_mul_f32 v[10:11], v[18:19], v[10:11]
	s_waitcnt lgkmcnt(0)
	v_pk_mul_f32 v[4:5], v[8:9], v[6:7]
	s_mov_b64 s[36:37], 0
	v_add_f32_e32 v3, v3, v4
	v_add_f32_e32 v3, v3, v5
	v_pk_mul_f32 v[4:5], v[10:11], v[12:13]
	s_nop 0
	v_add_f32_e32 v3, v3, v4
	v_add_f32_e32 v3, v3, v5
.LBB180_75:                             ;   in Loop: Header=BB180_53 Depth=1
	s_and_b64 vcc, exec, s[36:37]
	s_cbranch_vccz .LBB180_81
; %bb.76:                               ;   in Loop: Header=BB180_53 Depth=1
	s_load_dword s33, s[4:5], 0x0
	s_waitcnt lgkmcnt(0)
	s_cmp_lt_u32 s2, s33
	s_cselect_b32 s33, 12, 18
	s_add_u32 s36, s4, s33
	s_addc_u32 s37, s5, 0
	global_load_ushort v3, v2, s[36:37]
	s_waitcnt vmcnt(0)
	v_mad_u32_u24 v3, v86, v3, v1
	v_and_b32_e32 v4, 63, v3
	v_cmp_gt_u32_e32 vcc, 8, v4
	v_mov_b32_e32 v3, 0
	s_and_saveexec_b64 s[36:37], vcc
	s_cbranch_execz .LBB180_80
; %bb.77:                               ;   in Loop: Header=BB180_53 Depth=1
	v_mov_b32_e32 v5, v2
	v_lshl_add_u64 v[4:5], v[84:85], 0, v[4:5]
	v_lshl_add_u64 v[4:5], v[4:5], 0, s[12:13]
	v_cmp_gt_i64_e32 vcc, s[8:9], v[4:5]
	v_mov_b32_e32 v3, 0
	s_and_saveexec_b64 s[38:39], vcc
	s_cbranch_execz .LBB180_79
; %bb.78:                               ;   in Loop: Header=BB180_53 Depth=1
	v_lshl_add_u64 v[4:5], v[4:5], 2, s[16:17]
	global_load_dword v3, v[4:5], off
.LBB180_79:                             ;   in Loop: Header=BB180_53 Depth=1
	s_or_b64 exec, exec, s[38:39]
.LBB180_80:                             ;   in Loop: Header=BB180_53 Depth=1
	s_or_b64 exec, exec, s[36:37]
	v_lshl_add_u64 v[4:5], v[52:53], 0, v[50:51]
	global_load_ushort v12, v[4:5], off
	v_lshl_add_u64 v[4:5], v[54:55], 0, v[50:51]
	global_load_ushort v14, v[4:5], off
	;; [unrolled: 2-line block ×12, first 2 shown]
	v_lshl_add_u64 v[6:7], v[34:35], 0, v[50:51]
	v_lshl_add_u64 v[4:5], v[32:33], 0, v[50:51]
	global_load_ushort v93, v[6:7], off
	v_lshl_add_u64 v[6:7], v[48:49], 0, v[50:51]
	global_load_ushort v92, v[4:5], off
	;; [unrolled: 2-line block ×3, first 2 shown]
	global_load_ushort v96, v[4:5], off
	s_waitcnt vmcnt(16)
	ds_bpermute_b32 v4, v87, v3
	ds_bpermute_b32 v5, v87, v3 offset:4
	ds_bpermute_b32 v6, v87, v3 offset:8
	;; [unrolled: 1-line block ×7, first 2 shown]
	s_waitcnt vmcnt(15)
	v_cvt_f32_f16_e32 v12, v12
	s_waitcnt vmcnt(14)
	v_cvt_f32_f16_e32 v14, v14
	s_waitcnt vmcnt(13)
	v_cvt_f32_f16_e32 v13, v13
	s_waitcnt vmcnt(12)
	v_cvt_f32_f16_e32 v15, v15
	s_waitcnt vmcnt(11)
	v_cvt_f32_f16_e32 v16, v16
	s_waitcnt vmcnt(10)
	v_cvt_f32_f16_e32 v18, v18
	v_pk_mul_f32 v[12:13], v[12:13], v[14:15]
	s_waitcnt vmcnt(9)
	v_cvt_f32_f16_e32 v17, v17
	s_waitcnt lgkmcnt(6)
	v_pk_mul_f32 v[4:5], v[12:13], v[4:5]
	s_waitcnt vmcnt(8)
	v_cvt_f32_f16_e32 v19, v19
	v_add_f32_e32 v3, v88, v4
	s_waitcnt vmcnt(7)
	v_cvt_f32_f16_e32 v84, v84
	v_add_f32_e32 v3, v3, v5
	v_pk_mul_f32 v[14:15], v[16:17], v[18:19]
	s_waitcnt vmcnt(5)
	v_cvt_f32_f16_e32 v85, v85
	s_waitcnt lgkmcnt(4)
	v_pk_mul_f32 v[6:7], v[14:15], v[6:7]
	s_waitcnt vmcnt(4)
	v_cvt_f32_f16_e32 v91, v90
	v_cvt_f32_f16_e32 v90, v89
	v_add_f32_e32 v3, v3, v6
	s_waitcnt vmcnt(3)
	v_cvt_f32_f16_e32 v93, v93
	v_add_f32_e32 v3, v3, v7
	s_waitcnt vmcnt(2)
	v_cvt_f32_f16_e32 v92, v92
	s_waitcnt vmcnt(1)
	v_cvt_f32_f16_e32 v95, v94
	;; [unrolled: 2-line block ×3, first 2 shown]
	v_pk_mul_f32 v[16:17], v[84:85], v[90:91]
	v_pk_mul_f32 v[18:19], v[92:93], v[94:95]
	s_waitcnt lgkmcnt(2)
	v_pk_mul_f32 v[8:9], v[16:17], v[8:9]
	s_waitcnt lgkmcnt(0)
	v_pk_mul_f32 v[4:5], v[18:19], v[10:11]
	v_add_f32_e32 v3, v3, v8
	v_add_f32_e32 v3, v3, v9
	;; [unrolled: 1-line block ×4, first 2 shown]
.LBB180_81:                             ;   in Loop: Header=BB180_53 Depth=1
	s_add_u32 s18, s18, s3
	s_addc_u32 s19, s19, 0
	v_mov_b64_e32 v[4:5], s[8:9]
	s_add_u32 s20, s20, s3
	v_cmp_ge_i64_e32 vcc, s[18:19], v[4:5]
	v_lshl_add_u64 v[52:53], v[52:53], 0, s[6:7]
	v_lshl_add_u64 v[54:55], v[54:55], 0, s[6:7]
	s_addc_u32 s21, s21, 0
	v_lshl_add_u64 v[22:23], v[22:23], 0, s[6:7]
	v_lshl_add_u64 v[24:25], v[24:25], 0, s[6:7]
	;; [unrolled: 1-line block ×28, first 2 shown]
	s_cbranch_vccnz .LBB180_83
; %bb.82:                               ;   in Loop: Header=BB180_53 Depth=1
	v_mov_b32_e32 v88, v3
	s_branch .LBB180_53
.LBB180_83:
	v_and_b32_e32 v1, 0x3ff, v0
	v_bfe_u32 v0, v0, 10, 10
	v_mad_u32_u24 v2, v0, 33, v1
	v_lshl_add_u32 v4, v2, 2, 0
	v_sub_u32_e32 v5, v2, v0
	s_movk_i32 s3, 0x800
	ds_write_b32 v4, v3
	v_mov_b32_e32 v3, 0
	v_cmp_gt_u32_e32 vcc, s3, v5
	ds_write_b32 v4, v3 offset:1056
	s_waitcnt lgkmcnt(0)
	s_barrier
	s_and_saveexec_b64 s[4:5], vcc
	s_cbranch_execz .LBB180_123
; %bb.84:
	s_load_dwordx2 s[4:5], s[0:1], 0x30
	v_and_b32_e32 v2, 63, v5
	v_lshrrev_b32_e32 v0, 6, v5
	v_cmp_gt_u32_e32 vcc, 8, v2
	v_mul_u32_u24_e32 v4, 33, v2
                                        ; implicit-def: $vgpr2
	s_and_saveexec_b64 s[0:1], vcc
; %bb.85:
	v_lshlrev_b32_e32 v2, 2, v0
	v_lshlrev_b32_e32 v3, 2, v4
	v_add3_u32 v2, 0, v2, v3
	ds_read_b32 v2, v2
; %bb.86:
	s_or_b64 exec, exec, s[0:1]
	v_mbcnt_lo_u32_b32 v3, -1, 0
	v_mbcnt_hi_u32_b32 v3, -1, v3
	v_and_b32_e32 v6, 64, v3
	v_add_u32_e32 v8, 64, v6
	v_xor_b32_e32 v6, 4, v3
	v_cmp_lt_i32_e64 s[0:1], v6, v8
	v_xor_b32_e32 v9, 2, v3
	v_xor_b32_e32 v10, 1, v3
	v_cndmask_b32_e64 v6, v3, v6, s[0:1]
	v_lshlrev_b32_e32 v6, 2, v6
	s_waitcnt lgkmcnt(0)
	ds_bpermute_b32 v7, v6, v2
	v_cmp_lt_i32_e64 s[0:1], v9, v8
	s_mov_b32 s3, 0
	s_lshl_b64 s[6:7], s[2:3], 5
	s_cmp_eq_u64 s[4:5], 0
	s_waitcnt lgkmcnt(0)
	v_add_f32_e32 v2, v2, v7
	v_cndmask_b32_e64 v7, v3, v9, s[0:1]
	v_lshlrev_b32_e32 v7, 2, v7
	ds_bpermute_b32 v9, v7, v2
	v_cmp_lt_i32_e64 s[0:1], v10, v8
	s_cselect_b64 s[8:9], -1, 0
	s_waitcnt lgkmcnt(0)
	v_add_f32_e32 v2, v2, v9
	v_cndmask_b32_e64 v3, v3, v10, s[0:1]
	v_lshlrev_b32_e32 v8, 2, v3
	ds_bpermute_b32 v3, v8, v2
	v_cmp_ne_u32_e64 s[0:1], 0, v1
	s_waitcnt lgkmcnt(0)
	v_add_f32_e32 v9, v2, v3
	v_or_b32_e32 v2, s6, v0
	v_mov_b32_e32 v3, s7
	v_cmp_le_i64_e64 s[2:3], s[10:11], v[2:3]
	s_or_b64 s[2:3], s[0:1], s[2:3]
	s_nor_b64 s[12:13], s[8:9], s[2:3]
	s_and_saveexec_b64 s[2:3], s[12:13]
	s_cbranch_execz .LBB180_88
; %bb.87:
	v_cvt_f16_f32_e32 v1, v9
	v_lshl_add_u64 v[2:3], v[2:3], 1, s[4:5]
	global_store_short v[2:3], v1, off
.LBB180_88:
	s_or_b64 exec, exec, s[2:3]
	s_movk_i32 s2, 0x700
	v_cmp_gt_u32_e64 s[2:3], s2, v5
	s_and_b64 exec, exec, s[2:3]
	s_cbranch_execz .LBB180_123
; %bb.89:
	v_mov_b32_e32 v1, 0
	s_and_saveexec_b64 s[2:3], vcc
; %bb.90:
	v_lshlrev_b32_e32 v2, 2, v0
	v_lshlrev_b32_e32 v3, 2, v4
	v_add3_u32 v2, 0, v2, v3
	ds_read_b32 v9, v2 offset:16
; %bb.91:
	s_or_b64 exec, exec, s[2:3]
	s_waitcnt lgkmcnt(0)
	ds_bpermute_b32 v2, v6, v9
	s_waitcnt lgkmcnt(0)
	v_add_f32_e32 v3, v9, v2
	ds_bpermute_b32 v9, v7, v3
	v_add_u32_e32 v2, 4, v0
	s_waitcnt lgkmcnt(0)
	v_add_f32_e32 v9, v3, v9
	ds_bpermute_b32 v10, v8, v9
	v_mov_b32_e32 v3, v1
	v_lshl_add_u64 v[2:3], s[6:7], 0, v[2:3]
	v_cmp_le_i64_e64 s[2:3], s[10:11], v[2:3]
	s_or_b64 s[2:3], s[0:1], s[2:3]
	s_waitcnt lgkmcnt(0)
	v_add_f32_e32 v2, v9, v10
	s_nor_b64 s[12:13], s[8:9], s[2:3]
	s_and_saveexec_b64 s[2:3], s[12:13]
	s_cbranch_execz .LBB180_93
; %bb.92:
	v_cvt_f16_f32_e32 v3, v2
	v_lshl_add_u64 v[10:11], s[6:7], 0, v[0:1]
	v_lshl_add_u64 v[10:11], v[10:11], 1, s[4:5]
	global_store_short v[10:11], v3, off offset:8
.LBB180_93:
	s_or_b64 exec, exec, s[2:3]
	s_movk_i32 s2, 0x600
	v_cmp_gt_u32_e64 s[2:3], s2, v5
	s_and_b64 exec, exec, s[2:3]
	s_cbranch_execz .LBB180_123
; %bb.94:
	s_and_saveexec_b64 s[2:3], vcc
; %bb.95:
	v_lshlrev_b32_e32 v2, 2, v0
	v_lshlrev_b32_e32 v3, 2, v4
	v_add3_u32 v2, 0, v2, v3
	ds_read_b32 v2, v2 offset:32
; %bb.96:
	s_or_b64 exec, exec, s[2:3]
	s_waitcnt lgkmcnt(0)
	ds_bpermute_b32 v3, v6, v2
	s_waitcnt lgkmcnt(0)
	v_add_f32_e32 v3, v2, v3
	ds_bpermute_b32 v9, v7, v3
	v_add_u32_e32 v2, 8, v0
	s_waitcnt lgkmcnt(0)
	v_add_f32_e32 v9, v3, v9
	ds_bpermute_b32 v10, v8, v9
	v_mov_b32_e32 v3, 0
	v_lshl_add_u64 v[2:3], s[6:7], 0, v[2:3]
	v_cmp_le_i64_e64 s[2:3], s[10:11], v[2:3]
	s_or_b64 s[2:3], s[0:1], s[2:3]
	s_waitcnt lgkmcnt(0)
	v_add_f32_e32 v2, v9, v10
	s_nor_b64 s[12:13], s[8:9], s[2:3]
	s_and_saveexec_b64 s[2:3], s[12:13]
	s_cbranch_execz .LBB180_98
; %bb.97:
	v_cvt_f16_f32_e32 v3, v2
	v_lshl_add_u64 v[10:11], s[6:7], 0, v[0:1]
	v_lshl_add_u64 v[10:11], v[10:11], 1, s[4:5]
	global_store_short v[10:11], v3, off offset:16
.LBB180_98:
	s_or_b64 exec, exec, s[2:3]
	s_movk_i32 s2, 0x500
	v_cmp_gt_u32_e64 s[2:3], s2, v5
	s_and_b64 exec, exec, s[2:3]
	s_cbranch_execz .LBB180_123
; %bb.99:
	;; [unrolled: 38-line block ×3, first 2 shown]
	s_and_saveexec_b64 s[2:3], vcc
; %bb.105:
	v_lshlrev_b32_e32 v2, 2, v0
	v_lshlrev_b32_e32 v3, 2, v4
	v_add3_u32 v2, 0, v2, v3
	ds_read_b32 v2, v2 offset:64
; %bb.106:
	s_or_b64 exec, exec, s[2:3]
	s_waitcnt lgkmcnt(0)
	ds_bpermute_b32 v3, v6, v2
	v_add_u32_e32 v9, 16, v0
	s_waitcnt lgkmcnt(0)
	v_add_f32_e32 v2, v2, v3
	ds_bpermute_b32 v3, v7, v2
	s_waitcnt lgkmcnt(0)
	v_add_f32_e32 v10, v2, v3
	ds_bpermute_b32 v11, v8, v10
	v_mov_b32_e32 v3, s7
	v_or_b32_e32 v2, s6, v9
	v_cmp_le_i64_e64 s[2:3], s[10:11], v[2:3]
	s_or_b64 s[2:3], s[0:1], s[2:3]
	s_waitcnt lgkmcnt(0)
	v_add_f32_e32 v2, v10, v11
	s_nor_b64 s[12:13], s[8:9], s[2:3]
	s_and_saveexec_b64 s[2:3], s[12:13]
	s_cbranch_execz .LBB180_108
; %bb.107:
	v_cvt_f16_f32_e32 v3, v2
	v_lshl_add_u64 v[10:11], s[6:7], 0, v[0:1]
	v_lshl_add_u64 v[10:11], v[10:11], 1, s[4:5]
	global_store_short v[10:11], v3, off offset:32
.LBB180_108:
	s_or_b64 exec, exec, s[2:3]
	s_movk_i32 s2, 0x300
	v_cmp_gt_u32_e64 s[2:3], s2, v5
	s_and_b64 exec, exec, s[2:3]
	s_cbranch_execz .LBB180_123
; %bb.109:
	s_and_saveexec_b64 s[2:3], vcc
; %bb.110:
	v_lshlrev_b32_e32 v2, 2, v0
	v_lshlrev_b32_e32 v3, 2, v4
	v_add3_u32 v2, 0, v2, v3
	ds_read_b32 v2, v2 offset:80
; %bb.111:
	s_or_b64 exec, exec, s[2:3]
	s_waitcnt lgkmcnt(0)
	ds_bpermute_b32 v3, v6, v2
	s_waitcnt lgkmcnt(0)
	v_add_f32_e32 v3, v2, v3
	ds_bpermute_b32 v9, v7, v3
	v_add_u32_e32 v2, 20, v0
	s_waitcnt lgkmcnt(0)
	v_add_f32_e32 v9, v3, v9
	ds_bpermute_b32 v10, v8, v9
	v_mov_b32_e32 v3, 0
	v_lshl_add_u64 v[2:3], s[6:7], 0, v[2:3]
	v_cmp_le_i64_e64 s[2:3], s[10:11], v[2:3]
	s_or_b64 s[2:3], s[0:1], s[2:3]
	s_waitcnt lgkmcnt(0)
	v_add_f32_e32 v2, v9, v10
	s_nor_b64 s[12:13], s[8:9], s[2:3]
	s_and_saveexec_b64 s[2:3], s[12:13]
	s_cbranch_execz .LBB180_113
; %bb.112:
	v_cvt_f16_f32_e32 v3, v2
	v_lshl_add_u64 v[10:11], s[6:7], 0, v[0:1]
	v_lshl_add_u64 v[10:11], v[10:11], 1, s[4:5]
	global_store_short v[10:11], v3, off offset:40
.LBB180_113:
	s_or_b64 exec, exec, s[2:3]
	s_movk_i32 s2, 0x200
	v_cmp_gt_u32_e64 s[2:3], s2, v5
	s_and_b64 exec, exec, s[2:3]
	s_cbranch_execz .LBB180_123
; %bb.114:
	s_and_saveexec_b64 s[2:3], vcc
; %bb.115:
	v_lshlrev_b32_e32 v2, 2, v0
	v_lshlrev_b32_e32 v3, 2, v4
	v_add3_u32 v2, 0, v2, v3
	ds_read_b32 v2, v2 offset:96
; %bb.116:
	s_or_b64 exec, exec, s[2:3]
	s_waitcnt lgkmcnt(0)
	ds_bpermute_b32 v3, v6, v2
	v_add_u32_e32 v9, 24, v0
	s_waitcnt lgkmcnt(0)
	v_add_f32_e32 v2, v2, v3
	ds_bpermute_b32 v3, v7, v2
	s_waitcnt lgkmcnt(0)
	v_add_f32_e32 v10, v2, v3
	ds_bpermute_b32 v11, v8, v10
	v_mov_b32_e32 v3, s7
	v_or_b32_e32 v2, s6, v9
	v_cmp_le_i64_e64 s[2:3], s[10:11], v[2:3]
	s_or_b64 s[2:3], s[0:1], s[2:3]
	s_waitcnt lgkmcnt(0)
	v_add_f32_e32 v2, v10, v11
	s_nor_b64 s[12:13], s[8:9], s[2:3]
	s_and_saveexec_b64 s[2:3], s[12:13]
	s_cbranch_execz .LBB180_118
; %bb.117:
	v_cvt_f16_f32_e32 v3, v2
	v_lshl_add_u64 v[10:11], s[6:7], 0, v[0:1]
	v_lshl_add_u64 v[10:11], v[10:11], 1, s[4:5]
	global_store_short v[10:11], v3, off offset:48
.LBB180_118:
	s_or_b64 exec, exec, s[2:3]
	s_movk_i32 s2, 0x100
	v_cmp_gt_u32_e64 s[2:3], s2, v5
	s_and_b64 exec, exec, s[2:3]
	s_cbranch_execz .LBB180_123
; %bb.119:
	s_and_saveexec_b64 s[2:3], vcc
; %bb.120:
	v_lshlrev_b32_e32 v2, 2, v0
	v_lshlrev_b32_e32 v3, 2, v4
	v_add3_u32 v2, 0, v2, v3
	ds_read_b32 v2, v2 offset:112
; %bb.121:
	s_or_b64 exec, exec, s[2:3]
	s_waitcnt lgkmcnt(0)
	ds_bpermute_b32 v3, v6, v2
	v_add_u32_e32 v4, 28, v0
	v_or_b32_e32 v4, s6, v4
	v_mov_b32_e32 v5, s7
	v_cmp_le_i64_e32 vcc, s[10:11], v[4:5]
	s_waitcnt lgkmcnt(0)
	v_add_f32_e32 v2, v2, v3
	ds_bpermute_b32 v3, v7, v2
	s_or_b64 s[0:1], s[0:1], vcc
	s_nor_b64 s[0:1], s[8:9], s[0:1]
	s_waitcnt lgkmcnt(0)
	v_add_f32_e32 v2, v2, v3
	ds_bpermute_b32 v3, v8, v2
	s_and_saveexec_b64 s[2:3], s[0:1]
	s_xor_b64 s[2:3], exec, s[2:3]
	s_cbranch_execz .LBB180_123
; %bb.122:
	s_waitcnt lgkmcnt(0)
	v_add_f32_e32 v2, v2, v3
	v_cvt_f16_f32_e32 v2, v2
	v_lshl_add_u64 v[0:1], s[6:7], 0, v[0:1]
	v_lshl_add_u64 v[0:1], v[0:1], 1, s[4:5]
	global_store_short v[0:1], v2, off offset:56
.LBB180_123:
	s_endpgm
	.section	.rodata,"a",@progbits
	.p2align	6, 0x0
	.amdhsa_kernel _ZN2at6native12_GLOBAL__N_135GammaBetaBackwardCUDAKernelTemplateIN3c104HalfEfLj32ELj8ELj64ELb0ELb0ELb1EEEvllPKT_S7_PKT0_SA_PS5_SB_
		.amdhsa_group_segment_fixed_size 0
		.amdhsa_private_segment_fixed_size 0
		.amdhsa_kernarg_size 320
		.amdhsa_user_sgpr_count 2
		.amdhsa_user_sgpr_dispatch_ptr 0
		.amdhsa_user_sgpr_queue_ptr 0
		.amdhsa_user_sgpr_kernarg_segment_ptr 1
		.amdhsa_user_sgpr_dispatch_id 0
		.amdhsa_user_sgpr_kernarg_preload_length 0
		.amdhsa_user_sgpr_kernarg_preload_offset 0
		.amdhsa_user_sgpr_private_segment_size 0
		.amdhsa_uses_dynamic_stack 0
		.amdhsa_enable_private_segment 0
		.amdhsa_system_sgpr_workgroup_id_x 1
		.amdhsa_system_sgpr_workgroup_id_y 1
		.amdhsa_system_sgpr_workgroup_id_z 0
		.amdhsa_system_sgpr_workgroup_info 0
		.amdhsa_system_vgpr_workitem_id 1
		.amdhsa_next_free_vgpr 97
		.amdhsa_next_free_sgpr 50
		.amdhsa_accum_offset 100
		.amdhsa_reserve_vcc 1
		.amdhsa_float_round_mode_32 0
		.amdhsa_float_round_mode_16_64 0
		.amdhsa_float_denorm_mode_32 3
		.amdhsa_float_denorm_mode_16_64 3
		.amdhsa_dx10_clamp 1
		.amdhsa_ieee_mode 1
		.amdhsa_fp16_overflow 0
		.amdhsa_tg_split 0
		.amdhsa_exception_fp_ieee_invalid_op 0
		.amdhsa_exception_fp_denorm_src 0
		.amdhsa_exception_fp_ieee_div_zero 0
		.amdhsa_exception_fp_ieee_overflow 0
		.amdhsa_exception_fp_ieee_underflow 0
		.amdhsa_exception_fp_ieee_inexact 0
		.amdhsa_exception_int_div_zero 0
	.end_amdhsa_kernel
	.section	.text._ZN2at6native12_GLOBAL__N_135GammaBetaBackwardCUDAKernelTemplateIN3c104HalfEfLj32ELj8ELj64ELb0ELb0ELb1EEEvllPKT_S7_PKT0_SA_PS5_SB_,"axG",@progbits,_ZN2at6native12_GLOBAL__N_135GammaBetaBackwardCUDAKernelTemplateIN3c104HalfEfLj32ELj8ELj64ELb0ELb0ELb1EEEvllPKT_S7_PKT0_SA_PS5_SB_,comdat
.Lfunc_end180:
	.size	_ZN2at6native12_GLOBAL__N_135GammaBetaBackwardCUDAKernelTemplateIN3c104HalfEfLj32ELj8ELj64ELb0ELb0ELb1EEEvllPKT_S7_PKT0_SA_PS5_SB_, .Lfunc_end180-_ZN2at6native12_GLOBAL__N_135GammaBetaBackwardCUDAKernelTemplateIN3c104HalfEfLj32ELj8ELj64ELb0ELb0ELb1EEEvllPKT_S7_PKT0_SA_PS5_SB_
                                        ; -- End function
	.set _ZN2at6native12_GLOBAL__N_135GammaBetaBackwardCUDAKernelTemplateIN3c104HalfEfLj32ELj8ELj64ELb0ELb0ELb1EEEvllPKT_S7_PKT0_SA_PS5_SB_.num_vgpr, 97
	.set _ZN2at6native12_GLOBAL__N_135GammaBetaBackwardCUDAKernelTemplateIN3c104HalfEfLj32ELj8ELj64ELb0ELb0ELb1EEEvllPKT_S7_PKT0_SA_PS5_SB_.num_agpr, 0
	.set _ZN2at6native12_GLOBAL__N_135GammaBetaBackwardCUDAKernelTemplateIN3c104HalfEfLj32ELj8ELj64ELb0ELb0ELb1EEEvllPKT_S7_PKT0_SA_PS5_SB_.numbered_sgpr, 50
	.set _ZN2at6native12_GLOBAL__N_135GammaBetaBackwardCUDAKernelTemplateIN3c104HalfEfLj32ELj8ELj64ELb0ELb0ELb1EEEvllPKT_S7_PKT0_SA_PS5_SB_.num_named_barrier, 0
	.set _ZN2at6native12_GLOBAL__N_135GammaBetaBackwardCUDAKernelTemplateIN3c104HalfEfLj32ELj8ELj64ELb0ELb0ELb1EEEvllPKT_S7_PKT0_SA_PS5_SB_.private_seg_size, 0
	.set _ZN2at6native12_GLOBAL__N_135GammaBetaBackwardCUDAKernelTemplateIN3c104HalfEfLj32ELj8ELj64ELb0ELb0ELb1EEEvllPKT_S7_PKT0_SA_PS5_SB_.uses_vcc, 1
	.set _ZN2at6native12_GLOBAL__N_135GammaBetaBackwardCUDAKernelTemplateIN3c104HalfEfLj32ELj8ELj64ELb0ELb0ELb1EEEvllPKT_S7_PKT0_SA_PS5_SB_.uses_flat_scratch, 0
	.set _ZN2at6native12_GLOBAL__N_135GammaBetaBackwardCUDAKernelTemplateIN3c104HalfEfLj32ELj8ELj64ELb0ELb0ELb1EEEvllPKT_S7_PKT0_SA_PS5_SB_.has_dyn_sized_stack, 0
	.set _ZN2at6native12_GLOBAL__N_135GammaBetaBackwardCUDAKernelTemplateIN3c104HalfEfLj32ELj8ELj64ELb0ELb0ELb1EEEvllPKT_S7_PKT0_SA_PS5_SB_.has_recursion, 0
	.set _ZN2at6native12_GLOBAL__N_135GammaBetaBackwardCUDAKernelTemplateIN3c104HalfEfLj32ELj8ELj64ELb0ELb0ELb1EEEvllPKT_S7_PKT0_SA_PS5_SB_.has_indirect_call, 0
	.section	.AMDGPU.csdata,"",@progbits
; Kernel info:
; codeLenInByte = 7724
; TotalNumSgprs: 56
; NumVgprs: 97
; NumAgprs: 0
; TotalNumVgprs: 97
; ScratchSize: 0
; MemoryBound: 0
; FloatMode: 240
; IeeeMode: 1
; LDSByteSize: 0 bytes/workgroup (compile time only)
; SGPRBlocks: 6
; VGPRBlocks: 12
; NumSGPRsForWavesPerEU: 56
; NumVGPRsForWavesPerEU: 97
; AccumOffset: 100
; Occupancy: 4
; WaveLimiterHint : 0
; COMPUTE_PGM_RSRC2:SCRATCH_EN: 0
; COMPUTE_PGM_RSRC2:USER_SGPR: 2
; COMPUTE_PGM_RSRC2:TRAP_HANDLER: 0
; COMPUTE_PGM_RSRC2:TGID_X_EN: 1
; COMPUTE_PGM_RSRC2:TGID_Y_EN: 1
; COMPUTE_PGM_RSRC2:TGID_Z_EN: 0
; COMPUTE_PGM_RSRC2:TIDIG_COMP_CNT: 1
; COMPUTE_PGM_RSRC3_GFX90A:ACCUM_OFFSET: 24
; COMPUTE_PGM_RSRC3_GFX90A:TG_SPLIT: 0
	.section	.text._ZN2at6native12_GLOBAL__N_135GammaBetaBackwardCUDAKernelTemplateIN3c104HalfEfLj32ELj16ELj128ELb0ELb1ELb1EEEvllPKT_S7_PKT0_SA_PS5_SB_,"axG",@progbits,_ZN2at6native12_GLOBAL__N_135GammaBetaBackwardCUDAKernelTemplateIN3c104HalfEfLj32ELj16ELj128ELb0ELb1ELb1EEEvllPKT_S7_PKT0_SA_PS5_SB_,comdat
	.globl	_ZN2at6native12_GLOBAL__N_135GammaBetaBackwardCUDAKernelTemplateIN3c104HalfEfLj32ELj16ELj128ELb0ELb1ELb1EEEvllPKT_S7_PKT0_SA_PS5_SB_ ; -- Begin function _ZN2at6native12_GLOBAL__N_135GammaBetaBackwardCUDAKernelTemplateIN3c104HalfEfLj32ELj16ELj128ELb0ELb1ELb1EEEvllPKT_S7_PKT0_SA_PS5_SB_
	.p2align	8
	.type	_ZN2at6native12_GLOBAL__N_135GammaBetaBackwardCUDAKernelTemplateIN3c104HalfEfLj32ELj16ELj128ELb0ELb1ELb1EEEvllPKT_S7_PKT0_SA_PS5_SB_,@function
_ZN2at6native12_GLOBAL__N_135GammaBetaBackwardCUDAKernelTemplateIN3c104HalfEfLj32ELj16ELj128ELb0ELb1ELb1EEEvllPKT_S7_PKT0_SA_PS5_SB_: ; @_ZN2at6native12_GLOBAL__N_135GammaBetaBackwardCUDAKernelTemplateIN3c104HalfEfLj32ELj16ELj128ELb0ELb1ELb1EEEvllPKT_S7_PKT0_SA_PS5_SB_
; %bb.0:
	s_load_dwordx4 s[4:7], s[0:1], 0x0
	s_lshl_b32 s14, s3, 7
	s_mov_b32 s15, 0
	v_mov_b64_e32 v[2:3], s[14:15]
	v_bfe_u32 v12, v0, 10, 10
	s_waitcnt lgkmcnt(0)
	v_cmp_gt_i64_e32 vcc, s[4:5], v[2:3]
	s_cbranch_vccnz .LBB181_2
; %bb.1:
	s_mov_b64 s[8:9], 0
	v_bfe_u32 v2, v0, 10, 10
	s_branch .LBB181_3
.LBB181_2:
	s_mov_b64 s[8:9], -1
                                        ; implicit-def: $vgpr2
.LBB181_3:
	s_load_dwordx2 s[12:13], s[0:1], 0x30
	v_and_b32_e32 v10, 0x3ff, v0
	v_mov_b32_e32 v1, 0
	s_andn2_b64 vcc, exec, s[8:9]
	v_mbcnt_lo_u32_b32 v11, -1, 0
	s_cbranch_vccnz .LBB181_11
; %bb.4:
	s_load_dword s3, s[0:1], 0x4c
	s_load_dword s16, s[0:1], 0x44
	s_load_dwordx2 s[18:19], s[0:1], 0x28
	s_load_dwordx4 s[8:11], s[0:1], 0x10
	v_lshlrev_b32_e32 v0, 3, v12
	s_waitcnt lgkmcnt(0)
	s_and_b32 s0, s3, 0xffff
	v_mad_u32_u24 v1, v12, s0, v10
	v_and_b32_e32 v2, 63, v1
	v_mov_b32_e32 v1, 0
	v_mov_b32_e32 v3, v1
	v_lshl_add_u64 v[8:9], v[0:1], 0, s[14:15]
	v_cmp_gt_u32_e64 s[0:1], 8, v2
	v_mbcnt_hi_u32_b32 v4, -1, v11
	s_lshl_b32 s16, s16, 7
	v_lshl_add_u64 v[2:3], v[8:9], 0, v[2:3]
	v_mul_lo_u32 v0, s7, v8
	v_mul_lo_u32 v21, s6, v9
	v_mad_u64_u32 v[8:9], s[20:21], s6, v8, 0
	v_lshl_add_u32 v6, s2, 5, v10
	v_mov_b32_e32 v7, v1
	v_lshlrev_b32_e32 v4, 2, v4
	s_mul_i32 s3, s7, s16
	s_mul_hi_u32 s20, s6, s16
	s_mov_b32 s17, 0
	v_and_b32_e32 v13, 0x100, v4
	v_add3_u32 v9, v9, v21, v0
	v_lshlrev_b64 v[6:7], 1, v[6:7]
	s_add_i32 s21, s20, s3
	s_mul_i32 s20, s6, s16
	v_or_b32_e32 v14, 4, v13
	v_or_b32_e32 v15, 8, v13
	;; [unrolled: 1-line block ×7, first 2 shown]
	v_lshl_add_u64 v[4:5], v[2:3], 2, s[18:19]
	s_lshl_b64 s[18:19], s[16:17], 2
	v_lshl_add_u64 v[6:7], v[8:9], 1, v[6:7]
	s_lshl_b64 s[20:21], s[20:21], 1
	s_lshl_b64 s[6:7], s[6:7], 1
	v_mov_b64_e32 v[8:9], s[4:5]
	s_branch .LBB181_7
.LBB181_5:                              ;   in Loop: Header=BB181_7 Depth=1
	s_or_b64 exec, exec, s[24:25]
.LBB181_6:                              ;   in Loop: Header=BB181_7 Depth=1
	s_or_b64 exec, exec, s[22:23]
	v_lshl_add_u64 v[22:23], s[8:9], 0, v[6:7]
	global_load_ushort v21, v[22:23], off
	v_lshl_add_u64 v[24:25], s[10:11], 0, v[6:7]
	v_lshl_add_u64 v[22:23], v[22:23], 0, s[6:7]
	global_load_ushort v31, v[24:25], off
	global_load_ushort v33, v[22:23], off
	v_lshl_add_u64 v[24:25], v[24:25], 0, s[6:7]
	v_lshl_add_u64 v[22:23], v[22:23], 0, s[6:7]
	global_load_ushort v34, v[24:25], off
	;; [unrolled: 4-line block ×7, first 2 shown]
	v_lshl_add_u64 v[22:23], v[24:25], 0, s[6:7]
	global_load_ushort v44, v[24:25], off
	global_load_ushort v46, v[22:23], off
	s_waitcnt vmcnt(16)
	ds_bpermute_b32 v22, v13, v0
	ds_bpermute_b32 v23, v14, v0
	;; [unrolled: 1-line block ×8, first 2 shown]
	s_add_u32 s14, s14, s16
	s_addc_u32 s15, s15, 0
	v_cmp_lt_i64_e32 vcc, s[14:15], v[8:9]
	v_lshl_add_u64 v[4:5], v[4:5], 0, s[18:19]
	v_lshl_add_u64 v[2:3], v[2:3], 0, s[16:17]
	;; [unrolled: 1-line block ×3, first 2 shown]
	s_and_b64 vcc, exec, vcc
	s_waitcnt vmcnt(15)
	v_cvt_f32_f16_e32 v30, v21
	s_waitcnt vmcnt(14)
	v_cvt_f32_f16_e32 v32, v31
	;; [unrolled: 2-line block ×7, first 2 shown]
	v_pk_mul_f32 v[30:31], v[30:31], v[32:33]
	s_waitcnt vmcnt(8)
	v_cvt_f32_f16_e32 v37, v38
	s_waitcnt vmcnt(7)
	v_cvt_f32_f16_e32 v38, v39
	s_waitcnt lgkmcnt(6)
	v_pk_mul_f32 v[22:23], v[30:31], v[22:23]
	s_waitcnt vmcnt(6)
	v_cvt_f32_f16_e32 v40, v40
	s_waitcnt vmcnt(5)
	v_cvt_f32_f16_e32 v39, v41
	v_add_f32_e32 v21, v1, v22
	v_pk_mul_f32 v[32:33], v[34:35], v[36:37]
	s_waitcnt vmcnt(4)
	v_cvt_f32_f16_e32 v41, v42
	s_waitcnt vmcnt(3)
	v_cvt_f32_f16_e32 v0, v43
	v_add_f32_e32 v21, v21, v23
	s_waitcnt lgkmcnt(4)
	v_pk_mul_f32 v[22:23], v[32:33], v[24:25]
	s_waitcnt vmcnt(2)
	v_cvt_f32_f16_e32 v1, v45
	v_add_f32_e32 v21, v21, v22
	s_waitcnt vmcnt(1)
	v_cvt_f32_f16_e32 v30, v44
	s_waitcnt vmcnt(0)
	v_cvt_f32_f16_e32 v31, v46
	v_pk_mul_f32 v[24:25], v[38:39], v[40:41]
	v_add_f32_e32 v21, v21, v23
	s_waitcnt lgkmcnt(2)
	v_pk_mul_f32 v[22:23], v[24:25], v[26:27]
	v_pk_mul_f32 v[0:1], v[0:1], v[30:31]
	v_add_f32_e32 v21, v21, v22
	v_add_f32_e32 v21, v21, v23
	s_waitcnt lgkmcnt(0)
	v_pk_mul_f32 v[0:1], v[0:1], v[28:29]
	s_nop 0
	v_add_f32_e32 v0, v21, v0
	v_add_f32_e32 v1, v0, v1
	s_cbranch_vccz .LBB181_10
.LBB181_7:                              ; =>This Inner Loop Header: Depth=1
	v_mov_b32_e32 v0, 0
	s_and_saveexec_b64 s[22:23], s[0:1]
	s_cbranch_execz .LBB181_6
; %bb.8:                                ;   in Loop: Header=BB181_7 Depth=1
	v_cmp_gt_i64_e32 vcc, s[4:5], v[2:3]
	v_mov_b32_e32 v0, 0
	s_and_saveexec_b64 s[24:25], vcc
	s_cbranch_execz .LBB181_5
; %bb.9:                                ;   in Loop: Header=BB181_7 Depth=1
	global_load_dword v0, v[4:5], off
	s_branch .LBB181_5
.LBB181_10:
	v_mov_b32_e32 v2, v12
.LBB181_11:
	v_mad_u32_u24 v0, v2, 33, v10
	v_lshl_add_u32 v3, v0, 2, 0
	v_sub_u32_e32 v2, v0, v2
	s_movk_i32 s0, 0x800
	ds_write_b32 v3, v1
	v_mov_b32_e32 v1, 0
	v_cmp_gt_u32_e32 vcc, s0, v2
	ds_write_b32 v3, v1 offset:2112
	s_waitcnt lgkmcnt(0)
	s_barrier
	s_and_saveexec_b64 s[0:1], vcc
	s_cbranch_execz .LBB181_31
; %bb.12:
	v_and_b32_e32 v1, 63, v2
	v_lshrrev_b32_e32 v0, 6, v2
	v_cmp_gt_u32_e32 vcc, 16, v1
	v_mul_u32_u24_e32 v1, 33, v1
                                        ; implicit-def: $vgpr4
	s_and_saveexec_b64 s[0:1], vcc
; %bb.13:
	v_lshlrev_b32_e32 v3, 2, v0
	v_lshlrev_b32_e32 v4, 2, v1
	v_add3_u32 v3, 0, v3, v4
	ds_read_b32 v4, v3
; %bb.14:
	s_or_b64 exec, exec, s[0:1]
	v_mbcnt_hi_u32_b32 v6, -1, v11
	v_and_b32_e32 v3, 64, v6
	v_add_u32_e32 v7, 64, v3
	v_xor_b32_e32 v3, 8, v6
	v_cmp_lt_i32_e64 s[0:1], v3, v7
	v_xor_b32_e32 v8, 4, v6
	v_xor_b32_e32 v9, 2, v6
	v_cndmask_b32_e64 v3, v6, v3, s[0:1]
	v_lshlrev_b32_e32 v3, 2, v3
	s_waitcnt lgkmcnt(0)
	ds_bpermute_b32 v5, v3, v4
	v_cmp_lt_i32_e64 s[0:1], v8, v7
	s_cmp_lg_u64 s[12:13], 0
	s_mov_b32 s3, 0
	s_cselect_b64 s[6:7], -1, 0
	s_waitcnt lgkmcnt(0)
	v_add_f32_e32 v5, v4, v5
	v_cndmask_b32_e64 v4, v6, v8, s[0:1]
	v_lshlrev_b32_e32 v4, 2, v4
	ds_bpermute_b32 v8, v4, v5
	v_cmp_lt_i32_e64 s[0:1], v9, v7
	s_waitcnt lgkmcnt(0)
	v_add_f32_e32 v8, v5, v8
	v_cndmask_b32_e64 v5, v6, v9, s[0:1]
	v_lshlrev_b32_e32 v5, 2, v5
	ds_bpermute_b32 v9, v5, v8
	v_cmp_eq_u32_e64 s[0:1], 0, v10
	s_waitcnt lgkmcnt(0)
	v_add_f32_e32 v8, v8, v9
	v_xor_b32_e32 v9, 1, v6
	v_cmp_lt_i32_e64 s[4:5], v9, v7
	s_nop 1
	v_cndmask_b32_e64 v6, v6, v9, s[4:5]
	v_lshlrev_b32_e32 v6, 2, v6
	ds_bpermute_b32 v7, v6, v8
	s_and_b64 s[4:5], s[0:1], s[6:7]
	s_lshl_b64 s[0:1], s[2:3], 6
	s_add_u32 s2, s12, s0
	s_addc_u32 s3, s13, s1
	s_waitcnt lgkmcnt(0)
	v_add_f32_e32 v7, v8, v7
	s_and_saveexec_b64 s[0:1], s[4:5]
	s_cbranch_execz .LBB181_16
; %bb.15:
	v_cvt_f16_f32_e32 v8, v7
	v_lshlrev_b32_e32 v9, 1, v0
	global_store_short v9, v8, s[2:3]
.LBB181_16:
	s_or_b64 exec, exec, s[0:1]
	s_movk_i32 s0, 0x600
	v_cmp_gt_u32_e64 s[0:1], s0, v2
	s_and_b64 exec, exec, s[0:1]
	s_cbranch_execz .LBB181_31
; %bb.17:
	s_and_saveexec_b64 s[0:1], vcc
; %bb.18:
	v_lshlrev_b32_e32 v7, 2, v0
	v_lshlrev_b32_e32 v8, 2, v1
	v_add3_u32 v7, 0, v7, v8
	ds_read_b32 v7, v7 offset:32
; %bb.19:
	s_or_b64 exec, exec, s[0:1]
	s_waitcnt lgkmcnt(0)
	ds_bpermute_b32 v8, v3, v7
	s_waitcnt lgkmcnt(0)
	v_add_f32_e32 v7, v7, v8
	ds_bpermute_b32 v8, v4, v7
	s_waitcnt lgkmcnt(0)
	v_add_f32_e32 v7, v7, v8
	;; [unrolled: 3-line block ×4, first 2 shown]
	s_and_saveexec_b64 s[0:1], s[4:5]
	s_cbranch_execz .LBB181_21
; %bb.20:
	v_cvt_f16_f32_e32 v8, v7
	v_lshlrev_b32_e32 v9, 1, v0
	global_store_short v9, v8, s[2:3] offset:16
.LBB181_21:
	s_or_b64 exec, exec, s[0:1]
	s_movk_i32 s0, 0x400
	v_cmp_gt_u32_e64 s[0:1], s0, v2
	s_and_b64 exec, exec, s[0:1]
	s_cbranch_execz .LBB181_31
; %bb.22:
	s_and_saveexec_b64 s[0:1], vcc
; %bb.23:
	v_lshlrev_b32_e32 v7, 2, v0
	v_lshlrev_b32_e32 v8, 2, v1
	v_add3_u32 v7, 0, v7, v8
	ds_read_b32 v7, v7 offset:64
; %bb.24:
	s_or_b64 exec, exec, s[0:1]
	s_waitcnt lgkmcnt(0)
	ds_bpermute_b32 v8, v3, v7
	s_waitcnt lgkmcnt(0)
	v_add_f32_e32 v7, v7, v8
	ds_bpermute_b32 v8, v4, v7
	s_waitcnt lgkmcnt(0)
	v_add_f32_e32 v7, v7, v8
	;; [unrolled: 3-line block ×4, first 2 shown]
	s_and_saveexec_b64 s[0:1], s[4:5]
	s_cbranch_execz .LBB181_26
; %bb.25:
	v_cvt_f16_f32_e32 v8, v7
	v_lshlrev_b32_e32 v9, 1, v0
	global_store_short v9, v8, s[2:3] offset:32
.LBB181_26:
	s_or_b64 exec, exec, s[0:1]
	s_movk_i32 s0, 0x200
	v_cmp_gt_u32_e64 s[0:1], s0, v2
	s_and_b64 exec, exec, s[0:1]
	s_cbranch_execz .LBB181_31
; %bb.27:
	s_and_saveexec_b64 s[0:1], vcc
; %bb.28:
	v_lshlrev_b32_e32 v2, 2, v0
	v_lshlrev_b32_e32 v1, 2, v1
	v_add3_u32 v1, 0, v2, v1
	ds_read_b32 v7, v1 offset:96
; %bb.29:
	s_or_b64 exec, exec, s[0:1]
	s_waitcnt lgkmcnt(0)
	ds_bpermute_b32 v1, v3, v7
	s_waitcnt lgkmcnt(0)
	v_add_f32_e32 v1, v7, v1
	ds_bpermute_b32 v2, v4, v1
	s_waitcnt lgkmcnt(0)
	v_add_f32_e32 v1, v1, v2
	;; [unrolled: 3-line block ×3, first 2 shown]
	ds_bpermute_b32 v2, v6, v1
	s_and_saveexec_b64 s[0:1], s[4:5]
	s_xor_b64 s[0:1], exec, s[0:1]
	s_cbranch_execz .LBB181_31
; %bb.30:
	s_waitcnt lgkmcnt(0)
	v_add_f32_e32 v1, v1, v2
	v_cvt_f16_f32_e32 v1, v1
	v_lshlrev_b32_e32 v0, 1, v0
	global_store_short v0, v1, s[2:3] offset:48
.LBB181_31:
	s_endpgm
	.section	.rodata,"a",@progbits
	.p2align	6, 0x0
	.amdhsa_kernel _ZN2at6native12_GLOBAL__N_135GammaBetaBackwardCUDAKernelTemplateIN3c104HalfEfLj32ELj16ELj128ELb0ELb1ELb1EEEvllPKT_S7_PKT0_SA_PS5_SB_
		.amdhsa_group_segment_fixed_size 0
		.amdhsa_private_segment_fixed_size 0
		.amdhsa_kernarg_size 320
		.amdhsa_user_sgpr_count 2
		.amdhsa_user_sgpr_dispatch_ptr 0
		.amdhsa_user_sgpr_queue_ptr 0
		.amdhsa_user_sgpr_kernarg_segment_ptr 1
		.amdhsa_user_sgpr_dispatch_id 0
		.amdhsa_user_sgpr_kernarg_preload_length 0
		.amdhsa_user_sgpr_kernarg_preload_offset 0
		.amdhsa_user_sgpr_private_segment_size 0
		.amdhsa_uses_dynamic_stack 0
		.amdhsa_enable_private_segment 0
		.amdhsa_system_sgpr_workgroup_id_x 1
		.amdhsa_system_sgpr_workgroup_id_y 1
		.amdhsa_system_sgpr_workgroup_id_z 0
		.amdhsa_system_sgpr_workgroup_info 0
		.amdhsa_system_vgpr_workitem_id 1
		.amdhsa_next_free_vgpr 47
		.amdhsa_next_free_sgpr 26
		.amdhsa_accum_offset 48
		.amdhsa_reserve_vcc 1
		.amdhsa_float_round_mode_32 0
		.amdhsa_float_round_mode_16_64 0
		.amdhsa_float_denorm_mode_32 3
		.amdhsa_float_denorm_mode_16_64 3
		.amdhsa_dx10_clamp 1
		.amdhsa_ieee_mode 1
		.amdhsa_fp16_overflow 0
		.amdhsa_tg_split 0
		.amdhsa_exception_fp_ieee_invalid_op 0
		.amdhsa_exception_fp_denorm_src 0
		.amdhsa_exception_fp_ieee_div_zero 0
		.amdhsa_exception_fp_ieee_overflow 0
		.amdhsa_exception_fp_ieee_underflow 0
		.amdhsa_exception_fp_ieee_inexact 0
		.amdhsa_exception_int_div_zero 0
	.end_amdhsa_kernel
	.section	.text._ZN2at6native12_GLOBAL__N_135GammaBetaBackwardCUDAKernelTemplateIN3c104HalfEfLj32ELj16ELj128ELb0ELb1ELb1EEEvllPKT_S7_PKT0_SA_PS5_SB_,"axG",@progbits,_ZN2at6native12_GLOBAL__N_135GammaBetaBackwardCUDAKernelTemplateIN3c104HalfEfLj32ELj16ELj128ELb0ELb1ELb1EEEvllPKT_S7_PKT0_SA_PS5_SB_,comdat
.Lfunc_end181:
	.size	_ZN2at6native12_GLOBAL__N_135GammaBetaBackwardCUDAKernelTemplateIN3c104HalfEfLj32ELj16ELj128ELb0ELb1ELb1EEEvllPKT_S7_PKT0_SA_PS5_SB_, .Lfunc_end181-_ZN2at6native12_GLOBAL__N_135GammaBetaBackwardCUDAKernelTemplateIN3c104HalfEfLj32ELj16ELj128ELb0ELb1ELb1EEEvllPKT_S7_PKT0_SA_PS5_SB_
                                        ; -- End function
	.set _ZN2at6native12_GLOBAL__N_135GammaBetaBackwardCUDAKernelTemplateIN3c104HalfEfLj32ELj16ELj128ELb0ELb1ELb1EEEvllPKT_S7_PKT0_SA_PS5_SB_.num_vgpr, 47
	.set _ZN2at6native12_GLOBAL__N_135GammaBetaBackwardCUDAKernelTemplateIN3c104HalfEfLj32ELj16ELj128ELb0ELb1ELb1EEEvllPKT_S7_PKT0_SA_PS5_SB_.num_agpr, 0
	.set _ZN2at6native12_GLOBAL__N_135GammaBetaBackwardCUDAKernelTemplateIN3c104HalfEfLj32ELj16ELj128ELb0ELb1ELb1EEEvllPKT_S7_PKT0_SA_PS5_SB_.numbered_sgpr, 26
	.set _ZN2at6native12_GLOBAL__N_135GammaBetaBackwardCUDAKernelTemplateIN3c104HalfEfLj32ELj16ELj128ELb0ELb1ELb1EEEvllPKT_S7_PKT0_SA_PS5_SB_.num_named_barrier, 0
	.set _ZN2at6native12_GLOBAL__N_135GammaBetaBackwardCUDAKernelTemplateIN3c104HalfEfLj32ELj16ELj128ELb0ELb1ELb1EEEvllPKT_S7_PKT0_SA_PS5_SB_.private_seg_size, 0
	.set _ZN2at6native12_GLOBAL__N_135GammaBetaBackwardCUDAKernelTemplateIN3c104HalfEfLj32ELj16ELj128ELb0ELb1ELb1EEEvllPKT_S7_PKT0_SA_PS5_SB_.uses_vcc, 1
	.set _ZN2at6native12_GLOBAL__N_135GammaBetaBackwardCUDAKernelTemplateIN3c104HalfEfLj32ELj16ELj128ELb0ELb1ELb1EEEvllPKT_S7_PKT0_SA_PS5_SB_.uses_flat_scratch, 0
	.set _ZN2at6native12_GLOBAL__N_135GammaBetaBackwardCUDAKernelTemplateIN3c104HalfEfLj32ELj16ELj128ELb0ELb1ELb1EEEvllPKT_S7_PKT0_SA_PS5_SB_.has_dyn_sized_stack, 0
	.set _ZN2at6native12_GLOBAL__N_135GammaBetaBackwardCUDAKernelTemplateIN3c104HalfEfLj32ELj16ELj128ELb0ELb1ELb1EEEvllPKT_S7_PKT0_SA_PS5_SB_.has_recursion, 0
	.set _ZN2at6native12_GLOBAL__N_135GammaBetaBackwardCUDAKernelTemplateIN3c104HalfEfLj32ELj16ELj128ELb0ELb1ELb1EEEvllPKT_S7_PKT0_SA_PS5_SB_.has_indirect_call, 0
	.section	.AMDGPU.csdata,"",@progbits
; Kernel info:
; codeLenInByte = 1820
; TotalNumSgprs: 32
; NumVgprs: 47
; NumAgprs: 0
; TotalNumVgprs: 47
; ScratchSize: 0
; MemoryBound: 0
; FloatMode: 240
; IeeeMode: 1
; LDSByteSize: 0 bytes/workgroup (compile time only)
; SGPRBlocks: 3
; VGPRBlocks: 5
; NumSGPRsForWavesPerEU: 32
; NumVGPRsForWavesPerEU: 47
; AccumOffset: 48
; Occupancy: 8
; WaveLimiterHint : 0
; COMPUTE_PGM_RSRC2:SCRATCH_EN: 0
; COMPUTE_PGM_RSRC2:USER_SGPR: 2
; COMPUTE_PGM_RSRC2:TRAP_HANDLER: 0
; COMPUTE_PGM_RSRC2:TGID_X_EN: 1
; COMPUTE_PGM_RSRC2:TGID_Y_EN: 1
; COMPUTE_PGM_RSRC2:TGID_Z_EN: 0
; COMPUTE_PGM_RSRC2:TIDIG_COMP_CNT: 1
; COMPUTE_PGM_RSRC3_GFX90A:ACCUM_OFFSET: 11
; COMPUTE_PGM_RSRC3_GFX90A:TG_SPLIT: 0
	.section	.text._ZN2at6native12_GLOBAL__N_135GammaBetaBackwardCUDAKernelTemplateIN3c104HalfEfLj32ELj16ELj128ELb0ELb0ELb1EEEvllPKT_S7_PKT0_SA_PS5_SB_,"axG",@progbits,_ZN2at6native12_GLOBAL__N_135GammaBetaBackwardCUDAKernelTemplateIN3c104HalfEfLj32ELj16ELj128ELb0ELb0ELb1EEEvllPKT_S7_PKT0_SA_PS5_SB_,comdat
	.globl	_ZN2at6native12_GLOBAL__N_135GammaBetaBackwardCUDAKernelTemplateIN3c104HalfEfLj32ELj16ELj128ELb0ELb0ELb1EEEvllPKT_S7_PKT0_SA_PS5_SB_ ; -- Begin function _ZN2at6native12_GLOBAL__N_135GammaBetaBackwardCUDAKernelTemplateIN3c104HalfEfLj32ELj16ELj128ELb0ELb0ELb1EEEvllPKT_S7_PKT0_SA_PS5_SB_
	.p2align	8
	.type	_ZN2at6native12_GLOBAL__N_135GammaBetaBackwardCUDAKernelTemplateIN3c104HalfEfLj32ELj16ELj128ELb0ELb0ELb1EEEvllPKT_S7_PKT0_SA_PS5_SB_,@function
_ZN2at6native12_GLOBAL__N_135GammaBetaBackwardCUDAKernelTemplateIN3c104HalfEfLj32ELj16ELj128ELb0ELb0ELb1EEEvllPKT_S7_PKT0_SA_PS5_SB_: ; @_ZN2at6native12_GLOBAL__N_135GammaBetaBackwardCUDAKernelTemplateIN3c104HalfEfLj32ELj16ELj128ELb0ELb0ELb1EEEvllPKT_S7_PKT0_SA_PS5_SB_
; %bb.0:
	s_load_dwordx8 s[8:15], s[0:1], 0x0
	s_load_dwordx2 s[16:17], s[0:1], 0x28
	s_lshl_b32 s33, s2, 5
	s_mov_b32 s19, 0
	s_lshl_b32 s18, s3, 7
	s_or_b32 s4, s33, 31
	v_mov_b64_e32 v[4:5], s[18:19]
	v_mov_b32_e32 v2, s4
	v_mov_b32_e32 v3, 0
	s_waitcnt lgkmcnt(0)
	v_cmp_gt_i64_e64 s[4:5], s[8:9], v[4:5]
	v_cmp_le_i64_e32 vcc, s[10:11], v[2:3]
	s_nop 0
	v_cndmask_b32_e64 v1, 0, 1, s[4:5]
	v_cmp_ne_u32_e64 s[4:5], 1, v1
	s_cbranch_vccz .LBB182_49
; %bb.1:
	s_and_b64 vcc, exec, s[4:5]
	s_cbranch_vccnz .LBB182_50
; %bb.2:
	v_and_b32_e32 v1, 0x3ff, v0
	v_mov_b32_e32 v2, 0
	v_bfe_u32 v58, v0, 10, 10
	v_add_u32_e32 v4, s33, v1
	v_mov_b32_e32 v5, v2
	v_lshlrev_b32_e32 v20, 3, v58
	v_mov_b32_e32 v21, v2
	v_cmp_gt_i64_e64 s[6:7], s[10:11], v[4:5]
	v_lshlrev_b64 v[22:23], 1, v[4:5]
	v_lshl_add_u64 v[4:5], v[20:21], 0, s[18:19]
	v_mul_lo_u32 v3, s11, v4
	v_mul_lo_u32 v8, s10, v5
	v_mad_u64_u32 v[6:7], s[22:23], s10, v4, 0
	v_add3_u32 v7, v7, v8, v3
	v_lshlrev_b64 v[6:7], 1, v[6:7]
	v_lshl_add_u64 v[24:25], s[12:13], 0, v[6:7]
	v_lshl_add_u64 v[26:27], s[14:15], 0, v[6:7]
	v_lshl_add_u64 v[6:7], v[4:5], 0, 7
	v_mul_lo_u32 v9, s11, v6
	v_mul_lo_u32 v10, s10, v7
	v_mad_u64_u32 v[6:7], s[24:25], s10, v6, 0
	v_add3_u32 v7, v7, v10, v9
	v_lshlrev_b64 v[6:7], 1, v[6:7]
	v_lshl_add_u64 v[28:29], s[12:13], 0, v[6:7]
	v_lshl_add_u64 v[30:31], s[14:15], 0, v[6:7]
	;; [unrolled: 8-line block ×5, first 2 shown]
	v_lshl_add_u64 v[6:7], v[4:5], 0, 3
	v_mul_lo_u32 v9, s11, v6
	v_mul_lo_u32 v10, s10, v7
	v_mad_u64_u32 v[6:7], s[24:25], s10, v6, 0
	v_add3_u32 v7, v7, v10, v9
	s_load_dword s3, s[0:1], 0x44
	v_lshlrev_b64 v[6:7], 1, v[6:7]
	v_lshl_add_u64 v[44:45], s[12:13], 0, v[6:7]
	v_lshl_add_u64 v[46:47], s[14:15], 0, v[6:7]
	;; [unrolled: 1-line block ×3, first 2 shown]
	v_mul_lo_u32 v5, s11, v6
	v_mul_lo_u32 v9, s10, v7
	v_mad_u64_u32 v[6:7], s[24:25], s10, v6, 0
	v_add3_u32 v7, v7, v9, v5
	s_add_u32 s20, s0, 64
	v_lshlrev_b64 v[6:7], 1, v[6:7]
	s_addc_u32 s21, s1, 0
	s_waitcnt lgkmcnt(0)
	s_lshl_b32 s3, s3, 7
	v_lshl_add_u64 v[48:49], s[12:13], 0, v[6:7]
	v_lshl_add_u64 v[50:51], s[14:15], 0, v[6:7]
	v_mov_b64_e32 v[6:7], s[10:11]
	s_mul_i32 s22, s11, s3
	s_mul_hi_u32 s23, s10, s3
	v_mad_u64_u32 v[4:5], s[24:25], s10, v4, v[6:7]
	s_add_i32 s23, s23, s22
	s_mul_i32 s22, s10, s3
	v_add3_u32 v5, v3, v5, v8
	v_mbcnt_lo_u32_b32 v3, -1, 0
	s_lshl_b64 s[22:23], s[22:23], 1
	v_mbcnt_hi_u32_b32 v3, -1, v3
	v_lshlrev_b64 v[4:5], 1, v[4:5]
	s_add_u32 s24, s18, 0x7f
	s_movk_i32 s26, 0xff81
	s_movk_i32 s28, 0xff82
	s_movk_i32 s30, 0xff83
	s_movk_i32 s34, 0xff84
	s_movk_i32 s36, 0xff85
	s_movk_i32 s38, 0xff86
	s_movk_i32 s40, 0xff87
	s_movk_i32 s42, 0xff88
	v_lshlrev_b32_e32 v3, 2, v3
	v_lshl_add_u64 v[52:53], s[12:13], 0, v[4:5]
	v_lshl_add_u64 v[54:55], s[14:15], 0, v[4:5]
	s_addc_u32 s25, 0, 0
	s_mov_b32 s27, -1
	s_mov_b32 s29, -1
	;; [unrolled: 1-line block ×8, first 2 shown]
	v_and_b32_e32 v59, 0x100, v3
	s_mov_b64 s[44:45], s[18:19]
	v_mov_b32_e32 v60, 0
.LBB182_3:                              ; =>This Inner Loop Header: Depth=1
	v_mov_b64_e32 v[4:5], s[8:9]
	v_cmp_ge_i64_e32 vcc, s[24:25], v[4:5]
	v_lshl_add_u64 v[56:57], v[20:21], 0, s[24:25]
	s_mov_b64 s[46:47], -1
	s_and_b64 vcc, exec, vcc
                                        ; implicit-def: $vgpr4_vgpr5_vgpr6_vgpr7_vgpr8_vgpr9_vgpr10_vgpr11
                                        ; implicit-def: $vgpr3
                                        ; implicit-def: $vgpr12_vgpr13_vgpr14_vgpr15_vgpr16_vgpr17_vgpr18_vgpr19
                                        ; implicit-def: $vgpr4
	s_cbranch_vccz .LBB182_25
; %bb.4:                                ;   in Loop: Header=BB182_3 Depth=1
	s_load_dword s46, s[20:21], 0xc
	v_mov_b32_e32 v61, 0
	s_waitcnt lgkmcnt(0)
	s_and_b32 s46, s46, 0xffff
	v_mad_u32_u24 v3, v58, s46, v1
	v_and_b32_e32 v4, 63, v3
	v_cmp_gt_u32_e32 vcc, 8, v4
	s_and_saveexec_b64 s[46:47], vcc
	s_cbranch_execz .LBB182_8
; %bb.5:                                ;   in Loop: Header=BB182_3 Depth=1
	v_mov_b32_e32 v5, v2
	v_lshl_add_u64 v[4:5], v[56:57], 0, v[4:5]
	v_lshl_add_u64 v[4:5], v[4:5], 0, s[26:27]
	v_cmp_gt_i64_e32 vcc, s[8:9], v[4:5]
	v_mov_b32_e32 v61, 0
	s_and_saveexec_b64 s[48:49], vcc
	s_cbranch_execz .LBB182_7
; %bb.6:                                ;   in Loop: Header=BB182_3 Depth=1
	v_lshl_add_u64 v[4:5], v[4:5], 2, s[16:17]
	global_load_dword v61, v[4:5], off
.LBB182_7:                              ;   in Loop: Header=BB182_3 Depth=1
	s_or_b64 exec, exec, s[48:49]
.LBB182_8:                              ;   in Loop: Header=BB182_3 Depth=1
	s_or_b64 exec, exec, s[46:47]
	v_lshl_add_u64 v[4:5], v[56:57], 0, s[26:27]
	v_mov_b32_e32 v8, v2
	v_mov_b32_e32 v9, v2
	v_cmp_gt_i64_e32 vcc, s[8:9], v[4:5]
	v_mov_b32_e32 v3, v2
	v_mov_b32_e32 v4, v2
	;; [unrolled: 1-line block ×5, first 2 shown]
	v_mov_b64_e32 v[18:19], v[8:9]
	v_mov_b64_e32 v[16:17], v[6:7]
	;; [unrolled: 1-line block ×5, first 2 shown]
	s_and_b64 s[48:49], s[6:7], vcc
	v_mov_b64_e32 v[8:9], v[6:7]
	v_mov_b64_e32 v[6:7], v[4:5]
	;; [unrolled: 1-line block ×3, first 2 shown]
	s_and_saveexec_b64 s[46:47], s[48:49]
	s_cbranch_execz .LBB182_10
; %bb.9:                                ;   in Loop: Header=BB182_3 Depth=1
	v_lshl_add_u64 v[4:5], v[24:25], 0, v[22:23]
	global_load_ushort v3, v[4:5], off
	v_lshl_add_u64 v[4:5], v[26:27], 0, v[22:23]
	global_load_ushort v12, v[4:5], off
	v_mov_b32_e32 v5, v2
	v_mov_b32_e32 v6, v2
	;; [unrolled: 1-line block ×14, first 2 shown]
	s_waitcnt vmcnt(1)
	v_cvt_f32_f16_e32 v4, v3
	s_waitcnt vmcnt(0)
	v_cvt_f32_f16_e32 v12, v12
.LBB182_10:                             ;   in Loop: Header=BB182_3 Depth=1
	s_or_b64 exec, exec, s[46:47]
	v_lshl_add_u64 v[62:63], v[56:57], 0, s[28:29]
	v_cmp_gt_i64_e32 vcc, s[8:9], v[62:63]
	s_and_b64 s[48:49], s[6:7], vcc
	s_and_saveexec_b64 s[46:47], s[48:49]
	s_cbranch_execz .LBB182_12
; %bb.11:                               ;   in Loop: Header=BB182_3 Depth=1
	v_lshl_add_u64 v[62:63], v[52:53], 0, v[22:23]
	global_load_ushort v3, v[62:63], off
	v_lshl_add_u64 v[62:63], v[54:55], 0, v[22:23]
	global_load_ushort v13, v[62:63], off
	s_waitcnt vmcnt(1)
	v_cvt_f32_f16_e32 v5, v3
	s_waitcnt vmcnt(0)
	v_cvt_f32_f16_e32 v13, v13
.LBB182_12:                             ;   in Loop: Header=BB182_3 Depth=1
	s_or_b64 exec, exec, s[46:47]
	v_lshl_add_u64 v[62:63], v[56:57], 0, s[30:31]
	v_cmp_gt_i64_e32 vcc, s[8:9], v[62:63]
	s_and_b64 s[48:49], s[6:7], vcc
	s_and_saveexec_b64 s[46:47], s[48:49]
	s_cbranch_execz .LBB182_14
; %bb.13:                               ;   in Loop: Header=BB182_3 Depth=1
	v_lshl_add_u64 v[62:63], v[48:49], 0, v[22:23]
	global_load_ushort v3, v[62:63], off
	v_lshl_add_u64 v[62:63], v[50:51], 0, v[22:23]
	global_load_ushort v14, v[62:63], off
	s_waitcnt vmcnt(1)
	v_cvt_f32_f16_e32 v6, v3
	s_waitcnt vmcnt(0)
	v_cvt_f32_f16_e32 v14, v14
.LBB182_14:                             ;   in Loop: Header=BB182_3 Depth=1
	;; [unrolled: 16-line block ×7, first 2 shown]
	s_or_b64 exec, exec, s[46:47]
	s_waitcnt vmcnt(0)
	ds_bpermute_b32 v3, v59, v61
	ds_bpermute_b32 v62, v59, v61 offset:4
	ds_bpermute_b32 v63, v59, v61 offset:8
	v_mul_f32_e32 v4, v12, v4
	v_pk_mul_f32 v[8:9], v[16:17], v[8:9]
	s_waitcnt lgkmcnt(2)
	v_fma_f32 v16, v4, v3, v60
	v_pk_mul_f32 v[6:7], v[14:15], v[6:7]
	v_mul_f32_e32 v3, v13, v5
	ds_bpermute_b32 v14, v59, v61 offset:12
	ds_bpermute_b32 v15, v59, v61 offset:16
	v_pk_mov_b32 v[12:13], v[2:3], v[6:7] op_sel:[1,0]
	v_pk_mov_b32 v[6:7], v[6:7], v[8:9] op_sel:[1,0]
	s_waitcnt lgkmcnt(2)
	v_pk_mul_f32 v[12:13], v[12:13], v[62:63]
	v_mul_f32_e32 v4, v18, v10
	v_add_f32_e32 v3, v16, v12
	v_add_f32_e32 v3, v3, v13
	ds_bpermute_b32 v12, v59, v61 offset:20
	ds_bpermute_b32 v13, v59, v61 offset:24
	s_waitcnt lgkmcnt(2)
	v_pk_mul_f32 v[6:7], v[6:7], v[14:15]
	s_mov_b64 s[46:47], 0
	v_add_f32_e32 v3, v3, v6
	v_add_f32_e32 v3, v3, v7
	v_pk_mov_b32 v[6:7], v[8:9], v[4:5] op_sel:[1,0]
	ds_bpermute_b32 v4, v59, v61 offset:28
	s_waitcnt lgkmcnt(1)
	v_pk_mul_f32 v[6:7], v[6:7], v[12:13]
	s_nop 0
	v_add_f32_e32 v3, v3, v6
	v_add_f32_e32 v3, v3, v7
.LBB182_25:                             ;   in Loop: Header=BB182_3 Depth=1
	s_and_b64 vcc, exec, s[46:47]
	s_cbranch_vccz .LBB182_40
; %bb.26:                               ;   in Loop: Header=BB182_3 Depth=1
	s_load_dword s46, s[20:21], 0x0
	v_mov_b32_e32 v61, 0
	s_waitcnt lgkmcnt(0)
	s_cmp_lt_u32 s2, s46
	s_cselect_b32 s46, 12, 18
	s_add_u32 s46, s20, s46
	s_addc_u32 s47, s21, 0
	global_load_ushort v3, v2, s[46:47]
	s_waitcnt vmcnt(0)
	v_mad_u32_u24 v3, v58, v3, v1
	v_and_b32_e32 v4, 63, v3
	v_cmp_gt_u32_e32 vcc, 8, v4
	s_and_saveexec_b64 s[46:47], vcc
	s_cbranch_execz .LBB182_30
; %bb.27:                               ;   in Loop: Header=BB182_3 Depth=1
	v_mov_b32_e32 v5, v2
	v_lshl_add_u64 v[4:5], v[56:57], 0, v[4:5]
	v_lshl_add_u64 v[4:5], v[4:5], 0, s[26:27]
	v_cmp_gt_i64_e32 vcc, s[8:9], v[4:5]
	v_mov_b32_e32 v61, 0
	s_and_saveexec_b64 s[48:49], vcc
	s_cbranch_execz .LBB182_29
; %bb.28:                               ;   in Loop: Header=BB182_3 Depth=1
	v_lshl_add_u64 v[4:5], v[4:5], 2, s[16:17]
	global_load_dword v61, v[4:5], off
.LBB182_29:                             ;   in Loop: Header=BB182_3 Depth=1
	s_or_b64 exec, exec, s[48:49]
.LBB182_30:                             ;   in Loop: Header=BB182_3 Depth=1
	s_or_b64 exec, exec, s[46:47]
	v_mov_b32_e32 v8, v2
	v_mov_b32_e32 v9, v2
	;; [unrolled: 1-line block ×7, first 2 shown]
	v_mov_b64_e32 v[18:19], v[8:9]
	v_mov_b64_e32 v[16:17], v[6:7]
	v_mov_b64_e32 v[14:15], v[4:5]
	v_mov_b64_e32 v[12:13], v[2:3]
	v_mov_b64_e32 v[10:11], v[8:9]
	v_mov_b64_e32 v[8:9], v[6:7]
	v_mov_b64_e32 v[6:7], v[4:5]
	v_mov_b64_e32 v[4:5], v[2:3]
	s_and_saveexec_b64 s[46:47], s[6:7]
	s_cbranch_execnz .LBB182_42
; %bb.31:                               ;   in Loop: Header=BB182_3 Depth=1
	s_or_b64 exec, exec, s[46:47]
	s_and_saveexec_b64 s[46:47], s[6:7]
	s_cbranch_execnz .LBB182_43
.LBB182_32:                             ;   in Loop: Header=BB182_3 Depth=1
	s_or_b64 exec, exec, s[46:47]
	s_and_saveexec_b64 s[46:47], s[6:7]
	s_cbranch_execnz .LBB182_44
.LBB182_33:                             ;   in Loop: Header=BB182_3 Depth=1
	s_or_b64 exec, exec, s[46:47]
	s_and_saveexec_b64 s[46:47], s[6:7]
	s_cbranch_execnz .LBB182_45
.LBB182_34:                             ;   in Loop: Header=BB182_3 Depth=1
	s_or_b64 exec, exec, s[46:47]
	s_and_saveexec_b64 s[46:47], s[6:7]
	s_cbranch_execnz .LBB182_46
.LBB182_35:                             ;   in Loop: Header=BB182_3 Depth=1
	s_or_b64 exec, exec, s[46:47]
	s_and_saveexec_b64 s[46:47], s[6:7]
	s_cbranch_execnz .LBB182_47
.LBB182_36:                             ;   in Loop: Header=BB182_3 Depth=1
	s_or_b64 exec, exec, s[46:47]
	s_and_saveexec_b64 s[46:47], s[6:7]
	s_cbranch_execnz .LBB182_48
.LBB182_37:                             ;   in Loop: Header=BB182_3 Depth=1
	s_or_b64 exec, exec, s[46:47]
	s_and_saveexec_b64 s[46:47], s[6:7]
	s_cbranch_execz .LBB182_39
.LBB182_38:                             ;   in Loop: Header=BB182_3 Depth=1
	v_lshl_add_u64 v[56:57], v[28:29], 0, v[22:23]
	global_load_ushort v3, v[56:57], off
	v_lshl_add_u64 v[56:57], v[30:31], 0, v[22:23]
	global_load_ushort v19, v[56:57], off
	s_waitcnt vmcnt(1)
	v_cvt_f32_f16_e32 v11, v3
	s_waitcnt vmcnt(0)
	v_cvt_f32_f16_e32 v19, v19
.LBB182_39:                             ;   in Loop: Header=BB182_3 Depth=1
	s_or_b64 exec, exec, s[46:47]
	s_waitcnt vmcnt(0)
	ds_bpermute_b32 v3, v59, v61
	ds_bpermute_b32 v56, v59, v61 offset:4
	ds_bpermute_b32 v57, v59, v61 offset:8
	v_mul_f32_e32 v4, v12, v4
	v_pk_mul_f32 v[6:7], v[14:15], v[6:7]
	s_waitcnt lgkmcnt(2)
	v_fmac_f32_e32 v60, v4, v3
	v_mul_f32_e32 v3, v13, v5
	v_pk_mov_b32 v[4:5], v[2:3], v[6:7] op_sel:[1,0]
	ds_bpermute_b32 v12, v59, v61 offset:12
	ds_bpermute_b32 v13, v59, v61 offset:16
	s_waitcnt lgkmcnt(2)
	v_pk_mul_f32 v[4:5], v[4:5], v[56:57]
	v_pk_mul_f32 v[8:9], v[16:17], v[8:9]
	v_add_f32_e32 v3, v60, v4
	v_add_f32_e32 v3, v3, v5
	v_pk_mov_b32 v[4:5], v[6:7], v[8:9] op_sel:[1,0]
	ds_bpermute_b32 v6, v59, v61 offset:20
	ds_bpermute_b32 v7, v59, v61 offset:24
	s_waitcnt lgkmcnt(2)
	v_pk_mul_f32 v[4:5], v[4:5], v[12:13]
	v_mul_f32_e32 v10, v18, v10
	v_add_f32_e32 v3, v3, v4
	ds_bpermute_b32 v4, v59, v61 offset:28
	v_pk_mov_b32 v[8:9], v[8:9], v[10:11] op_sel:[1,0]
	v_add_f32_e32 v3, v3, v5
	s_waitcnt lgkmcnt(1)
	v_pk_mul_f32 v[6:7], v[8:9], v[6:7]
	s_nop 0
	v_add_f32_e32 v3, v3, v6
	v_add_f32_e32 v3, v3, v7
.LBB182_40:                             ;   in Loop: Header=BB182_3 Depth=1
	v_mul_f32_e32 v5, v11, v19
	s_add_u32 s44, s44, s3
	s_waitcnt lgkmcnt(0)
	v_fmac_f32_e32 v3, v5, v4
	s_addc_u32 s45, s45, 0
	v_mov_b64_e32 v[4:5], s[8:9]
	s_add_u32 s24, s24, s3
	v_cmp_lt_i64_e32 vcc, s[44:45], v[4:5]
	v_lshl_add_u64 v[24:25], v[24:25], 0, s[22:23]
	v_lshl_add_u64 v[26:27], v[26:27], 0, s[22:23]
	;; [unrolled: 1-line block ×16, first 2 shown]
	s_addc_u32 s25, s25, 0
	s_cbranch_vccz .LBB182_50
; %bb.41:                               ;   in Loop: Header=BB182_3 Depth=1
	v_mov_b32_e32 v60, v3
	s_branch .LBB182_3
.LBB182_42:                             ;   in Loop: Header=BB182_3 Depth=1
	v_lshl_add_u64 v[4:5], v[24:25], 0, v[22:23]
	global_load_ushort v3, v[4:5], off
	v_lshl_add_u64 v[4:5], v[26:27], 0, v[22:23]
	global_load_ushort v12, v[4:5], off
	v_mov_b32_e32 v5, v2
	v_mov_b32_e32 v6, v2
	;; [unrolled: 1-line block ×14, first 2 shown]
	s_waitcnt vmcnt(1)
	v_cvt_f32_f16_e32 v4, v3
	s_waitcnt vmcnt(0)
	v_cvt_f32_f16_e32 v12, v12
	s_or_b64 exec, exec, s[46:47]
	s_and_saveexec_b64 s[46:47], s[6:7]
	s_cbranch_execz .LBB182_32
.LBB182_43:                             ;   in Loop: Header=BB182_3 Depth=1
	v_lshl_add_u64 v[56:57], v[52:53], 0, v[22:23]
	global_load_ushort v3, v[56:57], off
	v_lshl_add_u64 v[56:57], v[54:55], 0, v[22:23]
	global_load_ushort v13, v[56:57], off
	s_waitcnt vmcnt(1)
	v_cvt_f32_f16_e32 v5, v3
	s_waitcnt vmcnt(0)
	v_cvt_f32_f16_e32 v13, v13
	s_or_b64 exec, exec, s[46:47]
	s_and_saveexec_b64 s[46:47], s[6:7]
	s_cbranch_execz .LBB182_33
.LBB182_44:                             ;   in Loop: Header=BB182_3 Depth=1
	v_lshl_add_u64 v[56:57], v[48:49], 0, v[22:23]
	global_load_ushort v3, v[56:57], off
	v_lshl_add_u64 v[56:57], v[50:51], 0, v[22:23]
	global_load_ushort v14, v[56:57], off
	s_waitcnt vmcnt(1)
	v_cvt_f32_f16_e32 v6, v3
	s_waitcnt vmcnt(0)
	v_cvt_f32_f16_e32 v14, v14
	s_or_b64 exec, exec, s[46:47]
	s_and_saveexec_b64 s[46:47], s[6:7]
	s_cbranch_execz .LBB182_34
.LBB182_45:                             ;   in Loop: Header=BB182_3 Depth=1
	v_lshl_add_u64 v[56:57], v[44:45], 0, v[22:23]
	global_load_ushort v3, v[56:57], off
	v_lshl_add_u64 v[56:57], v[46:47], 0, v[22:23]
	global_load_ushort v15, v[56:57], off
	s_waitcnt vmcnt(1)
	v_cvt_f32_f16_e32 v7, v3
	s_waitcnt vmcnt(0)
	v_cvt_f32_f16_e32 v15, v15
	s_or_b64 exec, exec, s[46:47]
	s_and_saveexec_b64 s[46:47], s[6:7]
	s_cbranch_execz .LBB182_35
.LBB182_46:                             ;   in Loop: Header=BB182_3 Depth=1
	v_lshl_add_u64 v[56:57], v[40:41], 0, v[22:23]
	global_load_ushort v3, v[56:57], off
	v_lshl_add_u64 v[56:57], v[42:43], 0, v[22:23]
	global_load_ushort v16, v[56:57], off
	s_waitcnt vmcnt(1)
	v_cvt_f32_f16_e32 v8, v3
	s_waitcnt vmcnt(0)
	v_cvt_f32_f16_e32 v16, v16
	s_or_b64 exec, exec, s[46:47]
	s_and_saveexec_b64 s[46:47], s[6:7]
	s_cbranch_execz .LBB182_36
.LBB182_47:                             ;   in Loop: Header=BB182_3 Depth=1
	v_lshl_add_u64 v[56:57], v[36:37], 0, v[22:23]
	global_load_ushort v3, v[56:57], off
	v_lshl_add_u64 v[56:57], v[38:39], 0, v[22:23]
	global_load_ushort v17, v[56:57], off
	s_waitcnt vmcnt(1)
	v_cvt_f32_f16_e32 v9, v3
	s_waitcnt vmcnt(0)
	v_cvt_f32_f16_e32 v17, v17
	s_or_b64 exec, exec, s[46:47]
	s_and_saveexec_b64 s[46:47], s[6:7]
	s_cbranch_execz .LBB182_37
.LBB182_48:                             ;   in Loop: Header=BB182_3 Depth=1
	v_lshl_add_u64 v[56:57], v[32:33], 0, v[22:23]
	global_load_ushort v3, v[56:57], off
	v_lshl_add_u64 v[56:57], v[34:35], 0, v[22:23]
	global_load_ushort v18, v[56:57], off
	s_waitcnt vmcnt(1)
	v_cvt_f32_f16_e32 v10, v3
	s_waitcnt vmcnt(0)
	v_cvt_f32_f16_e32 v18, v18
	s_or_b64 exec, exec, s[46:47]
	s_and_saveexec_b64 s[46:47], s[6:7]
	s_cbranch_execnz .LBB182_38
	s_branch .LBB182_39
.LBB182_49:
                                        ; implicit-def: $vgpr3
	s_branch .LBB182_51
.LBB182_50:
	s_cbranch_execnz .LBB182_83
.LBB182_51:
	s_and_b64 vcc, exec, s[4:5]
	v_mov_b32_e32 v3, 0
	s_cbranch_vccnz .LBB182_83
; %bb.52:
	v_mov_b32_e32 v2, 0
	v_bfe_u32 v86, v0, 10, 10
	v_lshlrev_b32_e32 v6, 4, v86
	v_mov_b32_e32 v7, v2
	v_lshl_add_u64 v[6:7], s[18:19], 1, v[6:7]
	v_lshl_add_u64 v[8:9], v[6:7], 0, 2
	v_mov_b64_e32 v[10:11], s[12:13]
	v_lshl_add_u64 v[12:13], v[6:7], 0, 4
	v_lshl_add_u64 v[14:15], v[6:7], 0, 6
	;; [unrolled: 1-line block ×6, first 2 shown]
	v_mad_u64_u32 v[22:23], s[4:5], s10, v8, v[10:11]
	v_mad_u64_u32 v[24:25], s[4:5], s10, v12, v[10:11]
	;; [unrolled: 1-line block ×7, first 2 shown]
	v_mov_b64_e32 v[10:11], s[14:15]
	v_mul_lo_u32 v9, s10, v9
	v_mul_lo_u32 v38, s11, v8
	v_mad_u64_u32 v[36:37], s[4:5], s10, v8, v[10:11]
	v_add3_u32 v23, v38, v23, v9
	v_mul_lo_u32 v13, s10, v13
	v_mul_lo_u32 v40, s11, v12
	v_add3_u32 v37, v38, v37, v9
	v_mad_u64_u32 v[38:39], s[4:5], s10, v12, v[10:11]
	v_add3_u32 v25, v40, v25, v13
	v_mul_lo_u32 v15, s10, v15
	v_mul_lo_u32 v42, s11, v14
	v_add3_u32 v39, v40, v39, v13
	;; [unrolled: 5-line block ×3, first 2 shown]
	v_mad_u64_u32 v[42:43], s[4:5], s10, v16, v[10:11]
	v_lshlrev_b32_e32 v20, 3, v86
	v_mov_b32_e32 v21, v2
	v_add3_u32 v29, v44, v29, v17
	v_mul_lo_u32 v19, s10, v19
	v_mul_lo_u32 v48, s11, v18
	;; [unrolled: 1-line block ×4, first 2 shown]
	v_add3_u32 v43, v44, v43, v17
	v_mad_u64_u32 v[44:45], s[4:5], s10, v18, v[10:11]
	v_mad_u64_u32 v[46:47], s[4:5], s10, v46, v[10:11]
	v_lshl_add_u64 v[4:5], v[20:21], 0, s[18:19]
	v_add3_u32 v31, v48, v31, v19
	v_add3_u32 v33, v51, v33, v49
	v_mul_lo_u32 v7, s10, v7
	v_mul_lo_u32 v8, s11, v6
	v_add3_u32 v45, v48, v45, v19
	v_add3_u32 v47, v51, v47, v49
	v_mad_u64_u32 v[48:49], s[4:5], s10, v6, v[10:11]
	v_add3_u32 v35, v8, v35, v7
	v_add3_u32 v49, v8, v49, v7
	v_lshl_add_u64 v[6:7], v[4:5], 0, 7
	v_mul_lo_u32 v8, s11, v6
	v_mul_lo_u32 v9, s10, v7
	v_mad_u64_u32 v[6:7], s[4:5], s10, v6, 0
	v_add3_u32 v7, v7, v9, v8
	v_lshl_add_u64 v[8:9], v[4:5], 0, 6
	v_mul_lo_u32 v10, s11, v8
	v_mul_lo_u32 v11, s10, v9
	v_mad_u64_u32 v[8:9], s[4:5], s10, v8, 0
	;; [unrolled: 5-line block ×5, first 2 shown]
	v_add3_u32 v15, v15, v17, v16
	v_lshl_add_u64 v[16:17], v[4:5], 0, 2
	v_mul_lo_u32 v50, s10, v5
	v_mul_lo_u32 v5, s11, v16
	;; [unrolled: 1-line block ×3, first 2 shown]
	v_mad_u64_u32 v[16:17], s[4:5], s10, v16, 0
	v_add3_u32 v17, v17, v18, v5
	v_mov_b64_e32 v[18:19], s[10:11]
	v_mul_lo_u32 v3, s11, v4
	v_mad_u64_u32 v[18:19], s[4:5], s10, v4, v[18:19]
	v_mad_u64_u32 v[4:5], s[4:5], s10, v4, 0
	s_load_dword s3, s[0:1], 0x44
	v_add3_u32 v5, v5, v50, v3
	v_lshlrev_b64 v[4:5], 1, v[4:5]
	v_lshl_add_u64 v[52:53], s[12:13], 0, v[4:5]
	v_lshl_add_u64 v[54:55], s[14:15], 0, v[4:5]
	v_lshlrev_b64 v[4:5], 1, v[6:7]
	v_lshl_add_u64 v[56:57], s[12:13], 0, v[4:5]
	v_lshl_add_u64 v[58:59], s[14:15], 0, v[4:5]
	v_lshlrev_b64 v[4:5], 1, v[8:9]
	s_add_u32 s4, s0, 64
	v_lshl_add_u64 v[60:61], s[12:13], 0, v[4:5]
	v_lshl_add_u64 v[62:63], s[14:15], 0, v[4:5]
	v_lshlrev_b64 v[4:5], 1, v[10:11]
	s_addc_u32 s5, s1, 0
	s_waitcnt lgkmcnt(0)
	s_lshl_b32 s3, s3, 7
	v_lshl_add_u64 v[64:65], s[12:13], 0, v[4:5]
	v_lshl_add_u64 v[66:67], s[14:15], 0, v[4:5]
	v_lshlrev_b64 v[4:5], 1, v[12:13]
	s_mul_i32 s6, s11, s3
	s_mul_hi_u32 s7, s10, s3
	v_lshl_add_u64 v[68:69], s[12:13], 0, v[4:5]
	v_lshl_add_u64 v[70:71], s[14:15], 0, v[4:5]
	v_lshlrev_b64 v[4:5], 1, v[14:15]
	v_add3_u32 v19, v3, v19, v50
	s_add_i32 s7, s7, s6
	s_mul_i32 s6, s10, s3
	v_lshl_add_u64 v[72:73], s[12:13], 0, v[4:5]
	v_lshl_add_u64 v[74:75], s[14:15], 0, v[4:5]
	v_lshlrev_b64 v[4:5], 1, v[16:17]
	v_mbcnt_lo_u32_b32 v3, -1, 0
	v_and_b32_e32 v1, 0x3ff, v0
	s_lshl_b64 s[6:7], s[6:7], 1
	v_lshl_add_u64 v[76:77], s[12:13], 0, v[4:5]
	v_lshl_add_u64 v[78:79], s[14:15], 0, v[4:5]
	v_lshlrev_b64 v[4:5], 1, v[18:19]
	v_mbcnt_hi_u32_b32 v3, -1, v3
	v_add_u32_e32 v50, s33, v1
	v_mov_b32_e32 v51, v2
	s_add_u32 s20, s18, 0x7f
	v_lshl_add_u64 v[80:81], s[12:13], 0, v[4:5]
	v_lshl_add_u64 v[82:83], s[14:15], 0, v[4:5]
	s_movk_i32 s12, 0xff81
	s_movk_i32 s14, 0xff82
	;; [unrolled: 1-line block ×8, first 2 shown]
	v_lshlrev_b32_e32 v3, 2, v3
	v_lshlrev_b64 v[50:51], 1, v[50:51]
	s_addc_u32 s21, 0, 0
	s_mov_b32 s13, -1
	s_mov_b32 s15, -1
	;; [unrolled: 1-line block ×8, first 2 shown]
	v_and_b32_e32 v87, 0x100, v3
	v_mov_b32_e32 v88, 0
.LBB182_53:                             ; =>This Inner Loop Header: Depth=1
	v_mov_b64_e32 v[4:5], s[8:9]
	v_cmp_ge_i64_e32 vcc, s[20:21], v[4:5]
	v_lshl_add_u64 v[84:85], v[20:21], 0, s[20:21]
	s_mov_b64 s[36:37], -1
                                        ; implicit-def: $vgpr3
	s_cbranch_vccz .LBB182_75
; %bb.54:                               ;   in Loop: Header=BB182_53 Depth=1
	s_load_dword s33, s[4:5], 0xc
	v_mov_b32_e32 v89, 0
	s_waitcnt lgkmcnt(0)
	s_and_b32 s33, s33, 0xffff
	v_mad_u32_u24 v3, v86, s33, v1
	v_and_b32_e32 v4, 63, v3
	v_cmp_gt_u32_e32 vcc, 8, v4
	s_and_saveexec_b64 s[36:37], vcc
	s_cbranch_execz .LBB182_58
; %bb.55:                               ;   in Loop: Header=BB182_53 Depth=1
	v_mov_b32_e32 v5, v2
	v_lshl_add_u64 v[4:5], v[84:85], 0, v[4:5]
	v_lshl_add_u64 v[4:5], v[4:5], 0, s[12:13]
	v_cmp_gt_i64_e32 vcc, s[8:9], v[4:5]
	v_mov_b32_e32 v89, 0
	s_and_saveexec_b64 s[38:39], vcc
	s_cbranch_execz .LBB182_57
; %bb.56:                               ;   in Loop: Header=BB182_53 Depth=1
	v_lshl_add_u64 v[4:5], v[4:5], 2, s[16:17]
	global_load_dword v89, v[4:5], off
.LBB182_57:                             ;   in Loop: Header=BB182_53 Depth=1
	s_or_b64 exec, exec, s[38:39]
.LBB182_58:                             ;   in Loop: Header=BB182_53 Depth=1
	s_or_b64 exec, exec, s[36:37]
	v_lshl_add_u64 v[4:5], v[84:85], 0, s[12:13]
	v_mov_b32_e32 v8, v2
	v_mov_b32_e32 v9, v2
	v_cmp_gt_i64_e32 vcc, s[8:9], v[4:5]
	v_mov_b32_e32 v3, v2
	v_mov_b32_e32 v4, v2
	;; [unrolled: 1-line block ×5, first 2 shown]
	v_mov_b64_e32 v[18:19], v[8:9]
	v_mov_b64_e32 v[16:17], v[6:7]
	;; [unrolled: 1-line block ×8, first 2 shown]
	s_and_saveexec_b64 s[36:37], vcc
	s_cbranch_execz .LBB182_60
; %bb.59:                               ;   in Loop: Header=BB182_53 Depth=1
	v_lshl_add_u64 v[4:5], v[52:53], 0, v[50:51]
	global_load_ushort v3, v[4:5], off
	v_lshl_add_u64 v[4:5], v[54:55], 0, v[50:51]
	global_load_ushort v12, v[4:5], off
	v_mov_b32_e32 v5, v2
	v_mov_b32_e32 v6, v2
	;; [unrolled: 1-line block ×14, first 2 shown]
	s_waitcnt vmcnt(1)
	v_cvt_f32_f16_e32 v4, v3
	s_waitcnt vmcnt(0)
	v_cvt_f32_f16_e32 v12, v12
.LBB182_60:                             ;   in Loop: Header=BB182_53 Depth=1
	s_or_b64 exec, exec, s[36:37]
	v_lshl_add_u64 v[90:91], v[84:85], 0, s[14:15]
	v_cmp_gt_i64_e32 vcc, s[8:9], v[90:91]
	s_and_saveexec_b64 s[36:37], vcc
	s_cbranch_execz .LBB182_62
; %bb.61:                               ;   in Loop: Header=BB182_53 Depth=1
	v_lshl_add_u64 v[90:91], v[80:81], 0, v[50:51]
	global_load_ushort v3, v[90:91], off
	v_lshl_add_u64 v[90:91], v[82:83], 0, v[50:51]
	global_load_ushort v13, v[90:91], off
	s_waitcnt vmcnt(1)
	v_cvt_f32_f16_e32 v5, v3
	s_waitcnt vmcnt(0)
	v_cvt_f32_f16_e32 v13, v13
.LBB182_62:                             ;   in Loop: Header=BB182_53 Depth=1
	s_or_b64 exec, exec, s[36:37]
	v_lshl_add_u64 v[90:91], v[84:85], 0, s[22:23]
	v_cmp_gt_i64_e32 vcc, s[8:9], v[90:91]
	s_and_saveexec_b64 s[36:37], vcc
	s_cbranch_execz .LBB182_64
; %bb.63:                               ;   in Loop: Header=BB182_53 Depth=1
	v_lshl_add_u64 v[90:91], v[76:77], 0, v[50:51]
	global_load_ushort v3, v[90:91], off
	v_lshl_add_u64 v[90:91], v[78:79], 0, v[50:51]
	global_load_ushort v14, v[90:91], off
	s_waitcnt vmcnt(1)
	v_cvt_f32_f16_e32 v6, v3
	s_waitcnt vmcnt(0)
	v_cvt_f32_f16_e32 v14, v14
.LBB182_64:                             ;   in Loop: Header=BB182_53 Depth=1
	;; [unrolled: 15-line block ×7, first 2 shown]
	s_or_b64 exec, exec, s[36:37]
	s_waitcnt vmcnt(0)
	ds_bpermute_b32 v90, v87, v89
	ds_bpermute_b32 v91, v87, v89 offset:4
	v_pk_mul_f32 v[6:7], v[14:15], v[6:7]
	ds_bpermute_b32 v14, v87, v89 offset:8
	ds_bpermute_b32 v15, v87, v89 offset:12
	v_pk_mul_f32 v[4:5], v[12:13], v[4:5]
	ds_bpermute_b32 v12, v87, v89 offset:24
	s_waitcnt lgkmcnt(3)
	v_pk_mul_f32 v[4:5], v[4:5], v[90:91]
	ds_bpermute_b32 v13, v87, v89 offset:28
	v_add_f32_e32 v3, v88, v4
	v_add_f32_e32 v3, v3, v5
	s_waitcnt lgkmcnt(2)
	v_pk_mul_f32 v[4:5], v[6:7], v[14:15]
	ds_bpermute_b32 v6, v87, v89 offset:16
	ds_bpermute_b32 v7, v87, v89 offset:20
	v_pk_mul_f32 v[8:9], v[16:17], v[8:9]
	v_add_f32_e32 v3, v3, v4
	v_add_f32_e32 v3, v3, v5
	v_pk_mul_f32 v[10:11], v[18:19], v[10:11]
	s_waitcnt lgkmcnt(0)
	v_pk_mul_f32 v[4:5], v[8:9], v[6:7]
	s_mov_b64 s[36:37], 0
	v_add_f32_e32 v3, v3, v4
	v_add_f32_e32 v3, v3, v5
	v_pk_mul_f32 v[4:5], v[10:11], v[12:13]
	s_nop 0
	v_add_f32_e32 v3, v3, v4
	v_add_f32_e32 v3, v3, v5
.LBB182_75:                             ;   in Loop: Header=BB182_53 Depth=1
	s_and_b64 vcc, exec, s[36:37]
	s_cbranch_vccz .LBB182_81
; %bb.76:                               ;   in Loop: Header=BB182_53 Depth=1
	s_load_dword s33, s[4:5], 0x0
	s_waitcnt lgkmcnt(0)
	s_cmp_lt_u32 s2, s33
	s_cselect_b32 s33, 12, 18
	s_add_u32 s36, s4, s33
	s_addc_u32 s37, s5, 0
	global_load_ushort v3, v2, s[36:37]
	s_waitcnt vmcnt(0)
	v_mad_u32_u24 v3, v86, v3, v1
	v_and_b32_e32 v4, 63, v3
	v_cmp_gt_u32_e32 vcc, 8, v4
	v_mov_b32_e32 v3, 0
	s_and_saveexec_b64 s[36:37], vcc
	s_cbranch_execz .LBB182_80
; %bb.77:                               ;   in Loop: Header=BB182_53 Depth=1
	v_mov_b32_e32 v5, v2
	v_lshl_add_u64 v[4:5], v[84:85], 0, v[4:5]
	v_lshl_add_u64 v[4:5], v[4:5], 0, s[12:13]
	v_cmp_gt_i64_e32 vcc, s[8:9], v[4:5]
	v_mov_b32_e32 v3, 0
	s_and_saveexec_b64 s[38:39], vcc
	s_cbranch_execz .LBB182_79
; %bb.78:                               ;   in Loop: Header=BB182_53 Depth=1
	v_lshl_add_u64 v[4:5], v[4:5], 2, s[16:17]
	global_load_dword v3, v[4:5], off
.LBB182_79:                             ;   in Loop: Header=BB182_53 Depth=1
	s_or_b64 exec, exec, s[38:39]
.LBB182_80:                             ;   in Loop: Header=BB182_53 Depth=1
	s_or_b64 exec, exec, s[36:37]
	v_lshl_add_u64 v[4:5], v[52:53], 0, v[50:51]
	global_load_ushort v12, v[4:5], off
	v_lshl_add_u64 v[4:5], v[54:55], 0, v[50:51]
	global_load_ushort v14, v[4:5], off
	;; [unrolled: 2-line block ×12, first 2 shown]
	v_lshl_add_u64 v[6:7], v[34:35], 0, v[50:51]
	v_lshl_add_u64 v[4:5], v[32:33], 0, v[50:51]
	global_load_ushort v93, v[6:7], off
	v_lshl_add_u64 v[6:7], v[48:49], 0, v[50:51]
	global_load_ushort v92, v[4:5], off
	;; [unrolled: 2-line block ×3, first 2 shown]
	global_load_ushort v96, v[4:5], off
	s_waitcnt vmcnt(16)
	ds_bpermute_b32 v4, v87, v3
	ds_bpermute_b32 v5, v87, v3 offset:4
	ds_bpermute_b32 v6, v87, v3 offset:8
	;; [unrolled: 1-line block ×7, first 2 shown]
	s_waitcnt vmcnt(15)
	v_cvt_f32_f16_e32 v12, v12
	s_waitcnt vmcnt(14)
	v_cvt_f32_f16_e32 v14, v14
	;; [unrolled: 2-line block ×6, first 2 shown]
	v_pk_mul_f32 v[12:13], v[12:13], v[14:15]
	s_waitcnt vmcnt(9)
	v_cvt_f32_f16_e32 v17, v17
	s_waitcnt lgkmcnt(6)
	v_pk_mul_f32 v[4:5], v[12:13], v[4:5]
	s_waitcnt vmcnt(8)
	v_cvt_f32_f16_e32 v19, v19
	v_add_f32_e32 v3, v88, v4
	s_waitcnt vmcnt(7)
	v_cvt_f32_f16_e32 v84, v84
	v_add_f32_e32 v3, v3, v5
	v_pk_mul_f32 v[14:15], v[16:17], v[18:19]
	s_waitcnt vmcnt(5)
	v_cvt_f32_f16_e32 v85, v85
	s_waitcnt lgkmcnt(4)
	v_pk_mul_f32 v[6:7], v[14:15], v[6:7]
	s_waitcnt vmcnt(4)
	v_cvt_f32_f16_e32 v91, v90
	v_cvt_f32_f16_e32 v90, v89
	v_add_f32_e32 v3, v3, v6
	s_waitcnt vmcnt(3)
	v_cvt_f32_f16_e32 v93, v93
	v_add_f32_e32 v3, v3, v7
	s_waitcnt vmcnt(2)
	v_cvt_f32_f16_e32 v92, v92
	s_waitcnt vmcnt(1)
	v_cvt_f32_f16_e32 v95, v94
	;; [unrolled: 2-line block ×3, first 2 shown]
	v_pk_mul_f32 v[16:17], v[84:85], v[90:91]
	v_pk_mul_f32 v[18:19], v[92:93], v[94:95]
	s_waitcnt lgkmcnt(2)
	v_pk_mul_f32 v[8:9], v[16:17], v[8:9]
	s_waitcnt lgkmcnt(0)
	v_pk_mul_f32 v[4:5], v[18:19], v[10:11]
	v_add_f32_e32 v3, v3, v8
	v_add_f32_e32 v3, v3, v9
	;; [unrolled: 1-line block ×4, first 2 shown]
.LBB182_81:                             ;   in Loop: Header=BB182_53 Depth=1
	s_add_u32 s18, s18, s3
	s_addc_u32 s19, s19, 0
	v_mov_b64_e32 v[4:5], s[8:9]
	s_add_u32 s20, s20, s3
	v_cmp_ge_i64_e32 vcc, s[18:19], v[4:5]
	v_lshl_add_u64 v[52:53], v[52:53], 0, s[6:7]
	v_lshl_add_u64 v[54:55], v[54:55], 0, s[6:7]
	s_addc_u32 s21, s21, 0
	v_lshl_add_u64 v[22:23], v[22:23], 0, s[6:7]
	v_lshl_add_u64 v[24:25], v[24:25], 0, s[6:7]
	;; [unrolled: 1-line block ×28, first 2 shown]
	s_cbranch_vccnz .LBB182_83
; %bb.82:                               ;   in Loop: Header=BB182_53 Depth=1
	v_mov_b32_e32 v88, v3
	s_branch .LBB182_53
.LBB182_83:
	v_and_b32_e32 v1, 0x3ff, v0
	v_bfe_u32 v0, v0, 10, 10
	v_mad_u32_u24 v2, v0, 33, v1
	v_lshl_add_u32 v4, v2, 2, 0
	v_sub_u32_e32 v5, v2, v0
	s_movk_i32 s3, 0x800
	ds_write_b32 v4, v3
	v_mov_b32_e32 v3, 0
	v_cmp_gt_u32_e32 vcc, s3, v5
	ds_write_b32 v4, v3 offset:2112
	s_waitcnt lgkmcnt(0)
	s_barrier
	s_and_saveexec_b64 s[4:5], vcc
	s_cbranch_execz .LBB182_103
; %bb.84:
	s_load_dwordx2 s[4:5], s[0:1], 0x30
	v_and_b32_e32 v2, 63, v5
	v_lshrrev_b32_e32 v0, 6, v5
	v_cmp_gt_u32_e32 vcc, 16, v2
	v_mul_u32_u24_e32 v4, 33, v2
                                        ; implicit-def: $vgpr2
	s_and_saveexec_b64 s[0:1], vcc
; %bb.85:
	v_lshlrev_b32_e32 v2, 2, v0
	v_lshlrev_b32_e32 v3, 2, v4
	v_add3_u32 v2, 0, v2, v3
	ds_read_b32 v2, v2
; %bb.86:
	s_or_b64 exec, exec, s[0:1]
	v_mbcnt_lo_u32_b32 v3, -1, 0
	v_mbcnt_hi_u32_b32 v3, -1, v3
	v_and_b32_e32 v6, 64, v3
	v_add_u32_e32 v9, 64, v6
	v_xor_b32_e32 v6, 8, v3
	v_cmp_lt_i32_e64 s[0:1], v6, v9
	v_xor_b32_e32 v8, 4, v3
	v_xor_b32_e32 v10, 2, v3
	v_cndmask_b32_e64 v6, v3, v6, s[0:1]
	v_lshlrev_b32_e32 v6, 2, v6
	s_waitcnt lgkmcnt(0)
	ds_bpermute_b32 v7, v6, v2
	v_cmp_lt_i32_e64 s[0:1], v8, v9
	v_xor_b32_e32 v11, 1, v3
	s_mov_b32 s3, 0
	s_lshl_b64 s[6:7], s[2:3], 5
	s_waitcnt lgkmcnt(0)
	v_add_f32_e32 v2, v2, v7
	v_cndmask_b32_e64 v7, v3, v8, s[0:1]
	v_lshlrev_b32_e32 v7, 2, v7
	ds_bpermute_b32 v8, v7, v2
	v_cmp_lt_i32_e64 s[0:1], v10, v9
	s_cmp_eq_u64 s[4:5], 0
	s_cselect_b64 s[8:9], -1, 0
	s_waitcnt lgkmcnt(0)
	v_add_f32_e32 v2, v2, v8
	v_cndmask_b32_e64 v8, v3, v10, s[0:1]
	v_lshlrev_b32_e32 v8, 2, v8
	ds_bpermute_b32 v10, v8, v2
	v_cmp_lt_i32_e64 s[0:1], v11, v9
	s_waitcnt lgkmcnt(0)
	v_add_f32_e32 v2, v2, v10
	v_cndmask_b32_e64 v3, v3, v11, s[0:1]
	v_lshlrev_b32_e32 v9, 2, v3
	ds_bpermute_b32 v3, v9, v2
	v_cmp_ne_u32_e64 s[0:1], 0, v1
	s_waitcnt lgkmcnt(0)
	v_add_f32_e32 v10, v2, v3
	v_or_b32_e32 v2, s6, v0
	v_mov_b32_e32 v3, s7
	v_cmp_le_i64_e64 s[2:3], s[10:11], v[2:3]
	s_or_b64 s[2:3], s[0:1], s[2:3]
	s_nor_b64 s[12:13], s[8:9], s[2:3]
	s_and_saveexec_b64 s[2:3], s[12:13]
	s_cbranch_execz .LBB182_88
; %bb.87:
	v_cvt_f16_f32_e32 v1, v10
	v_lshl_add_u64 v[2:3], v[2:3], 1, s[4:5]
	global_store_short v[2:3], v1, off
.LBB182_88:
	s_or_b64 exec, exec, s[2:3]
	s_movk_i32 s2, 0x600
	v_cmp_gt_u32_e64 s[2:3], s2, v5
	s_and_b64 exec, exec, s[2:3]
	s_cbranch_execz .LBB182_103
; %bb.89:
	v_mov_b32_e32 v1, 0
	s_and_saveexec_b64 s[2:3], vcc
; %bb.90:
	v_lshlrev_b32_e32 v2, 2, v0
	v_lshlrev_b32_e32 v3, 2, v4
	v_add3_u32 v2, 0, v2, v3
	ds_read_b32 v10, v2 offset:32
; %bb.91:
	s_or_b64 exec, exec, s[2:3]
	s_waitcnt lgkmcnt(0)
	ds_bpermute_b32 v2, v6, v10
	s_waitcnt lgkmcnt(0)
	v_add_f32_e32 v2, v10, v2
	ds_bpermute_b32 v3, v7, v2
	s_waitcnt lgkmcnt(0)
	v_add_f32_e32 v3, v2, v3
	ds_bpermute_b32 v10, v8, v3
	v_add_u32_e32 v2, 8, v0
	s_waitcnt lgkmcnt(0)
	v_add_f32_e32 v10, v3, v10
	ds_bpermute_b32 v11, v9, v10
	v_mov_b32_e32 v3, v1
	v_lshl_add_u64 v[2:3], s[6:7], 0, v[2:3]
	v_cmp_le_i64_e64 s[2:3], s[10:11], v[2:3]
	s_or_b64 s[2:3], s[0:1], s[2:3]
	s_waitcnt lgkmcnt(0)
	v_add_f32_e32 v2, v10, v11
	s_nor_b64 s[12:13], s[8:9], s[2:3]
	s_and_saveexec_b64 s[2:3], s[12:13]
	s_cbranch_execz .LBB182_93
; %bb.92:
	v_cvt_f16_f32_e32 v3, v2
	v_lshl_add_u64 v[10:11], s[6:7], 0, v[0:1]
	v_lshl_add_u64 v[10:11], v[10:11], 1, s[4:5]
	global_store_short v[10:11], v3, off offset:16
.LBB182_93:
	s_or_b64 exec, exec, s[2:3]
	s_movk_i32 s2, 0x400
	v_cmp_gt_u32_e64 s[2:3], s2, v5
	s_and_b64 exec, exec, s[2:3]
	s_cbranch_execz .LBB182_103
; %bb.94:
	s_and_saveexec_b64 s[2:3], vcc
; %bb.95:
	v_lshlrev_b32_e32 v2, 2, v0
	v_lshlrev_b32_e32 v3, 2, v4
	v_add3_u32 v2, 0, v2, v3
	ds_read_b32 v2, v2 offset:64
; %bb.96:
	s_or_b64 exec, exec, s[2:3]
	s_waitcnt lgkmcnt(0)
	ds_bpermute_b32 v3, v6, v2
	v_add_u32_e32 v10, 16, v0
	s_waitcnt lgkmcnt(0)
	v_add_f32_e32 v2, v2, v3
	ds_bpermute_b32 v3, v7, v2
	s_waitcnt lgkmcnt(0)
	v_add_f32_e32 v2, v2, v3
	ds_bpermute_b32 v3, v8, v2
	;; [unrolled: 3-line block ×3, first 2 shown]
	v_mov_b32_e32 v3, s7
	v_or_b32_e32 v2, s6, v10
	v_cmp_le_i64_e64 s[2:3], s[10:11], v[2:3]
	s_or_b64 s[2:3], s[0:1], s[2:3]
	s_waitcnt lgkmcnt(0)
	v_add_f32_e32 v2, v11, v12
	s_nor_b64 s[12:13], s[8:9], s[2:3]
	s_and_saveexec_b64 s[2:3], s[12:13]
	s_cbranch_execz .LBB182_98
; %bb.97:
	v_cvt_f16_f32_e32 v3, v2
	v_lshl_add_u64 v[10:11], s[6:7], 0, v[0:1]
	v_lshl_add_u64 v[10:11], v[10:11], 1, s[4:5]
	global_store_short v[10:11], v3, off offset:32
.LBB182_98:
	s_or_b64 exec, exec, s[2:3]
	s_movk_i32 s2, 0x200
	v_cmp_gt_u32_e64 s[2:3], s2, v5
	s_and_b64 exec, exec, s[2:3]
	s_cbranch_execz .LBB182_103
; %bb.99:
	s_and_saveexec_b64 s[2:3], vcc
; %bb.100:
	v_lshlrev_b32_e32 v2, 2, v0
	v_lshlrev_b32_e32 v3, 2, v4
	v_add3_u32 v2, 0, v2, v3
	ds_read_b32 v2, v2 offset:96
; %bb.101:
	s_or_b64 exec, exec, s[2:3]
	s_waitcnt lgkmcnt(0)
	ds_bpermute_b32 v3, v6, v2
	v_add_u32_e32 v4, 24, v0
	v_or_b32_e32 v4, s6, v4
	v_mov_b32_e32 v5, s7
	v_cmp_le_i64_e32 vcc, s[10:11], v[4:5]
	s_waitcnt lgkmcnt(0)
	v_add_f32_e32 v2, v2, v3
	ds_bpermute_b32 v3, v7, v2
	s_or_b64 s[0:1], s[0:1], vcc
	s_nor_b64 s[0:1], s[8:9], s[0:1]
	s_waitcnt lgkmcnt(0)
	v_add_f32_e32 v2, v2, v3
	ds_bpermute_b32 v3, v8, v2
	s_waitcnt lgkmcnt(0)
	v_add_f32_e32 v2, v2, v3
	ds_bpermute_b32 v3, v9, v2
	s_and_saveexec_b64 s[2:3], s[0:1]
	s_xor_b64 s[2:3], exec, s[2:3]
	s_cbranch_execz .LBB182_103
; %bb.102:
	s_waitcnt lgkmcnt(0)
	v_add_f32_e32 v2, v2, v3
	v_cvt_f16_f32_e32 v2, v2
	v_lshl_add_u64 v[0:1], s[6:7], 0, v[0:1]
	v_lshl_add_u64 v[0:1], v[0:1], 1, s[4:5]
	global_store_short v[0:1], v2, off offset:48
.LBB182_103:
	s_endpgm
	.section	.rodata,"a",@progbits
	.p2align	6, 0x0
	.amdhsa_kernel _ZN2at6native12_GLOBAL__N_135GammaBetaBackwardCUDAKernelTemplateIN3c104HalfEfLj32ELj16ELj128ELb0ELb0ELb1EEEvllPKT_S7_PKT0_SA_PS5_SB_
		.amdhsa_group_segment_fixed_size 0
		.amdhsa_private_segment_fixed_size 0
		.amdhsa_kernarg_size 320
		.amdhsa_user_sgpr_count 2
		.amdhsa_user_sgpr_dispatch_ptr 0
		.amdhsa_user_sgpr_queue_ptr 0
		.amdhsa_user_sgpr_kernarg_segment_ptr 1
		.amdhsa_user_sgpr_dispatch_id 0
		.amdhsa_user_sgpr_kernarg_preload_length 0
		.amdhsa_user_sgpr_kernarg_preload_offset 0
		.amdhsa_user_sgpr_private_segment_size 0
		.amdhsa_uses_dynamic_stack 0
		.amdhsa_enable_private_segment 0
		.amdhsa_system_sgpr_workgroup_id_x 1
		.amdhsa_system_sgpr_workgroup_id_y 1
		.amdhsa_system_sgpr_workgroup_id_z 0
		.amdhsa_system_sgpr_workgroup_info 0
		.amdhsa_system_vgpr_workitem_id 1
		.amdhsa_next_free_vgpr 97
		.amdhsa_next_free_sgpr 50
		.amdhsa_accum_offset 100
		.amdhsa_reserve_vcc 1
		.amdhsa_float_round_mode_32 0
		.amdhsa_float_round_mode_16_64 0
		.amdhsa_float_denorm_mode_32 3
		.amdhsa_float_denorm_mode_16_64 3
		.amdhsa_dx10_clamp 1
		.amdhsa_ieee_mode 1
		.amdhsa_fp16_overflow 0
		.amdhsa_tg_split 0
		.amdhsa_exception_fp_ieee_invalid_op 0
		.amdhsa_exception_fp_denorm_src 0
		.amdhsa_exception_fp_ieee_div_zero 0
		.amdhsa_exception_fp_ieee_overflow 0
		.amdhsa_exception_fp_ieee_underflow 0
		.amdhsa_exception_fp_ieee_inexact 0
		.amdhsa_exception_int_div_zero 0
	.end_amdhsa_kernel
	.section	.text._ZN2at6native12_GLOBAL__N_135GammaBetaBackwardCUDAKernelTemplateIN3c104HalfEfLj32ELj16ELj128ELb0ELb0ELb1EEEvllPKT_S7_PKT0_SA_PS5_SB_,"axG",@progbits,_ZN2at6native12_GLOBAL__N_135GammaBetaBackwardCUDAKernelTemplateIN3c104HalfEfLj32ELj16ELj128ELb0ELb0ELb1EEEvllPKT_S7_PKT0_SA_PS5_SB_,comdat
.Lfunc_end182:
	.size	_ZN2at6native12_GLOBAL__N_135GammaBetaBackwardCUDAKernelTemplateIN3c104HalfEfLj32ELj16ELj128ELb0ELb0ELb1EEEvllPKT_S7_PKT0_SA_PS5_SB_, .Lfunc_end182-_ZN2at6native12_GLOBAL__N_135GammaBetaBackwardCUDAKernelTemplateIN3c104HalfEfLj32ELj16ELj128ELb0ELb0ELb1EEEvllPKT_S7_PKT0_SA_PS5_SB_
                                        ; -- End function
	.set _ZN2at6native12_GLOBAL__N_135GammaBetaBackwardCUDAKernelTemplateIN3c104HalfEfLj32ELj16ELj128ELb0ELb0ELb1EEEvllPKT_S7_PKT0_SA_PS5_SB_.num_vgpr, 97
	.set _ZN2at6native12_GLOBAL__N_135GammaBetaBackwardCUDAKernelTemplateIN3c104HalfEfLj32ELj16ELj128ELb0ELb0ELb1EEEvllPKT_S7_PKT0_SA_PS5_SB_.num_agpr, 0
	.set _ZN2at6native12_GLOBAL__N_135GammaBetaBackwardCUDAKernelTemplateIN3c104HalfEfLj32ELj16ELj128ELb0ELb0ELb1EEEvllPKT_S7_PKT0_SA_PS5_SB_.numbered_sgpr, 50
	.set _ZN2at6native12_GLOBAL__N_135GammaBetaBackwardCUDAKernelTemplateIN3c104HalfEfLj32ELj16ELj128ELb0ELb0ELb1EEEvllPKT_S7_PKT0_SA_PS5_SB_.num_named_barrier, 0
	.set _ZN2at6native12_GLOBAL__N_135GammaBetaBackwardCUDAKernelTemplateIN3c104HalfEfLj32ELj16ELj128ELb0ELb0ELb1EEEvllPKT_S7_PKT0_SA_PS5_SB_.private_seg_size, 0
	.set _ZN2at6native12_GLOBAL__N_135GammaBetaBackwardCUDAKernelTemplateIN3c104HalfEfLj32ELj16ELj128ELb0ELb0ELb1EEEvllPKT_S7_PKT0_SA_PS5_SB_.uses_vcc, 1
	.set _ZN2at6native12_GLOBAL__N_135GammaBetaBackwardCUDAKernelTemplateIN3c104HalfEfLj32ELj16ELj128ELb0ELb0ELb1EEEvllPKT_S7_PKT0_SA_PS5_SB_.uses_flat_scratch, 0
	.set _ZN2at6native12_GLOBAL__N_135GammaBetaBackwardCUDAKernelTemplateIN3c104HalfEfLj32ELj16ELj128ELb0ELb0ELb1EEEvllPKT_S7_PKT0_SA_PS5_SB_.has_dyn_sized_stack, 0
	.set _ZN2at6native12_GLOBAL__N_135GammaBetaBackwardCUDAKernelTemplateIN3c104HalfEfLj32ELj16ELj128ELb0ELb0ELb1EEEvllPKT_S7_PKT0_SA_PS5_SB_.has_recursion, 0
	.set _ZN2at6native12_GLOBAL__N_135GammaBetaBackwardCUDAKernelTemplateIN3c104HalfEfLj32ELj16ELj128ELb0ELb0ELb1EEEvllPKT_S7_PKT0_SA_PS5_SB_.has_indirect_call, 0
	.section	.AMDGPU.csdata,"",@progbits
; Kernel info:
; codeLenInByte = 7120
; TotalNumSgprs: 56
; NumVgprs: 97
; NumAgprs: 0
; TotalNumVgprs: 97
; ScratchSize: 0
; MemoryBound: 0
; FloatMode: 240
; IeeeMode: 1
; LDSByteSize: 0 bytes/workgroup (compile time only)
; SGPRBlocks: 6
; VGPRBlocks: 12
; NumSGPRsForWavesPerEU: 56
; NumVGPRsForWavesPerEU: 97
; AccumOffset: 100
; Occupancy: 4
; WaveLimiterHint : 0
; COMPUTE_PGM_RSRC2:SCRATCH_EN: 0
; COMPUTE_PGM_RSRC2:USER_SGPR: 2
; COMPUTE_PGM_RSRC2:TRAP_HANDLER: 0
; COMPUTE_PGM_RSRC2:TGID_X_EN: 1
; COMPUTE_PGM_RSRC2:TGID_Y_EN: 1
; COMPUTE_PGM_RSRC2:TGID_Z_EN: 0
; COMPUTE_PGM_RSRC2:TIDIG_COMP_CNT: 1
; COMPUTE_PGM_RSRC3_GFX90A:ACCUM_OFFSET: 24
; COMPUTE_PGM_RSRC3_GFX90A:TG_SPLIT: 0
	.section	.text._ZN2at6native12_GLOBAL__N_135GammaBetaBackwardCUDAKernelTemplateIN3c104HalfEfLj32ELj32ELj256ELb0ELb1ELb1EEEvllPKT_S7_PKT0_SA_PS5_SB_,"axG",@progbits,_ZN2at6native12_GLOBAL__N_135GammaBetaBackwardCUDAKernelTemplateIN3c104HalfEfLj32ELj32ELj256ELb0ELb1ELb1EEEvllPKT_S7_PKT0_SA_PS5_SB_,comdat
	.globl	_ZN2at6native12_GLOBAL__N_135GammaBetaBackwardCUDAKernelTemplateIN3c104HalfEfLj32ELj32ELj256ELb0ELb1ELb1EEEvllPKT_S7_PKT0_SA_PS5_SB_ ; -- Begin function _ZN2at6native12_GLOBAL__N_135GammaBetaBackwardCUDAKernelTemplateIN3c104HalfEfLj32ELj32ELj256ELb0ELb1ELb1EEEvllPKT_S7_PKT0_SA_PS5_SB_
	.p2align	8
	.type	_ZN2at6native12_GLOBAL__N_135GammaBetaBackwardCUDAKernelTemplateIN3c104HalfEfLj32ELj32ELj256ELb0ELb1ELb1EEEvllPKT_S7_PKT0_SA_PS5_SB_,@function
_ZN2at6native12_GLOBAL__N_135GammaBetaBackwardCUDAKernelTemplateIN3c104HalfEfLj32ELj32ELj256ELb0ELb1ELb1EEEvllPKT_S7_PKT0_SA_PS5_SB_: ; @_ZN2at6native12_GLOBAL__N_135GammaBetaBackwardCUDAKernelTemplateIN3c104HalfEfLj32ELj32ELj256ELb0ELb1ELb1EEEvllPKT_S7_PKT0_SA_PS5_SB_
; %bb.0:
	s_load_dwordx4 s[4:7], s[0:1], 0x0
	s_lshl_b32 s14, s3, 8
	s_mov_b32 s15, 0
	v_mov_b64_e32 v[2:3], s[14:15]
	v_bfe_u32 v12, v0, 10, 10
	s_waitcnt lgkmcnt(0)
	v_cmp_gt_i64_e32 vcc, s[4:5], v[2:3]
	s_cbranch_vccnz .LBB183_2
; %bb.1:
	s_mov_b64 s[8:9], 0
	v_bfe_u32 v2, v0, 10, 10
	s_branch .LBB183_3
.LBB183_2:
	s_mov_b64 s[8:9], -1
                                        ; implicit-def: $vgpr2
.LBB183_3:
	s_load_dwordx2 s[12:13], s[0:1], 0x30
	v_and_b32_e32 v10, 0x3ff, v0
	v_mov_b32_e32 v1, 0
	s_andn2_b64 vcc, exec, s[8:9]
	v_mbcnt_lo_u32_b32 v11, -1, 0
	s_cbranch_vccnz .LBB183_11
; %bb.4:
	s_load_dword s3, s[0:1], 0x4c
	s_load_dword s16, s[0:1], 0x44
	s_load_dwordx2 s[18:19], s[0:1], 0x28
	s_load_dwordx4 s[8:11], s[0:1], 0x10
	v_lshlrev_b32_e32 v0, 3, v12
	s_waitcnt lgkmcnt(0)
	s_and_b32 s0, s3, 0xffff
	v_mad_u32_u24 v1, v12, s0, v10
	v_and_b32_e32 v2, 63, v1
	v_mov_b32_e32 v1, 0
	v_mov_b32_e32 v3, v1
	v_lshl_add_u64 v[8:9], v[0:1], 0, s[14:15]
	v_cmp_gt_u32_e64 s[0:1], 8, v2
	v_mbcnt_hi_u32_b32 v4, -1, v11
	s_lshl_b32 s16, s16, 8
	v_lshl_add_u64 v[2:3], v[8:9], 0, v[2:3]
	v_mul_lo_u32 v0, s7, v8
	v_mul_lo_u32 v21, s6, v9
	v_mad_u64_u32 v[8:9], s[20:21], s6, v8, 0
	v_lshl_add_u32 v6, s2, 5, v10
	v_mov_b32_e32 v7, v1
	v_lshlrev_b32_e32 v4, 2, v4
	s_mul_i32 s3, s7, s16
	s_mul_hi_u32 s20, s6, s16
	s_mov_b32 s17, 0
	v_and_b32_e32 v13, 0x100, v4
	v_add3_u32 v9, v9, v21, v0
	v_lshlrev_b64 v[6:7], 1, v[6:7]
	s_add_i32 s21, s20, s3
	s_mul_i32 s20, s6, s16
	v_or_b32_e32 v14, 4, v13
	v_or_b32_e32 v15, 8, v13
	;; [unrolled: 1-line block ×7, first 2 shown]
	v_lshl_add_u64 v[4:5], v[2:3], 2, s[18:19]
	s_lshl_b64 s[18:19], s[16:17], 2
	v_lshl_add_u64 v[6:7], v[8:9], 1, v[6:7]
	s_lshl_b64 s[20:21], s[20:21], 1
	s_lshl_b64 s[6:7], s[6:7], 1
	v_mov_b64_e32 v[8:9], s[4:5]
	s_branch .LBB183_7
.LBB183_5:                              ;   in Loop: Header=BB183_7 Depth=1
	s_or_b64 exec, exec, s[24:25]
.LBB183_6:                              ;   in Loop: Header=BB183_7 Depth=1
	s_or_b64 exec, exec, s[22:23]
	v_lshl_add_u64 v[22:23], s[8:9], 0, v[6:7]
	global_load_ushort v21, v[22:23], off
	v_lshl_add_u64 v[24:25], s[10:11], 0, v[6:7]
	v_lshl_add_u64 v[22:23], v[22:23], 0, s[6:7]
	global_load_ushort v31, v[24:25], off
	global_load_ushort v33, v[22:23], off
	v_lshl_add_u64 v[24:25], v[24:25], 0, s[6:7]
	v_lshl_add_u64 v[22:23], v[22:23], 0, s[6:7]
	global_load_ushort v34, v[24:25], off
	;; [unrolled: 4-line block ×7, first 2 shown]
	v_lshl_add_u64 v[22:23], v[24:25], 0, s[6:7]
	global_load_ushort v44, v[24:25], off
	global_load_ushort v46, v[22:23], off
	s_waitcnt vmcnt(16)
	ds_bpermute_b32 v22, v13, v0
	ds_bpermute_b32 v23, v14, v0
	;; [unrolled: 1-line block ×8, first 2 shown]
	s_add_u32 s14, s14, s16
	s_addc_u32 s15, s15, 0
	v_cmp_lt_i64_e32 vcc, s[14:15], v[8:9]
	v_lshl_add_u64 v[4:5], v[4:5], 0, s[18:19]
	v_lshl_add_u64 v[2:3], v[2:3], 0, s[16:17]
	;; [unrolled: 1-line block ×3, first 2 shown]
	s_and_b64 vcc, exec, vcc
	s_waitcnt vmcnt(15)
	v_cvt_f32_f16_e32 v30, v21
	s_waitcnt vmcnt(14)
	v_cvt_f32_f16_e32 v32, v31
	;; [unrolled: 2-line block ×7, first 2 shown]
	v_pk_mul_f32 v[30:31], v[30:31], v[32:33]
	s_waitcnt vmcnt(8)
	v_cvt_f32_f16_e32 v37, v38
	s_waitcnt vmcnt(7)
	v_cvt_f32_f16_e32 v38, v39
	s_waitcnt lgkmcnt(6)
	v_pk_mul_f32 v[22:23], v[30:31], v[22:23]
	s_waitcnt vmcnt(6)
	v_cvt_f32_f16_e32 v40, v40
	s_waitcnt vmcnt(5)
	v_cvt_f32_f16_e32 v39, v41
	v_add_f32_e32 v21, v1, v22
	v_pk_mul_f32 v[32:33], v[34:35], v[36:37]
	s_waitcnt vmcnt(4)
	v_cvt_f32_f16_e32 v41, v42
	s_waitcnt vmcnt(3)
	v_cvt_f32_f16_e32 v0, v43
	v_add_f32_e32 v21, v21, v23
	s_waitcnt lgkmcnt(4)
	v_pk_mul_f32 v[22:23], v[32:33], v[24:25]
	s_waitcnt vmcnt(2)
	v_cvt_f32_f16_e32 v1, v45
	v_add_f32_e32 v21, v21, v22
	s_waitcnt vmcnt(1)
	v_cvt_f32_f16_e32 v30, v44
	s_waitcnt vmcnt(0)
	v_cvt_f32_f16_e32 v31, v46
	v_pk_mul_f32 v[24:25], v[38:39], v[40:41]
	v_add_f32_e32 v21, v21, v23
	s_waitcnt lgkmcnt(2)
	v_pk_mul_f32 v[22:23], v[24:25], v[26:27]
	v_pk_mul_f32 v[0:1], v[0:1], v[30:31]
	v_add_f32_e32 v21, v21, v22
	v_add_f32_e32 v21, v21, v23
	s_waitcnt lgkmcnt(0)
	v_pk_mul_f32 v[0:1], v[0:1], v[28:29]
	s_nop 0
	v_add_f32_e32 v0, v21, v0
	v_add_f32_e32 v1, v0, v1
	s_cbranch_vccz .LBB183_10
.LBB183_7:                              ; =>This Inner Loop Header: Depth=1
	v_mov_b32_e32 v0, 0
	s_and_saveexec_b64 s[22:23], s[0:1]
	s_cbranch_execz .LBB183_6
; %bb.8:                                ;   in Loop: Header=BB183_7 Depth=1
	v_cmp_gt_i64_e32 vcc, s[4:5], v[2:3]
	v_mov_b32_e32 v0, 0
	s_and_saveexec_b64 s[24:25], vcc
	s_cbranch_execz .LBB183_5
; %bb.9:                                ;   in Loop: Header=BB183_7 Depth=1
	global_load_dword v0, v[4:5], off
	s_branch .LBB183_5
.LBB183_10:
	v_mov_b32_e32 v2, v12
.LBB183_11:
	v_mad_u32_u24 v0, v2, 33, v10
	v_lshl_add_u32 v3, v0, 2, 0
	v_sub_u32_e32 v2, v0, v2
	s_movk_i32 s0, 0x800
	ds_write_b32 v3, v1
	v_mov_b32_e32 v1, 0
	v_cmp_gt_u32_e32 vcc, s0, v2
	ds_write_b32 v3, v1 offset:4224
	s_waitcnt lgkmcnt(0)
	s_barrier
	s_and_saveexec_b64 s[0:1], vcc
	s_cbranch_execz .LBB183_21
; %bb.12:
	v_and_b32_e32 v1, 63, v2
	v_lshrrev_b32_e32 v0, 6, v2
	v_cmp_gt_u32_e32 vcc, 32, v1
	v_mul_u32_u24_e32 v1, 33, v1
                                        ; implicit-def: $vgpr4
	s_and_saveexec_b64 s[0:1], vcc
; %bb.13:
	v_lshlrev_b32_e32 v3, 2, v0
	v_lshlrev_b32_e32 v4, 2, v1
	v_add3_u32 v3, 0, v3, v4
	ds_read_b32 v4, v3
; %bb.14:
	s_or_b64 exec, exec, s[0:1]
	v_mbcnt_hi_u32_b32 v7, -1, v11
	v_and_b32_e32 v3, 64, v7
	v_add_u32_e32 v8, 64, v3
	v_xor_b32_e32 v3, 16, v7
	v_cmp_lt_i32_e64 s[0:1], v3, v8
	v_xor_b32_e32 v6, 8, v7
	v_xor_b32_e32 v9, 4, v7
	v_cndmask_b32_e64 v3, v7, v3, s[0:1]
	v_lshlrev_b32_e32 v3, 2, v3
	s_waitcnt lgkmcnt(0)
	ds_bpermute_b32 v5, v3, v4
	v_cmp_lt_i32_e64 s[0:1], v6, v8
	v_xor_b32_e32 v11, 2, v7
	s_cmp_lg_u64 s[12:13], 0
	s_mov_b32 s3, 0
	s_waitcnt lgkmcnt(0)
	v_add_f32_e32 v5, v4, v5
	v_cndmask_b32_e64 v4, v7, v6, s[0:1]
	v_lshlrev_b32_e32 v4, 2, v4
	ds_bpermute_b32 v6, v4, v5
	v_cmp_lt_i32_e64 s[0:1], v9, v8
	s_cselect_b64 s[6:7], -1, 0
	s_waitcnt lgkmcnt(0)
	v_add_f32_e32 v6, v5, v6
	v_cndmask_b32_e64 v5, v7, v9, s[0:1]
	v_lshlrev_b32_e32 v5, 2, v5
	ds_bpermute_b32 v9, v5, v6
	v_cmp_lt_i32_e64 s[0:1], v11, v8
	s_waitcnt lgkmcnt(0)
	v_add_f32_e32 v9, v6, v9
	v_cndmask_b32_e64 v6, v7, v11, s[0:1]
	v_lshlrev_b32_e32 v6, 2, v6
	ds_bpermute_b32 v11, v6, v9
	v_cmp_eq_u32_e64 s[0:1], 0, v10
	v_xor_b32_e32 v10, 1, v7
	v_cmp_lt_i32_e64 s[4:5], v10, v8
	s_waitcnt lgkmcnt(0)
	v_add_f32_e32 v9, v9, v11
	v_cndmask_b32_e64 v7, v7, v10, s[4:5]
	v_lshlrev_b32_e32 v7, 2, v7
	ds_bpermute_b32 v8, v7, v9
	s_and_b64 s[4:5], s[0:1], s[6:7]
	s_lshl_b64 s[0:1], s[2:3], 6
	s_add_u32 s2, s12, s0
	s_addc_u32 s3, s13, s1
	s_waitcnt lgkmcnt(0)
	v_add_f32_e32 v8, v9, v8
	s_and_saveexec_b64 s[0:1], s[4:5]
	s_cbranch_execz .LBB183_16
; %bb.15:
	v_cvt_f16_f32_e32 v9, v8
	v_lshlrev_b32_e32 v10, 1, v0
	global_store_short v10, v9, s[2:3]
.LBB183_16:
	s_or_b64 exec, exec, s[0:1]
	s_movk_i32 s0, 0x400
	v_cmp_gt_u32_e64 s[0:1], s0, v2
	s_and_b64 exec, exec, s[0:1]
	s_cbranch_execz .LBB183_21
; %bb.17:
	s_and_saveexec_b64 s[0:1], vcc
; %bb.18:
	v_lshlrev_b32_e32 v2, 2, v0
	v_lshlrev_b32_e32 v1, 2, v1
	v_add3_u32 v1, 0, v2, v1
	ds_read_b32 v8, v1 offset:64
; %bb.19:
	s_or_b64 exec, exec, s[0:1]
	s_waitcnt lgkmcnt(0)
	ds_bpermute_b32 v1, v3, v8
	s_waitcnt lgkmcnt(0)
	v_add_f32_e32 v1, v8, v1
	ds_bpermute_b32 v2, v4, v1
	s_waitcnt lgkmcnt(0)
	v_add_f32_e32 v1, v1, v2
	;; [unrolled: 3-line block ×4, first 2 shown]
	ds_bpermute_b32 v2, v7, v1
	s_and_saveexec_b64 s[0:1], s[4:5]
	s_xor_b64 s[0:1], exec, s[0:1]
	s_cbranch_execz .LBB183_21
; %bb.20:
	s_waitcnt lgkmcnt(0)
	v_add_f32_e32 v1, v1, v2
	v_cvt_f16_f32_e32 v1, v1
	v_lshlrev_b32_e32 v0, 1, v0
	global_store_short v0, v1, s[2:3] offset:32
.LBB183_21:
	s_endpgm
	.section	.rodata,"a",@progbits
	.p2align	6, 0x0
	.amdhsa_kernel _ZN2at6native12_GLOBAL__N_135GammaBetaBackwardCUDAKernelTemplateIN3c104HalfEfLj32ELj32ELj256ELb0ELb1ELb1EEEvllPKT_S7_PKT0_SA_PS5_SB_
		.amdhsa_group_segment_fixed_size 0
		.amdhsa_private_segment_fixed_size 0
		.amdhsa_kernarg_size 320
		.amdhsa_user_sgpr_count 2
		.amdhsa_user_sgpr_dispatch_ptr 0
		.amdhsa_user_sgpr_queue_ptr 0
		.amdhsa_user_sgpr_kernarg_segment_ptr 1
		.amdhsa_user_sgpr_dispatch_id 0
		.amdhsa_user_sgpr_kernarg_preload_length 0
		.amdhsa_user_sgpr_kernarg_preload_offset 0
		.amdhsa_user_sgpr_private_segment_size 0
		.amdhsa_uses_dynamic_stack 0
		.amdhsa_enable_private_segment 0
		.amdhsa_system_sgpr_workgroup_id_x 1
		.amdhsa_system_sgpr_workgroup_id_y 1
		.amdhsa_system_sgpr_workgroup_id_z 0
		.amdhsa_system_sgpr_workgroup_info 0
		.amdhsa_system_vgpr_workitem_id 1
		.amdhsa_next_free_vgpr 47
		.amdhsa_next_free_sgpr 26
		.amdhsa_accum_offset 48
		.amdhsa_reserve_vcc 1
		.amdhsa_float_round_mode_32 0
		.amdhsa_float_round_mode_16_64 0
		.amdhsa_float_denorm_mode_32 3
		.amdhsa_float_denorm_mode_16_64 3
		.amdhsa_dx10_clamp 1
		.amdhsa_ieee_mode 1
		.amdhsa_fp16_overflow 0
		.amdhsa_tg_split 0
		.amdhsa_exception_fp_ieee_invalid_op 0
		.amdhsa_exception_fp_denorm_src 0
		.amdhsa_exception_fp_ieee_div_zero 0
		.amdhsa_exception_fp_ieee_overflow 0
		.amdhsa_exception_fp_ieee_underflow 0
		.amdhsa_exception_fp_ieee_inexact 0
		.amdhsa_exception_int_div_zero 0
	.end_amdhsa_kernel
	.section	.text._ZN2at6native12_GLOBAL__N_135GammaBetaBackwardCUDAKernelTemplateIN3c104HalfEfLj32ELj32ELj256ELb0ELb1ELb1EEEvllPKT_S7_PKT0_SA_PS5_SB_,"axG",@progbits,_ZN2at6native12_GLOBAL__N_135GammaBetaBackwardCUDAKernelTemplateIN3c104HalfEfLj32ELj32ELj256ELb0ELb1ELb1EEEvllPKT_S7_PKT0_SA_PS5_SB_,comdat
.Lfunc_end183:
	.size	_ZN2at6native12_GLOBAL__N_135GammaBetaBackwardCUDAKernelTemplateIN3c104HalfEfLj32ELj32ELj256ELb0ELb1ELb1EEEvllPKT_S7_PKT0_SA_PS5_SB_, .Lfunc_end183-_ZN2at6native12_GLOBAL__N_135GammaBetaBackwardCUDAKernelTemplateIN3c104HalfEfLj32ELj32ELj256ELb0ELb1ELb1EEEvllPKT_S7_PKT0_SA_PS5_SB_
                                        ; -- End function
	.set _ZN2at6native12_GLOBAL__N_135GammaBetaBackwardCUDAKernelTemplateIN3c104HalfEfLj32ELj32ELj256ELb0ELb1ELb1EEEvllPKT_S7_PKT0_SA_PS5_SB_.num_vgpr, 47
	.set _ZN2at6native12_GLOBAL__N_135GammaBetaBackwardCUDAKernelTemplateIN3c104HalfEfLj32ELj32ELj256ELb0ELb1ELb1EEEvllPKT_S7_PKT0_SA_PS5_SB_.num_agpr, 0
	.set _ZN2at6native12_GLOBAL__N_135GammaBetaBackwardCUDAKernelTemplateIN3c104HalfEfLj32ELj32ELj256ELb0ELb1ELb1EEEvllPKT_S7_PKT0_SA_PS5_SB_.numbered_sgpr, 26
	.set _ZN2at6native12_GLOBAL__N_135GammaBetaBackwardCUDAKernelTemplateIN3c104HalfEfLj32ELj32ELj256ELb0ELb1ELb1EEEvllPKT_S7_PKT0_SA_PS5_SB_.num_named_barrier, 0
	.set _ZN2at6native12_GLOBAL__N_135GammaBetaBackwardCUDAKernelTemplateIN3c104HalfEfLj32ELj32ELj256ELb0ELb1ELb1EEEvllPKT_S7_PKT0_SA_PS5_SB_.private_seg_size, 0
	.set _ZN2at6native12_GLOBAL__N_135GammaBetaBackwardCUDAKernelTemplateIN3c104HalfEfLj32ELj32ELj256ELb0ELb1ELb1EEEvllPKT_S7_PKT0_SA_PS5_SB_.uses_vcc, 1
	.set _ZN2at6native12_GLOBAL__N_135GammaBetaBackwardCUDAKernelTemplateIN3c104HalfEfLj32ELj32ELj256ELb0ELb1ELb1EEEvllPKT_S7_PKT0_SA_PS5_SB_.uses_flat_scratch, 0
	.set _ZN2at6native12_GLOBAL__N_135GammaBetaBackwardCUDAKernelTemplateIN3c104HalfEfLj32ELj32ELj256ELb0ELb1ELb1EEEvllPKT_S7_PKT0_SA_PS5_SB_.has_dyn_sized_stack, 0
	.set _ZN2at6native12_GLOBAL__N_135GammaBetaBackwardCUDAKernelTemplateIN3c104HalfEfLj32ELj32ELj256ELb0ELb1ELb1EEEvllPKT_S7_PKT0_SA_PS5_SB_.has_recursion, 0
	.set _ZN2at6native12_GLOBAL__N_135GammaBetaBackwardCUDAKernelTemplateIN3c104HalfEfLj32ELj32ELj256ELb0ELb1ELb1EEEvllPKT_S7_PKT0_SA_PS5_SB_.has_indirect_call, 0
	.section	.AMDGPU.csdata,"",@progbits
; Kernel info:
; codeLenInByte = 1576
; TotalNumSgprs: 32
; NumVgprs: 47
; NumAgprs: 0
; TotalNumVgprs: 47
; ScratchSize: 0
; MemoryBound: 0
; FloatMode: 240
; IeeeMode: 1
; LDSByteSize: 0 bytes/workgroup (compile time only)
; SGPRBlocks: 3
; VGPRBlocks: 5
; NumSGPRsForWavesPerEU: 32
; NumVGPRsForWavesPerEU: 47
; AccumOffset: 48
; Occupancy: 8
; WaveLimiterHint : 0
; COMPUTE_PGM_RSRC2:SCRATCH_EN: 0
; COMPUTE_PGM_RSRC2:USER_SGPR: 2
; COMPUTE_PGM_RSRC2:TRAP_HANDLER: 0
; COMPUTE_PGM_RSRC2:TGID_X_EN: 1
; COMPUTE_PGM_RSRC2:TGID_Y_EN: 1
; COMPUTE_PGM_RSRC2:TGID_Z_EN: 0
; COMPUTE_PGM_RSRC2:TIDIG_COMP_CNT: 1
; COMPUTE_PGM_RSRC3_GFX90A:ACCUM_OFFSET: 11
; COMPUTE_PGM_RSRC3_GFX90A:TG_SPLIT: 0
	.section	.text._ZN2at6native12_GLOBAL__N_135GammaBetaBackwardCUDAKernelTemplateIN3c104HalfEfLj32ELj32ELj256ELb0ELb0ELb1EEEvllPKT_S7_PKT0_SA_PS5_SB_,"axG",@progbits,_ZN2at6native12_GLOBAL__N_135GammaBetaBackwardCUDAKernelTemplateIN3c104HalfEfLj32ELj32ELj256ELb0ELb0ELb1EEEvllPKT_S7_PKT0_SA_PS5_SB_,comdat
	.globl	_ZN2at6native12_GLOBAL__N_135GammaBetaBackwardCUDAKernelTemplateIN3c104HalfEfLj32ELj32ELj256ELb0ELb0ELb1EEEvllPKT_S7_PKT0_SA_PS5_SB_ ; -- Begin function _ZN2at6native12_GLOBAL__N_135GammaBetaBackwardCUDAKernelTemplateIN3c104HalfEfLj32ELj32ELj256ELb0ELb0ELb1EEEvllPKT_S7_PKT0_SA_PS5_SB_
	.p2align	8
	.type	_ZN2at6native12_GLOBAL__N_135GammaBetaBackwardCUDAKernelTemplateIN3c104HalfEfLj32ELj32ELj256ELb0ELb0ELb1EEEvllPKT_S7_PKT0_SA_PS5_SB_,@function
_ZN2at6native12_GLOBAL__N_135GammaBetaBackwardCUDAKernelTemplateIN3c104HalfEfLj32ELj32ELj256ELb0ELb0ELb1EEEvllPKT_S7_PKT0_SA_PS5_SB_: ; @_ZN2at6native12_GLOBAL__N_135GammaBetaBackwardCUDAKernelTemplateIN3c104HalfEfLj32ELj32ELj256ELb0ELb0ELb1EEEvllPKT_S7_PKT0_SA_PS5_SB_
; %bb.0:
	s_load_dwordx8 s[8:15], s[0:1], 0x0
	s_load_dwordx2 s[16:17], s[0:1], 0x28
	s_lshl_b32 s33, s2, 5
	s_mov_b32 s19, 0
	s_lshl_b32 s18, s3, 8
	s_or_b32 s4, s33, 31
	v_mov_b64_e32 v[4:5], s[18:19]
	v_mov_b32_e32 v2, s4
	v_mov_b32_e32 v3, 0
	s_waitcnt lgkmcnt(0)
	v_cmp_gt_i64_e64 s[4:5], s[8:9], v[4:5]
	v_cmp_le_i64_e32 vcc, s[10:11], v[2:3]
	s_nop 0
	v_cndmask_b32_e64 v1, 0, 1, s[4:5]
	v_cmp_ne_u32_e64 s[4:5], 1, v1
	s_cbranch_vccz .LBB184_49
; %bb.1:
	s_and_b64 vcc, exec, s[4:5]
	s_cbranch_vccnz .LBB184_50
; %bb.2:
	v_and_b32_e32 v1, 0x3ff, v0
	v_mov_b32_e32 v2, 0
	v_bfe_u32 v58, v0, 10, 10
	v_add_u32_e32 v4, s33, v1
	v_mov_b32_e32 v5, v2
	v_lshlrev_b32_e32 v20, 3, v58
	v_mov_b32_e32 v21, v2
	v_cmp_gt_i64_e64 s[6:7], s[10:11], v[4:5]
	v_lshlrev_b64 v[22:23], 1, v[4:5]
	v_lshl_add_u64 v[4:5], v[20:21], 0, s[18:19]
	v_mul_lo_u32 v3, s11, v4
	v_mul_lo_u32 v8, s10, v5
	v_mad_u64_u32 v[6:7], s[22:23], s10, v4, 0
	v_add3_u32 v7, v7, v8, v3
	v_lshlrev_b64 v[6:7], 1, v[6:7]
	v_lshl_add_u64 v[24:25], s[12:13], 0, v[6:7]
	v_lshl_add_u64 v[26:27], s[14:15], 0, v[6:7]
	v_lshl_add_u64 v[6:7], v[4:5], 0, 7
	v_mul_lo_u32 v9, s11, v6
	v_mul_lo_u32 v10, s10, v7
	v_mad_u64_u32 v[6:7], s[24:25], s10, v6, 0
	v_add3_u32 v7, v7, v10, v9
	v_lshlrev_b64 v[6:7], 1, v[6:7]
	v_lshl_add_u64 v[28:29], s[12:13], 0, v[6:7]
	v_lshl_add_u64 v[30:31], s[14:15], 0, v[6:7]
	;; [unrolled: 8-line block ×5, first 2 shown]
	v_lshl_add_u64 v[6:7], v[4:5], 0, 3
	v_mul_lo_u32 v9, s11, v6
	v_mul_lo_u32 v10, s10, v7
	v_mad_u64_u32 v[6:7], s[24:25], s10, v6, 0
	v_add3_u32 v7, v7, v10, v9
	s_load_dword s3, s[0:1], 0x44
	v_lshlrev_b64 v[6:7], 1, v[6:7]
	v_lshl_add_u64 v[44:45], s[12:13], 0, v[6:7]
	v_lshl_add_u64 v[46:47], s[14:15], 0, v[6:7]
	;; [unrolled: 1-line block ×3, first 2 shown]
	v_mul_lo_u32 v5, s11, v6
	v_mul_lo_u32 v9, s10, v7
	v_mad_u64_u32 v[6:7], s[24:25], s10, v6, 0
	v_add3_u32 v7, v7, v9, v5
	s_add_u32 s20, s0, 64
	v_lshlrev_b64 v[6:7], 1, v[6:7]
	s_addc_u32 s21, s1, 0
	s_waitcnt lgkmcnt(0)
	s_lshl_b32 s3, s3, 8
	v_lshl_add_u64 v[48:49], s[12:13], 0, v[6:7]
	v_lshl_add_u64 v[50:51], s[14:15], 0, v[6:7]
	v_mov_b64_e32 v[6:7], s[10:11]
	s_mul_i32 s22, s11, s3
	s_mul_hi_u32 s23, s10, s3
	v_mad_u64_u32 v[4:5], s[24:25], s10, v4, v[6:7]
	s_add_i32 s23, s23, s22
	s_mul_i32 s22, s10, s3
	v_add3_u32 v5, v3, v5, v8
	v_mbcnt_lo_u32_b32 v3, -1, 0
	s_lshl_b64 s[22:23], s[22:23], 1
	v_mbcnt_hi_u32_b32 v3, -1, v3
	v_lshlrev_b64 v[4:5], 1, v[4:5]
	s_add_u32 s24, s18, 0xff
	s_movk_i32 s26, 0xff01
	s_movk_i32 s28, 0xff02
	;; [unrolled: 1-line block ×8, first 2 shown]
	v_lshlrev_b32_e32 v3, 2, v3
	v_lshl_add_u64 v[52:53], s[12:13], 0, v[4:5]
	v_lshl_add_u64 v[54:55], s[14:15], 0, v[4:5]
	s_addc_u32 s25, 0, 0
	s_mov_b32 s27, -1
	s_mov_b32 s29, -1
	s_mov_b32 s31, -1
	s_mov_b32 s35, -1
	s_mov_b32 s37, -1
	s_mov_b32 s39, -1
	s_mov_b32 s41, -1
	s_mov_b32 s43, -1
	v_and_b32_e32 v59, 0x100, v3
	s_mov_b64 s[44:45], s[18:19]
	v_mov_b32_e32 v60, 0
.LBB184_3:                              ; =>This Inner Loop Header: Depth=1
	v_mov_b64_e32 v[4:5], s[8:9]
	v_cmp_ge_i64_e32 vcc, s[24:25], v[4:5]
	v_lshl_add_u64 v[56:57], v[20:21], 0, s[24:25]
	s_mov_b64 s[46:47], -1
	s_and_b64 vcc, exec, vcc
                                        ; implicit-def: $vgpr4_vgpr5_vgpr6_vgpr7_vgpr8_vgpr9_vgpr10_vgpr11
                                        ; implicit-def: $vgpr3
                                        ; implicit-def: $vgpr12_vgpr13_vgpr14_vgpr15_vgpr16_vgpr17_vgpr18_vgpr19
                                        ; implicit-def: $vgpr4
	s_cbranch_vccz .LBB184_25
; %bb.4:                                ;   in Loop: Header=BB184_3 Depth=1
	s_load_dword s46, s[20:21], 0xc
	v_mov_b32_e32 v61, 0
	s_waitcnt lgkmcnt(0)
	s_and_b32 s46, s46, 0xffff
	v_mad_u32_u24 v3, v58, s46, v1
	v_and_b32_e32 v4, 63, v3
	v_cmp_gt_u32_e32 vcc, 8, v4
	s_and_saveexec_b64 s[46:47], vcc
	s_cbranch_execz .LBB184_8
; %bb.5:                                ;   in Loop: Header=BB184_3 Depth=1
	v_mov_b32_e32 v5, v2
	v_lshl_add_u64 v[4:5], v[56:57], 0, v[4:5]
	v_lshl_add_u64 v[4:5], v[4:5], 0, s[26:27]
	v_cmp_gt_i64_e32 vcc, s[8:9], v[4:5]
	v_mov_b32_e32 v61, 0
	s_and_saveexec_b64 s[48:49], vcc
	s_cbranch_execz .LBB184_7
; %bb.6:                                ;   in Loop: Header=BB184_3 Depth=1
	v_lshl_add_u64 v[4:5], v[4:5], 2, s[16:17]
	global_load_dword v61, v[4:5], off
.LBB184_7:                              ;   in Loop: Header=BB184_3 Depth=1
	s_or_b64 exec, exec, s[48:49]
.LBB184_8:                              ;   in Loop: Header=BB184_3 Depth=1
	s_or_b64 exec, exec, s[46:47]
	v_lshl_add_u64 v[4:5], v[56:57], 0, s[26:27]
	v_mov_b32_e32 v8, v2
	v_mov_b32_e32 v9, v2
	v_cmp_gt_i64_e32 vcc, s[8:9], v[4:5]
	v_mov_b32_e32 v3, v2
	v_mov_b32_e32 v4, v2
	;; [unrolled: 1-line block ×5, first 2 shown]
	v_mov_b64_e32 v[18:19], v[8:9]
	v_mov_b64_e32 v[16:17], v[6:7]
	;; [unrolled: 1-line block ×5, first 2 shown]
	s_and_b64 s[48:49], s[6:7], vcc
	v_mov_b64_e32 v[8:9], v[6:7]
	v_mov_b64_e32 v[6:7], v[4:5]
	;; [unrolled: 1-line block ×3, first 2 shown]
	s_and_saveexec_b64 s[46:47], s[48:49]
	s_cbranch_execz .LBB184_10
; %bb.9:                                ;   in Loop: Header=BB184_3 Depth=1
	v_lshl_add_u64 v[4:5], v[24:25], 0, v[22:23]
	global_load_ushort v3, v[4:5], off
	v_lshl_add_u64 v[4:5], v[26:27], 0, v[22:23]
	global_load_ushort v12, v[4:5], off
	v_mov_b32_e32 v5, v2
	v_mov_b32_e32 v6, v2
	;; [unrolled: 1-line block ×14, first 2 shown]
	s_waitcnt vmcnt(1)
	v_cvt_f32_f16_e32 v4, v3
	s_waitcnt vmcnt(0)
	v_cvt_f32_f16_e32 v12, v12
.LBB184_10:                             ;   in Loop: Header=BB184_3 Depth=1
	s_or_b64 exec, exec, s[46:47]
	v_lshl_add_u64 v[62:63], v[56:57], 0, s[28:29]
	v_cmp_gt_i64_e32 vcc, s[8:9], v[62:63]
	s_and_b64 s[48:49], s[6:7], vcc
	s_and_saveexec_b64 s[46:47], s[48:49]
	s_cbranch_execz .LBB184_12
; %bb.11:                               ;   in Loop: Header=BB184_3 Depth=1
	v_lshl_add_u64 v[62:63], v[52:53], 0, v[22:23]
	global_load_ushort v3, v[62:63], off
	v_lshl_add_u64 v[62:63], v[54:55], 0, v[22:23]
	global_load_ushort v13, v[62:63], off
	s_waitcnt vmcnt(1)
	v_cvt_f32_f16_e32 v5, v3
	s_waitcnt vmcnt(0)
	v_cvt_f32_f16_e32 v13, v13
.LBB184_12:                             ;   in Loop: Header=BB184_3 Depth=1
	s_or_b64 exec, exec, s[46:47]
	v_lshl_add_u64 v[62:63], v[56:57], 0, s[30:31]
	v_cmp_gt_i64_e32 vcc, s[8:9], v[62:63]
	s_and_b64 s[48:49], s[6:7], vcc
	s_and_saveexec_b64 s[46:47], s[48:49]
	s_cbranch_execz .LBB184_14
; %bb.13:                               ;   in Loop: Header=BB184_3 Depth=1
	v_lshl_add_u64 v[62:63], v[48:49], 0, v[22:23]
	global_load_ushort v3, v[62:63], off
	v_lshl_add_u64 v[62:63], v[50:51], 0, v[22:23]
	global_load_ushort v14, v[62:63], off
	s_waitcnt vmcnt(1)
	v_cvt_f32_f16_e32 v6, v3
	s_waitcnt vmcnt(0)
	v_cvt_f32_f16_e32 v14, v14
.LBB184_14:                             ;   in Loop: Header=BB184_3 Depth=1
	s_or_b64 exec, exec, s[46:47]
	v_lshl_add_u64 v[62:63], v[56:57], 0, s[34:35]
	v_cmp_gt_i64_e32 vcc, s[8:9], v[62:63]
	s_and_b64 s[48:49], s[6:7], vcc
	s_and_saveexec_b64 s[46:47], s[48:49]
	s_cbranch_execz .LBB184_16
; %bb.15:                               ;   in Loop: Header=BB184_3 Depth=1
	v_lshl_add_u64 v[62:63], v[44:45], 0, v[22:23]
	global_load_ushort v3, v[62:63], off
	v_lshl_add_u64 v[62:63], v[46:47], 0, v[22:23]
	global_load_ushort v15, v[62:63], off
	s_waitcnt vmcnt(1)
	v_cvt_f32_f16_e32 v7, v3
	s_waitcnt vmcnt(0)
	v_cvt_f32_f16_e32 v15, v15
.LBB184_16:                             ;   in Loop: Header=BB184_3 Depth=1
	s_or_b64 exec, exec, s[46:47]
	v_lshl_add_u64 v[62:63], v[56:57], 0, s[36:37]
	v_cmp_gt_i64_e32 vcc, s[8:9], v[62:63]
	s_and_b64 s[48:49], s[6:7], vcc
	s_and_saveexec_b64 s[46:47], s[48:49]
	s_cbranch_execz .LBB184_18
; %bb.17:                               ;   in Loop: Header=BB184_3 Depth=1
	v_lshl_add_u64 v[62:63], v[40:41], 0, v[22:23]
	global_load_ushort v3, v[62:63], off
	v_lshl_add_u64 v[62:63], v[42:43], 0, v[22:23]
	global_load_ushort v16, v[62:63], off
	s_waitcnt vmcnt(1)
	v_cvt_f32_f16_e32 v8, v3
	s_waitcnt vmcnt(0)
	v_cvt_f32_f16_e32 v16, v16
.LBB184_18:                             ;   in Loop: Header=BB184_3 Depth=1
	s_or_b64 exec, exec, s[46:47]
	v_lshl_add_u64 v[62:63], v[56:57], 0, s[38:39]
	v_cmp_gt_i64_e32 vcc, s[8:9], v[62:63]
	s_and_b64 s[48:49], s[6:7], vcc
	s_and_saveexec_b64 s[46:47], s[48:49]
	s_cbranch_execz .LBB184_20
; %bb.19:                               ;   in Loop: Header=BB184_3 Depth=1
	v_lshl_add_u64 v[62:63], v[36:37], 0, v[22:23]
	global_load_ushort v3, v[62:63], off
	v_lshl_add_u64 v[62:63], v[38:39], 0, v[22:23]
	global_load_ushort v17, v[62:63], off
	s_waitcnt vmcnt(1)
	v_cvt_f32_f16_e32 v9, v3
	s_waitcnt vmcnt(0)
	v_cvt_f32_f16_e32 v17, v17
.LBB184_20:                             ;   in Loop: Header=BB184_3 Depth=1
	s_or_b64 exec, exec, s[46:47]
	v_lshl_add_u64 v[62:63], v[56:57], 0, s[40:41]
	v_cmp_gt_i64_e32 vcc, s[8:9], v[62:63]
	s_and_b64 s[48:49], s[6:7], vcc
	s_and_saveexec_b64 s[46:47], s[48:49]
	s_cbranch_execz .LBB184_22
; %bb.21:                               ;   in Loop: Header=BB184_3 Depth=1
	v_lshl_add_u64 v[62:63], v[32:33], 0, v[22:23]
	global_load_ushort v3, v[62:63], off
	v_lshl_add_u64 v[62:63], v[34:35], 0, v[22:23]
	global_load_ushort v18, v[62:63], off
	s_waitcnt vmcnt(1)
	v_cvt_f32_f16_e32 v10, v3
	s_waitcnt vmcnt(0)
	v_cvt_f32_f16_e32 v18, v18
.LBB184_22:                             ;   in Loop: Header=BB184_3 Depth=1
	s_or_b64 exec, exec, s[46:47]
	v_lshl_add_u64 v[62:63], v[56:57], 0, s[42:43]
	v_cmp_gt_i64_e32 vcc, s[8:9], v[62:63]
	s_and_b64 s[48:49], s[6:7], vcc
	s_and_saveexec_b64 s[46:47], s[48:49]
	s_cbranch_execz .LBB184_24
; %bb.23:                               ;   in Loop: Header=BB184_3 Depth=1
	v_lshl_add_u64 v[62:63], v[28:29], 0, v[22:23]
	global_load_ushort v3, v[62:63], off
	v_lshl_add_u64 v[62:63], v[30:31], 0, v[22:23]
	global_load_ushort v19, v[62:63], off
	s_waitcnt vmcnt(1)
	v_cvt_f32_f16_e32 v11, v3
	s_waitcnt vmcnt(0)
	v_cvt_f32_f16_e32 v19, v19
.LBB184_24:                             ;   in Loop: Header=BB184_3 Depth=1
	s_or_b64 exec, exec, s[46:47]
	s_waitcnt vmcnt(0)
	ds_bpermute_b32 v3, v59, v61
	ds_bpermute_b32 v62, v59, v61 offset:4
	ds_bpermute_b32 v63, v59, v61 offset:8
	v_mul_f32_e32 v4, v12, v4
	v_pk_mul_f32 v[8:9], v[16:17], v[8:9]
	s_waitcnt lgkmcnt(2)
	v_fma_f32 v16, v4, v3, v60
	v_pk_mul_f32 v[6:7], v[14:15], v[6:7]
	v_mul_f32_e32 v3, v13, v5
	ds_bpermute_b32 v14, v59, v61 offset:12
	ds_bpermute_b32 v15, v59, v61 offset:16
	v_pk_mov_b32 v[12:13], v[2:3], v[6:7] op_sel:[1,0]
	v_pk_mov_b32 v[6:7], v[6:7], v[8:9] op_sel:[1,0]
	s_waitcnt lgkmcnt(2)
	v_pk_mul_f32 v[12:13], v[12:13], v[62:63]
	v_mul_f32_e32 v4, v18, v10
	v_add_f32_e32 v3, v16, v12
	v_add_f32_e32 v3, v3, v13
	ds_bpermute_b32 v12, v59, v61 offset:20
	ds_bpermute_b32 v13, v59, v61 offset:24
	s_waitcnt lgkmcnt(2)
	v_pk_mul_f32 v[6:7], v[6:7], v[14:15]
	s_mov_b64 s[46:47], 0
	v_add_f32_e32 v3, v3, v6
	v_add_f32_e32 v3, v3, v7
	v_pk_mov_b32 v[6:7], v[8:9], v[4:5] op_sel:[1,0]
	ds_bpermute_b32 v4, v59, v61 offset:28
	s_waitcnt lgkmcnt(1)
	v_pk_mul_f32 v[6:7], v[6:7], v[12:13]
	s_nop 0
	v_add_f32_e32 v3, v3, v6
	v_add_f32_e32 v3, v3, v7
.LBB184_25:                             ;   in Loop: Header=BB184_3 Depth=1
	s_and_b64 vcc, exec, s[46:47]
	s_cbranch_vccz .LBB184_40
; %bb.26:                               ;   in Loop: Header=BB184_3 Depth=1
	s_load_dword s46, s[20:21], 0x0
	v_mov_b32_e32 v61, 0
	s_waitcnt lgkmcnt(0)
	s_cmp_lt_u32 s2, s46
	s_cselect_b32 s46, 12, 18
	s_add_u32 s46, s20, s46
	s_addc_u32 s47, s21, 0
	global_load_ushort v3, v2, s[46:47]
	s_waitcnt vmcnt(0)
	v_mad_u32_u24 v3, v58, v3, v1
	v_and_b32_e32 v4, 63, v3
	v_cmp_gt_u32_e32 vcc, 8, v4
	s_and_saveexec_b64 s[46:47], vcc
	s_cbranch_execz .LBB184_30
; %bb.27:                               ;   in Loop: Header=BB184_3 Depth=1
	v_mov_b32_e32 v5, v2
	v_lshl_add_u64 v[4:5], v[56:57], 0, v[4:5]
	v_lshl_add_u64 v[4:5], v[4:5], 0, s[26:27]
	v_cmp_gt_i64_e32 vcc, s[8:9], v[4:5]
	v_mov_b32_e32 v61, 0
	s_and_saveexec_b64 s[48:49], vcc
	s_cbranch_execz .LBB184_29
; %bb.28:                               ;   in Loop: Header=BB184_3 Depth=1
	v_lshl_add_u64 v[4:5], v[4:5], 2, s[16:17]
	global_load_dword v61, v[4:5], off
.LBB184_29:                             ;   in Loop: Header=BB184_3 Depth=1
	s_or_b64 exec, exec, s[48:49]
.LBB184_30:                             ;   in Loop: Header=BB184_3 Depth=1
	s_or_b64 exec, exec, s[46:47]
	v_mov_b32_e32 v8, v2
	v_mov_b32_e32 v9, v2
	;; [unrolled: 1-line block ×7, first 2 shown]
	v_mov_b64_e32 v[18:19], v[8:9]
	v_mov_b64_e32 v[16:17], v[6:7]
	;; [unrolled: 1-line block ×8, first 2 shown]
	s_and_saveexec_b64 s[46:47], s[6:7]
	s_cbranch_execnz .LBB184_42
; %bb.31:                               ;   in Loop: Header=BB184_3 Depth=1
	s_or_b64 exec, exec, s[46:47]
	s_and_saveexec_b64 s[46:47], s[6:7]
	s_cbranch_execnz .LBB184_43
.LBB184_32:                             ;   in Loop: Header=BB184_3 Depth=1
	s_or_b64 exec, exec, s[46:47]
	s_and_saveexec_b64 s[46:47], s[6:7]
	s_cbranch_execnz .LBB184_44
.LBB184_33:                             ;   in Loop: Header=BB184_3 Depth=1
	s_or_b64 exec, exec, s[46:47]
	s_and_saveexec_b64 s[46:47], s[6:7]
	s_cbranch_execnz .LBB184_45
.LBB184_34:                             ;   in Loop: Header=BB184_3 Depth=1
	s_or_b64 exec, exec, s[46:47]
	s_and_saveexec_b64 s[46:47], s[6:7]
	s_cbranch_execnz .LBB184_46
.LBB184_35:                             ;   in Loop: Header=BB184_3 Depth=1
	s_or_b64 exec, exec, s[46:47]
	s_and_saveexec_b64 s[46:47], s[6:7]
	s_cbranch_execnz .LBB184_47
.LBB184_36:                             ;   in Loop: Header=BB184_3 Depth=1
	s_or_b64 exec, exec, s[46:47]
	s_and_saveexec_b64 s[46:47], s[6:7]
	s_cbranch_execnz .LBB184_48
.LBB184_37:                             ;   in Loop: Header=BB184_3 Depth=1
	s_or_b64 exec, exec, s[46:47]
	s_and_saveexec_b64 s[46:47], s[6:7]
	s_cbranch_execz .LBB184_39
.LBB184_38:                             ;   in Loop: Header=BB184_3 Depth=1
	v_lshl_add_u64 v[56:57], v[28:29], 0, v[22:23]
	global_load_ushort v3, v[56:57], off
	v_lshl_add_u64 v[56:57], v[30:31], 0, v[22:23]
	global_load_ushort v19, v[56:57], off
	s_waitcnt vmcnt(1)
	v_cvt_f32_f16_e32 v11, v3
	s_waitcnt vmcnt(0)
	v_cvt_f32_f16_e32 v19, v19
.LBB184_39:                             ;   in Loop: Header=BB184_3 Depth=1
	s_or_b64 exec, exec, s[46:47]
	s_waitcnt vmcnt(0)
	ds_bpermute_b32 v3, v59, v61
	ds_bpermute_b32 v56, v59, v61 offset:4
	ds_bpermute_b32 v57, v59, v61 offset:8
	v_mul_f32_e32 v4, v12, v4
	v_pk_mul_f32 v[6:7], v[14:15], v[6:7]
	s_waitcnt lgkmcnt(2)
	v_fmac_f32_e32 v60, v4, v3
	v_mul_f32_e32 v3, v13, v5
	v_pk_mov_b32 v[4:5], v[2:3], v[6:7] op_sel:[1,0]
	ds_bpermute_b32 v12, v59, v61 offset:12
	ds_bpermute_b32 v13, v59, v61 offset:16
	s_waitcnt lgkmcnt(2)
	v_pk_mul_f32 v[4:5], v[4:5], v[56:57]
	v_pk_mul_f32 v[8:9], v[16:17], v[8:9]
	v_add_f32_e32 v3, v60, v4
	v_add_f32_e32 v3, v3, v5
	v_pk_mov_b32 v[4:5], v[6:7], v[8:9] op_sel:[1,0]
	ds_bpermute_b32 v6, v59, v61 offset:20
	ds_bpermute_b32 v7, v59, v61 offset:24
	s_waitcnt lgkmcnt(2)
	v_pk_mul_f32 v[4:5], v[4:5], v[12:13]
	v_mul_f32_e32 v10, v18, v10
	v_add_f32_e32 v3, v3, v4
	ds_bpermute_b32 v4, v59, v61 offset:28
	v_pk_mov_b32 v[8:9], v[8:9], v[10:11] op_sel:[1,0]
	v_add_f32_e32 v3, v3, v5
	s_waitcnt lgkmcnt(1)
	v_pk_mul_f32 v[6:7], v[8:9], v[6:7]
	s_nop 0
	v_add_f32_e32 v3, v3, v6
	v_add_f32_e32 v3, v3, v7
.LBB184_40:                             ;   in Loop: Header=BB184_3 Depth=1
	v_mul_f32_e32 v5, v11, v19
	s_add_u32 s44, s44, s3
	s_waitcnt lgkmcnt(0)
	v_fmac_f32_e32 v3, v5, v4
	s_addc_u32 s45, s45, 0
	v_mov_b64_e32 v[4:5], s[8:9]
	s_add_u32 s24, s24, s3
	v_cmp_lt_i64_e32 vcc, s[44:45], v[4:5]
	v_lshl_add_u64 v[24:25], v[24:25], 0, s[22:23]
	v_lshl_add_u64 v[26:27], v[26:27], 0, s[22:23]
	;; [unrolled: 1-line block ×16, first 2 shown]
	s_addc_u32 s25, s25, 0
	s_cbranch_vccz .LBB184_50
; %bb.41:                               ;   in Loop: Header=BB184_3 Depth=1
	v_mov_b32_e32 v60, v3
	s_branch .LBB184_3
.LBB184_42:                             ;   in Loop: Header=BB184_3 Depth=1
	v_lshl_add_u64 v[4:5], v[24:25], 0, v[22:23]
	global_load_ushort v3, v[4:5], off
	v_lshl_add_u64 v[4:5], v[26:27], 0, v[22:23]
	global_load_ushort v12, v[4:5], off
	v_mov_b32_e32 v5, v2
	v_mov_b32_e32 v6, v2
	;; [unrolled: 1-line block ×14, first 2 shown]
	s_waitcnt vmcnt(1)
	v_cvt_f32_f16_e32 v4, v3
	s_waitcnt vmcnt(0)
	v_cvt_f32_f16_e32 v12, v12
	s_or_b64 exec, exec, s[46:47]
	s_and_saveexec_b64 s[46:47], s[6:7]
	s_cbranch_execz .LBB184_32
.LBB184_43:                             ;   in Loop: Header=BB184_3 Depth=1
	v_lshl_add_u64 v[56:57], v[52:53], 0, v[22:23]
	global_load_ushort v3, v[56:57], off
	v_lshl_add_u64 v[56:57], v[54:55], 0, v[22:23]
	global_load_ushort v13, v[56:57], off
	s_waitcnt vmcnt(1)
	v_cvt_f32_f16_e32 v5, v3
	s_waitcnt vmcnt(0)
	v_cvt_f32_f16_e32 v13, v13
	s_or_b64 exec, exec, s[46:47]
	s_and_saveexec_b64 s[46:47], s[6:7]
	s_cbranch_execz .LBB184_33
.LBB184_44:                             ;   in Loop: Header=BB184_3 Depth=1
	v_lshl_add_u64 v[56:57], v[48:49], 0, v[22:23]
	global_load_ushort v3, v[56:57], off
	v_lshl_add_u64 v[56:57], v[50:51], 0, v[22:23]
	global_load_ushort v14, v[56:57], off
	s_waitcnt vmcnt(1)
	v_cvt_f32_f16_e32 v6, v3
	s_waitcnt vmcnt(0)
	v_cvt_f32_f16_e32 v14, v14
	s_or_b64 exec, exec, s[46:47]
	s_and_saveexec_b64 s[46:47], s[6:7]
	s_cbranch_execz .LBB184_34
.LBB184_45:                             ;   in Loop: Header=BB184_3 Depth=1
	v_lshl_add_u64 v[56:57], v[44:45], 0, v[22:23]
	global_load_ushort v3, v[56:57], off
	v_lshl_add_u64 v[56:57], v[46:47], 0, v[22:23]
	global_load_ushort v15, v[56:57], off
	s_waitcnt vmcnt(1)
	v_cvt_f32_f16_e32 v7, v3
	s_waitcnt vmcnt(0)
	v_cvt_f32_f16_e32 v15, v15
	s_or_b64 exec, exec, s[46:47]
	s_and_saveexec_b64 s[46:47], s[6:7]
	s_cbranch_execz .LBB184_35
.LBB184_46:                             ;   in Loop: Header=BB184_3 Depth=1
	v_lshl_add_u64 v[56:57], v[40:41], 0, v[22:23]
	global_load_ushort v3, v[56:57], off
	v_lshl_add_u64 v[56:57], v[42:43], 0, v[22:23]
	global_load_ushort v16, v[56:57], off
	s_waitcnt vmcnt(1)
	v_cvt_f32_f16_e32 v8, v3
	s_waitcnt vmcnt(0)
	v_cvt_f32_f16_e32 v16, v16
	s_or_b64 exec, exec, s[46:47]
	s_and_saveexec_b64 s[46:47], s[6:7]
	s_cbranch_execz .LBB184_36
.LBB184_47:                             ;   in Loop: Header=BB184_3 Depth=1
	v_lshl_add_u64 v[56:57], v[36:37], 0, v[22:23]
	global_load_ushort v3, v[56:57], off
	v_lshl_add_u64 v[56:57], v[38:39], 0, v[22:23]
	global_load_ushort v17, v[56:57], off
	s_waitcnt vmcnt(1)
	v_cvt_f32_f16_e32 v9, v3
	s_waitcnt vmcnt(0)
	v_cvt_f32_f16_e32 v17, v17
	s_or_b64 exec, exec, s[46:47]
	s_and_saveexec_b64 s[46:47], s[6:7]
	s_cbranch_execz .LBB184_37
.LBB184_48:                             ;   in Loop: Header=BB184_3 Depth=1
	v_lshl_add_u64 v[56:57], v[32:33], 0, v[22:23]
	global_load_ushort v3, v[56:57], off
	v_lshl_add_u64 v[56:57], v[34:35], 0, v[22:23]
	global_load_ushort v18, v[56:57], off
	s_waitcnt vmcnt(1)
	v_cvt_f32_f16_e32 v10, v3
	s_waitcnt vmcnt(0)
	v_cvt_f32_f16_e32 v18, v18
	s_or_b64 exec, exec, s[46:47]
	s_and_saveexec_b64 s[46:47], s[6:7]
	s_cbranch_execnz .LBB184_38
	s_branch .LBB184_39
.LBB184_49:
                                        ; implicit-def: $vgpr3
	s_branch .LBB184_51
.LBB184_50:
	s_cbranch_execnz .LBB184_83
.LBB184_51:
	s_and_b64 vcc, exec, s[4:5]
	v_mov_b32_e32 v3, 0
	s_cbranch_vccnz .LBB184_83
; %bb.52:
	v_mov_b32_e32 v2, 0
	v_bfe_u32 v86, v0, 10, 10
	v_lshlrev_b32_e32 v6, 4, v86
	v_mov_b32_e32 v7, v2
	v_lshl_add_u64 v[6:7], s[18:19], 1, v[6:7]
	v_lshl_add_u64 v[8:9], v[6:7], 0, 2
	v_mov_b64_e32 v[10:11], s[12:13]
	v_lshl_add_u64 v[12:13], v[6:7], 0, 4
	v_lshl_add_u64 v[14:15], v[6:7], 0, 6
	;; [unrolled: 1-line block ×6, first 2 shown]
	v_mad_u64_u32 v[22:23], s[4:5], s10, v8, v[10:11]
	v_mad_u64_u32 v[24:25], s[4:5], s10, v12, v[10:11]
	v_mad_u64_u32 v[26:27], s[4:5], s10, v14, v[10:11]
	v_mad_u64_u32 v[28:29], s[4:5], s10, v16, v[10:11]
	v_mad_u64_u32 v[30:31], s[4:5], s10, v18, v[10:11]
	v_mad_u64_u32 v[32:33], s[4:5], s10, v46, v[10:11]
	v_mad_u64_u32 v[34:35], s[4:5], s10, v6, v[10:11]
	v_mov_b64_e32 v[10:11], s[14:15]
	v_mul_lo_u32 v9, s10, v9
	v_mul_lo_u32 v38, s11, v8
	v_mad_u64_u32 v[36:37], s[4:5], s10, v8, v[10:11]
	v_add3_u32 v23, v38, v23, v9
	v_mul_lo_u32 v13, s10, v13
	v_mul_lo_u32 v40, s11, v12
	v_add3_u32 v37, v38, v37, v9
	v_mad_u64_u32 v[38:39], s[4:5], s10, v12, v[10:11]
	v_add3_u32 v25, v40, v25, v13
	v_mul_lo_u32 v15, s10, v15
	v_mul_lo_u32 v42, s11, v14
	v_add3_u32 v39, v40, v39, v13
	;; [unrolled: 5-line block ×3, first 2 shown]
	v_mad_u64_u32 v[42:43], s[4:5], s10, v16, v[10:11]
	v_lshlrev_b32_e32 v20, 3, v86
	v_mov_b32_e32 v21, v2
	v_add3_u32 v29, v44, v29, v17
	v_mul_lo_u32 v19, s10, v19
	v_mul_lo_u32 v48, s11, v18
	;; [unrolled: 1-line block ×4, first 2 shown]
	v_add3_u32 v43, v44, v43, v17
	v_mad_u64_u32 v[44:45], s[4:5], s10, v18, v[10:11]
	v_mad_u64_u32 v[46:47], s[4:5], s10, v46, v[10:11]
	v_lshl_add_u64 v[4:5], v[20:21], 0, s[18:19]
	v_add3_u32 v31, v48, v31, v19
	v_add3_u32 v33, v51, v33, v49
	v_mul_lo_u32 v7, s10, v7
	v_mul_lo_u32 v8, s11, v6
	v_add3_u32 v45, v48, v45, v19
	v_add3_u32 v47, v51, v47, v49
	v_mad_u64_u32 v[48:49], s[4:5], s10, v6, v[10:11]
	v_add3_u32 v35, v8, v35, v7
	v_add3_u32 v49, v8, v49, v7
	v_lshl_add_u64 v[6:7], v[4:5], 0, 7
	v_mul_lo_u32 v8, s11, v6
	v_mul_lo_u32 v9, s10, v7
	v_mad_u64_u32 v[6:7], s[4:5], s10, v6, 0
	v_add3_u32 v7, v7, v9, v8
	v_lshl_add_u64 v[8:9], v[4:5], 0, 6
	v_mul_lo_u32 v10, s11, v8
	v_mul_lo_u32 v11, s10, v9
	v_mad_u64_u32 v[8:9], s[4:5], s10, v8, 0
	;; [unrolled: 5-line block ×5, first 2 shown]
	v_add3_u32 v15, v15, v17, v16
	v_lshl_add_u64 v[16:17], v[4:5], 0, 2
	v_mul_lo_u32 v50, s10, v5
	v_mul_lo_u32 v5, s11, v16
	;; [unrolled: 1-line block ×3, first 2 shown]
	v_mad_u64_u32 v[16:17], s[4:5], s10, v16, 0
	v_add3_u32 v17, v17, v18, v5
	v_mov_b64_e32 v[18:19], s[10:11]
	v_mul_lo_u32 v3, s11, v4
	v_mad_u64_u32 v[18:19], s[4:5], s10, v4, v[18:19]
	v_mad_u64_u32 v[4:5], s[4:5], s10, v4, 0
	s_load_dword s3, s[0:1], 0x44
	v_add3_u32 v5, v5, v50, v3
	v_lshlrev_b64 v[4:5], 1, v[4:5]
	v_lshl_add_u64 v[52:53], s[12:13], 0, v[4:5]
	v_lshl_add_u64 v[54:55], s[14:15], 0, v[4:5]
	v_lshlrev_b64 v[4:5], 1, v[6:7]
	v_lshl_add_u64 v[56:57], s[12:13], 0, v[4:5]
	v_lshl_add_u64 v[58:59], s[14:15], 0, v[4:5]
	v_lshlrev_b64 v[4:5], 1, v[8:9]
	s_add_u32 s4, s0, 64
	v_lshl_add_u64 v[60:61], s[12:13], 0, v[4:5]
	v_lshl_add_u64 v[62:63], s[14:15], 0, v[4:5]
	v_lshlrev_b64 v[4:5], 1, v[10:11]
	s_addc_u32 s5, s1, 0
	s_waitcnt lgkmcnt(0)
	s_lshl_b32 s3, s3, 8
	v_lshl_add_u64 v[64:65], s[12:13], 0, v[4:5]
	v_lshl_add_u64 v[66:67], s[14:15], 0, v[4:5]
	v_lshlrev_b64 v[4:5], 1, v[12:13]
	s_mul_i32 s6, s11, s3
	s_mul_hi_u32 s7, s10, s3
	v_lshl_add_u64 v[68:69], s[12:13], 0, v[4:5]
	v_lshl_add_u64 v[70:71], s[14:15], 0, v[4:5]
	v_lshlrev_b64 v[4:5], 1, v[14:15]
	v_add3_u32 v19, v3, v19, v50
	s_add_i32 s7, s7, s6
	s_mul_i32 s6, s10, s3
	v_lshl_add_u64 v[72:73], s[12:13], 0, v[4:5]
	v_lshl_add_u64 v[74:75], s[14:15], 0, v[4:5]
	v_lshlrev_b64 v[4:5], 1, v[16:17]
	v_mbcnt_lo_u32_b32 v3, -1, 0
	v_and_b32_e32 v1, 0x3ff, v0
	s_lshl_b64 s[6:7], s[6:7], 1
	v_lshl_add_u64 v[76:77], s[12:13], 0, v[4:5]
	v_lshl_add_u64 v[78:79], s[14:15], 0, v[4:5]
	v_lshlrev_b64 v[4:5], 1, v[18:19]
	v_mbcnt_hi_u32_b32 v3, -1, v3
	v_add_u32_e32 v50, s33, v1
	v_mov_b32_e32 v51, v2
	s_add_u32 s20, s18, 0xff
	v_lshl_add_u64 v[80:81], s[12:13], 0, v[4:5]
	v_lshl_add_u64 v[82:83], s[14:15], 0, v[4:5]
	s_movk_i32 s12, 0xff01
	s_movk_i32 s14, 0xff02
	;; [unrolled: 1-line block ×8, first 2 shown]
	v_lshlrev_b32_e32 v3, 2, v3
	v_lshlrev_b64 v[50:51], 1, v[50:51]
	s_addc_u32 s21, 0, 0
	s_mov_b32 s13, -1
	s_mov_b32 s15, -1
	;; [unrolled: 1-line block ×8, first 2 shown]
	v_and_b32_e32 v87, 0x100, v3
	v_mov_b32_e32 v88, 0
.LBB184_53:                             ; =>This Inner Loop Header: Depth=1
	v_mov_b64_e32 v[4:5], s[8:9]
	v_cmp_ge_i64_e32 vcc, s[20:21], v[4:5]
	v_lshl_add_u64 v[84:85], v[20:21], 0, s[20:21]
	s_mov_b64 s[36:37], -1
                                        ; implicit-def: $vgpr3
	s_cbranch_vccz .LBB184_75
; %bb.54:                               ;   in Loop: Header=BB184_53 Depth=1
	s_load_dword s33, s[4:5], 0xc
	v_mov_b32_e32 v89, 0
	s_waitcnt lgkmcnt(0)
	s_and_b32 s33, s33, 0xffff
	v_mad_u32_u24 v3, v86, s33, v1
	v_and_b32_e32 v4, 63, v3
	v_cmp_gt_u32_e32 vcc, 8, v4
	s_and_saveexec_b64 s[36:37], vcc
	s_cbranch_execz .LBB184_58
; %bb.55:                               ;   in Loop: Header=BB184_53 Depth=1
	v_mov_b32_e32 v5, v2
	v_lshl_add_u64 v[4:5], v[84:85], 0, v[4:5]
	v_lshl_add_u64 v[4:5], v[4:5], 0, s[12:13]
	v_cmp_gt_i64_e32 vcc, s[8:9], v[4:5]
	v_mov_b32_e32 v89, 0
	s_and_saveexec_b64 s[38:39], vcc
	s_cbranch_execz .LBB184_57
; %bb.56:                               ;   in Loop: Header=BB184_53 Depth=1
	v_lshl_add_u64 v[4:5], v[4:5], 2, s[16:17]
	global_load_dword v89, v[4:5], off
.LBB184_57:                             ;   in Loop: Header=BB184_53 Depth=1
	s_or_b64 exec, exec, s[38:39]
.LBB184_58:                             ;   in Loop: Header=BB184_53 Depth=1
	s_or_b64 exec, exec, s[36:37]
	v_lshl_add_u64 v[4:5], v[84:85], 0, s[12:13]
	v_mov_b32_e32 v8, v2
	v_mov_b32_e32 v9, v2
	v_cmp_gt_i64_e32 vcc, s[8:9], v[4:5]
	v_mov_b32_e32 v3, v2
	v_mov_b32_e32 v4, v2
	;; [unrolled: 1-line block ×5, first 2 shown]
	v_mov_b64_e32 v[18:19], v[8:9]
	v_mov_b64_e32 v[16:17], v[6:7]
	;; [unrolled: 1-line block ×8, first 2 shown]
	s_and_saveexec_b64 s[36:37], vcc
	s_cbranch_execz .LBB184_60
; %bb.59:                               ;   in Loop: Header=BB184_53 Depth=1
	v_lshl_add_u64 v[4:5], v[52:53], 0, v[50:51]
	global_load_ushort v3, v[4:5], off
	v_lshl_add_u64 v[4:5], v[54:55], 0, v[50:51]
	global_load_ushort v12, v[4:5], off
	v_mov_b32_e32 v5, v2
	v_mov_b32_e32 v6, v2
	;; [unrolled: 1-line block ×14, first 2 shown]
	s_waitcnt vmcnt(1)
	v_cvt_f32_f16_e32 v4, v3
	s_waitcnt vmcnt(0)
	v_cvt_f32_f16_e32 v12, v12
.LBB184_60:                             ;   in Loop: Header=BB184_53 Depth=1
	s_or_b64 exec, exec, s[36:37]
	v_lshl_add_u64 v[90:91], v[84:85], 0, s[14:15]
	v_cmp_gt_i64_e32 vcc, s[8:9], v[90:91]
	s_and_saveexec_b64 s[36:37], vcc
	s_cbranch_execz .LBB184_62
; %bb.61:                               ;   in Loop: Header=BB184_53 Depth=1
	v_lshl_add_u64 v[90:91], v[80:81], 0, v[50:51]
	global_load_ushort v3, v[90:91], off
	v_lshl_add_u64 v[90:91], v[82:83], 0, v[50:51]
	global_load_ushort v13, v[90:91], off
	s_waitcnt vmcnt(1)
	v_cvt_f32_f16_e32 v5, v3
	s_waitcnt vmcnt(0)
	v_cvt_f32_f16_e32 v13, v13
.LBB184_62:                             ;   in Loop: Header=BB184_53 Depth=1
	s_or_b64 exec, exec, s[36:37]
	v_lshl_add_u64 v[90:91], v[84:85], 0, s[22:23]
	v_cmp_gt_i64_e32 vcc, s[8:9], v[90:91]
	s_and_saveexec_b64 s[36:37], vcc
	s_cbranch_execz .LBB184_64
; %bb.63:                               ;   in Loop: Header=BB184_53 Depth=1
	v_lshl_add_u64 v[90:91], v[76:77], 0, v[50:51]
	global_load_ushort v3, v[90:91], off
	v_lshl_add_u64 v[90:91], v[78:79], 0, v[50:51]
	global_load_ushort v14, v[90:91], off
	s_waitcnt vmcnt(1)
	v_cvt_f32_f16_e32 v6, v3
	s_waitcnt vmcnt(0)
	v_cvt_f32_f16_e32 v14, v14
.LBB184_64:                             ;   in Loop: Header=BB184_53 Depth=1
	;; [unrolled: 15-line block ×7, first 2 shown]
	s_or_b64 exec, exec, s[36:37]
	s_waitcnt vmcnt(0)
	ds_bpermute_b32 v90, v87, v89
	ds_bpermute_b32 v91, v87, v89 offset:4
	v_pk_mul_f32 v[6:7], v[14:15], v[6:7]
	ds_bpermute_b32 v14, v87, v89 offset:8
	ds_bpermute_b32 v15, v87, v89 offset:12
	v_pk_mul_f32 v[4:5], v[12:13], v[4:5]
	ds_bpermute_b32 v12, v87, v89 offset:24
	s_waitcnt lgkmcnt(3)
	v_pk_mul_f32 v[4:5], v[4:5], v[90:91]
	ds_bpermute_b32 v13, v87, v89 offset:28
	v_add_f32_e32 v3, v88, v4
	v_add_f32_e32 v3, v3, v5
	s_waitcnt lgkmcnt(2)
	v_pk_mul_f32 v[4:5], v[6:7], v[14:15]
	ds_bpermute_b32 v6, v87, v89 offset:16
	ds_bpermute_b32 v7, v87, v89 offset:20
	v_pk_mul_f32 v[8:9], v[16:17], v[8:9]
	v_add_f32_e32 v3, v3, v4
	v_add_f32_e32 v3, v3, v5
	v_pk_mul_f32 v[10:11], v[18:19], v[10:11]
	s_waitcnt lgkmcnt(0)
	v_pk_mul_f32 v[4:5], v[8:9], v[6:7]
	s_mov_b64 s[36:37], 0
	v_add_f32_e32 v3, v3, v4
	v_add_f32_e32 v3, v3, v5
	v_pk_mul_f32 v[4:5], v[10:11], v[12:13]
	s_nop 0
	v_add_f32_e32 v3, v3, v4
	v_add_f32_e32 v3, v3, v5
.LBB184_75:                             ;   in Loop: Header=BB184_53 Depth=1
	s_and_b64 vcc, exec, s[36:37]
	s_cbranch_vccz .LBB184_81
; %bb.76:                               ;   in Loop: Header=BB184_53 Depth=1
	s_load_dword s33, s[4:5], 0x0
	s_waitcnt lgkmcnt(0)
	s_cmp_lt_u32 s2, s33
	s_cselect_b32 s33, 12, 18
	s_add_u32 s36, s4, s33
	s_addc_u32 s37, s5, 0
	global_load_ushort v3, v2, s[36:37]
	s_waitcnt vmcnt(0)
	v_mad_u32_u24 v3, v86, v3, v1
	v_and_b32_e32 v4, 63, v3
	v_cmp_gt_u32_e32 vcc, 8, v4
	v_mov_b32_e32 v3, 0
	s_and_saveexec_b64 s[36:37], vcc
	s_cbranch_execz .LBB184_80
; %bb.77:                               ;   in Loop: Header=BB184_53 Depth=1
	v_mov_b32_e32 v5, v2
	v_lshl_add_u64 v[4:5], v[84:85], 0, v[4:5]
	v_lshl_add_u64 v[4:5], v[4:5], 0, s[12:13]
	v_cmp_gt_i64_e32 vcc, s[8:9], v[4:5]
	v_mov_b32_e32 v3, 0
	s_and_saveexec_b64 s[38:39], vcc
	s_cbranch_execz .LBB184_79
; %bb.78:                               ;   in Loop: Header=BB184_53 Depth=1
	v_lshl_add_u64 v[4:5], v[4:5], 2, s[16:17]
	global_load_dword v3, v[4:5], off
.LBB184_79:                             ;   in Loop: Header=BB184_53 Depth=1
	s_or_b64 exec, exec, s[38:39]
.LBB184_80:                             ;   in Loop: Header=BB184_53 Depth=1
	s_or_b64 exec, exec, s[36:37]
	v_lshl_add_u64 v[4:5], v[52:53], 0, v[50:51]
	global_load_ushort v12, v[4:5], off
	v_lshl_add_u64 v[4:5], v[54:55], 0, v[50:51]
	global_load_ushort v14, v[4:5], off
	;; [unrolled: 2-line block ×12, first 2 shown]
	v_lshl_add_u64 v[6:7], v[34:35], 0, v[50:51]
	v_lshl_add_u64 v[4:5], v[32:33], 0, v[50:51]
	global_load_ushort v93, v[6:7], off
	v_lshl_add_u64 v[6:7], v[48:49], 0, v[50:51]
	global_load_ushort v92, v[4:5], off
	;; [unrolled: 2-line block ×3, first 2 shown]
	global_load_ushort v96, v[4:5], off
	s_waitcnt vmcnt(16)
	ds_bpermute_b32 v4, v87, v3
	ds_bpermute_b32 v5, v87, v3 offset:4
	ds_bpermute_b32 v6, v87, v3 offset:8
	;; [unrolled: 1-line block ×7, first 2 shown]
	s_waitcnt vmcnt(15)
	v_cvt_f32_f16_e32 v12, v12
	s_waitcnt vmcnt(14)
	v_cvt_f32_f16_e32 v14, v14
	;; [unrolled: 2-line block ×6, first 2 shown]
	v_pk_mul_f32 v[12:13], v[12:13], v[14:15]
	s_waitcnt vmcnt(9)
	v_cvt_f32_f16_e32 v17, v17
	s_waitcnt lgkmcnt(6)
	v_pk_mul_f32 v[4:5], v[12:13], v[4:5]
	s_waitcnt vmcnt(8)
	v_cvt_f32_f16_e32 v19, v19
	v_add_f32_e32 v3, v88, v4
	s_waitcnt vmcnt(7)
	v_cvt_f32_f16_e32 v84, v84
	v_add_f32_e32 v3, v3, v5
	v_pk_mul_f32 v[14:15], v[16:17], v[18:19]
	s_waitcnt vmcnt(5)
	v_cvt_f32_f16_e32 v85, v85
	s_waitcnt lgkmcnt(4)
	v_pk_mul_f32 v[6:7], v[14:15], v[6:7]
	s_waitcnt vmcnt(4)
	v_cvt_f32_f16_e32 v91, v90
	v_cvt_f32_f16_e32 v90, v89
	v_add_f32_e32 v3, v3, v6
	s_waitcnt vmcnt(3)
	v_cvt_f32_f16_e32 v93, v93
	v_add_f32_e32 v3, v3, v7
	s_waitcnt vmcnt(2)
	v_cvt_f32_f16_e32 v92, v92
	s_waitcnt vmcnt(1)
	v_cvt_f32_f16_e32 v95, v94
	;; [unrolled: 2-line block ×3, first 2 shown]
	v_pk_mul_f32 v[16:17], v[84:85], v[90:91]
	v_pk_mul_f32 v[18:19], v[92:93], v[94:95]
	s_waitcnt lgkmcnt(2)
	v_pk_mul_f32 v[8:9], v[16:17], v[8:9]
	s_waitcnt lgkmcnt(0)
	v_pk_mul_f32 v[4:5], v[18:19], v[10:11]
	v_add_f32_e32 v3, v3, v8
	v_add_f32_e32 v3, v3, v9
	;; [unrolled: 1-line block ×4, first 2 shown]
.LBB184_81:                             ;   in Loop: Header=BB184_53 Depth=1
	s_add_u32 s18, s18, s3
	s_addc_u32 s19, s19, 0
	v_mov_b64_e32 v[4:5], s[8:9]
	s_add_u32 s20, s20, s3
	v_cmp_ge_i64_e32 vcc, s[18:19], v[4:5]
	v_lshl_add_u64 v[52:53], v[52:53], 0, s[6:7]
	v_lshl_add_u64 v[54:55], v[54:55], 0, s[6:7]
	s_addc_u32 s21, s21, 0
	v_lshl_add_u64 v[22:23], v[22:23], 0, s[6:7]
	v_lshl_add_u64 v[24:25], v[24:25], 0, s[6:7]
	v_lshl_add_u64 v[26:27], v[26:27], 0, s[6:7]
	v_lshl_add_u64 v[28:29], v[28:29], 0, s[6:7]
	v_lshl_add_u64 v[30:31], v[30:31], 0, s[6:7]
	v_lshl_add_u64 v[32:33], v[32:33], 0, s[6:7]
	v_lshl_add_u64 v[34:35], v[34:35], 0, s[6:7]
	v_lshl_add_u64 v[36:37], v[36:37], 0, s[6:7]
	v_lshl_add_u64 v[38:39], v[38:39], 0, s[6:7]
	v_lshl_add_u64 v[40:41], v[40:41], 0, s[6:7]
	v_lshl_add_u64 v[42:43], v[42:43], 0, s[6:7]
	v_lshl_add_u64 v[44:45], v[44:45], 0, s[6:7]
	v_lshl_add_u64 v[46:47], v[46:47], 0, s[6:7]
	v_lshl_add_u64 v[48:49], v[48:49], 0, s[6:7]
	v_lshl_add_u64 v[56:57], v[56:57], 0, s[6:7]
	v_lshl_add_u64 v[58:59], v[58:59], 0, s[6:7]
	v_lshl_add_u64 v[60:61], v[60:61], 0, s[6:7]
	v_lshl_add_u64 v[62:63], v[62:63], 0, s[6:7]
	v_lshl_add_u64 v[64:65], v[64:65], 0, s[6:7]
	v_lshl_add_u64 v[66:67], v[66:67], 0, s[6:7]
	v_lshl_add_u64 v[68:69], v[68:69], 0, s[6:7]
	v_lshl_add_u64 v[70:71], v[70:71], 0, s[6:7]
	v_lshl_add_u64 v[72:73], v[72:73], 0, s[6:7]
	v_lshl_add_u64 v[74:75], v[74:75], 0, s[6:7]
	v_lshl_add_u64 v[76:77], v[76:77], 0, s[6:7]
	v_lshl_add_u64 v[78:79], v[78:79], 0, s[6:7]
	v_lshl_add_u64 v[80:81], v[80:81], 0, s[6:7]
	v_lshl_add_u64 v[82:83], v[82:83], 0, s[6:7]
	s_cbranch_vccnz .LBB184_83
; %bb.82:                               ;   in Loop: Header=BB184_53 Depth=1
	v_mov_b32_e32 v88, v3
	s_branch .LBB184_53
.LBB184_83:
	v_and_b32_e32 v2, 0x3ff, v0
	v_bfe_u32 v0, v0, 10, 10
	v_mad_u32_u24 v1, v0, 33, v2
	v_lshl_add_u32 v4, v1, 2, 0
	ds_write_b32 v4, v3
	v_mov_b32_e32 v3, 0
	ds_write_b32 v4, v3 offset:4224
	v_sub_u32_e32 v4, v1, v0
	s_movk_i32 s3, 0x800
	v_cmp_gt_u32_e32 vcc, s3, v4
	s_waitcnt lgkmcnt(0)
	s_barrier
	s_and_saveexec_b64 s[4:5], vcc
	s_cbranch_execz .LBB184_93
; %bb.84:
	s_load_dwordx2 s[4:5], s[0:1], 0x30
	v_and_b32_e32 v1, 63, v4
	v_lshrrev_b32_e32 v0, 6, v4
	v_cmp_gt_u32_e32 vcc, 32, v1
	v_mul_u32_u24_e32 v1, 33, v1
                                        ; implicit-def: $vgpr3
	s_and_saveexec_b64 s[0:1], vcc
; %bb.85:
	v_lshlrev_b32_e32 v3, 2, v0
	v_lshlrev_b32_e32 v5, 2, v1
	v_add3_u32 v3, 0, v3, v5
	ds_read_b32 v3, v3
; %bb.86:
	s_or_b64 exec, exec, s[0:1]
	v_mbcnt_lo_u32_b32 v5, -1, 0
	v_mbcnt_hi_u32_b32 v9, -1, v5
	v_and_b32_e32 v5, 64, v9
	v_add_u32_e32 v10, 64, v5
	v_xor_b32_e32 v5, 16, v9
	v_cmp_lt_i32_e64 s[0:1], v5, v10
	v_xor_b32_e32 v7, 8, v9
	v_xor_b32_e32 v8, 4, v9
	v_cndmask_b32_e64 v5, v9, v5, s[0:1]
	v_lshlrev_b32_e32 v5, 2, v5
	s_waitcnt lgkmcnt(0)
	ds_bpermute_b32 v6, v5, v3
	v_cmp_lt_i32_e64 s[0:1], v7, v10
	v_xor_b32_e32 v11, 2, v9
	v_xor_b32_e32 v12, 1, v9
	s_mov_b32 s3, 0
	s_waitcnt lgkmcnt(0)
	v_add_f32_e32 v3, v3, v6
	v_cndmask_b32_e64 v6, v9, v7, s[0:1]
	v_lshlrev_b32_e32 v6, 2, v6
	ds_bpermute_b32 v7, v6, v3
	v_cmp_lt_i32_e64 s[0:1], v8, v10
	s_lshl_b64 s[6:7], s[2:3], 5
	s_cmp_eq_u64 s[4:5], 0
	s_cselect_b64 s[8:9], -1, 0
	s_waitcnt lgkmcnt(0)
	v_add_f32_e32 v3, v3, v7
	v_cndmask_b32_e64 v7, v9, v8, s[0:1]
	v_lshlrev_b32_e32 v7, 2, v7
	ds_bpermute_b32 v8, v7, v3
	v_cmp_lt_i32_e64 s[0:1], v11, v10
	s_waitcnt lgkmcnt(0)
	v_add_f32_e32 v3, v3, v8
	v_cndmask_b32_e64 v8, v9, v11, s[0:1]
	v_lshlrev_b32_e32 v8, 2, v8
	ds_bpermute_b32 v11, v8, v3
	v_cmp_lt_i32_e64 s[0:1], v12, v10
	s_waitcnt lgkmcnt(0)
	v_add_f32_e32 v3, v3, v11
	v_cndmask_b32_e64 v9, v9, v12, s[0:1]
	v_lshlrev_b32_e32 v9, 2, v9
	ds_bpermute_b32 v10, v9, v3
	v_cmp_ne_u32_e64 s[0:1], 0, v2
	v_or_b32_e32 v2, s6, v0
	s_waitcnt lgkmcnt(0)
	v_add_f32_e32 v10, v3, v10
	v_mov_b32_e32 v3, s7
	v_cmp_le_i64_e64 s[2:3], s[10:11], v[2:3]
	s_or_b64 s[2:3], s[0:1], s[2:3]
	s_nor_b64 s[12:13], s[8:9], s[2:3]
	s_and_saveexec_b64 s[2:3], s[12:13]
	s_cbranch_execz .LBB184_88
; %bb.87:
	v_cvt_f16_f32_e32 v11, v10
	v_lshl_add_u64 v[2:3], v[2:3], 1, s[4:5]
	global_store_short v[2:3], v11, off
.LBB184_88:
	s_or_b64 exec, exec, s[2:3]
	s_movk_i32 s2, 0x400
	v_cmp_gt_u32_e64 s[2:3], s2, v4
	s_and_b64 exec, exec, s[2:3]
	s_cbranch_execz .LBB184_93
; %bb.89:
	s_and_saveexec_b64 s[2:3], vcc
; %bb.90:
	v_lshlrev_b32_e32 v2, 2, v0
	v_lshlrev_b32_e32 v1, 2, v1
	v_add3_u32 v1, 0, v2, v1
	ds_read_b32 v10, v1 offset:64
; %bb.91:
	s_or_b64 exec, exec, s[2:3]
	s_waitcnt lgkmcnt(0)
	ds_bpermute_b32 v1, v5, v10
	v_add_u32_e32 v3, 16, v0
	v_or_b32_e32 v4, s6, v3
	v_mov_b32_e32 v5, s7
	v_cmp_le_i64_e32 vcc, s[10:11], v[4:5]
	s_waitcnt lgkmcnt(0)
	v_add_f32_e32 v1, v10, v1
	ds_bpermute_b32 v2, v6, v1
	s_or_b64 s[0:1], s[0:1], vcc
	s_nor_b64 s[0:1], s[8:9], s[0:1]
	s_waitcnt lgkmcnt(0)
	v_add_f32_e32 v1, v1, v2
	ds_bpermute_b32 v2, v7, v1
	s_waitcnt lgkmcnt(0)
	v_add_f32_e32 v1, v1, v2
	ds_bpermute_b32 v2, v8, v1
	;; [unrolled: 3-line block ×3, first 2 shown]
	s_and_saveexec_b64 s[2:3], s[0:1]
	s_xor_b64 s[2:3], exec, s[2:3]
	s_cbranch_execz .LBB184_93
; %bb.92:
	s_waitcnt lgkmcnt(0)
	v_add_f32_e32 v1, v1, v2
	v_cvt_f16_f32_e32 v2, v1
	v_mov_b32_e32 v1, 0
	v_lshl_add_u64 v[0:1], s[6:7], 0, v[0:1]
	v_lshl_add_u64 v[0:1], v[0:1], 1, s[4:5]
	global_store_short v[0:1], v2, off offset:32
.LBB184_93:
	s_endpgm
	.section	.rodata,"a",@progbits
	.p2align	6, 0x0
	.amdhsa_kernel _ZN2at6native12_GLOBAL__N_135GammaBetaBackwardCUDAKernelTemplateIN3c104HalfEfLj32ELj32ELj256ELb0ELb0ELb1EEEvllPKT_S7_PKT0_SA_PS5_SB_
		.amdhsa_group_segment_fixed_size 0
		.amdhsa_private_segment_fixed_size 0
		.amdhsa_kernarg_size 320
		.amdhsa_user_sgpr_count 2
		.amdhsa_user_sgpr_dispatch_ptr 0
		.amdhsa_user_sgpr_queue_ptr 0
		.amdhsa_user_sgpr_kernarg_segment_ptr 1
		.amdhsa_user_sgpr_dispatch_id 0
		.amdhsa_user_sgpr_kernarg_preload_length 0
		.amdhsa_user_sgpr_kernarg_preload_offset 0
		.amdhsa_user_sgpr_private_segment_size 0
		.amdhsa_uses_dynamic_stack 0
		.amdhsa_enable_private_segment 0
		.amdhsa_system_sgpr_workgroup_id_x 1
		.amdhsa_system_sgpr_workgroup_id_y 1
		.amdhsa_system_sgpr_workgroup_id_z 0
		.amdhsa_system_sgpr_workgroup_info 0
		.amdhsa_system_vgpr_workitem_id 1
		.amdhsa_next_free_vgpr 97
		.amdhsa_next_free_sgpr 50
		.amdhsa_accum_offset 100
		.amdhsa_reserve_vcc 1
		.amdhsa_float_round_mode_32 0
		.amdhsa_float_round_mode_16_64 0
		.amdhsa_float_denorm_mode_32 3
		.amdhsa_float_denorm_mode_16_64 3
		.amdhsa_dx10_clamp 1
		.amdhsa_ieee_mode 1
		.amdhsa_fp16_overflow 0
		.amdhsa_tg_split 0
		.amdhsa_exception_fp_ieee_invalid_op 0
		.amdhsa_exception_fp_denorm_src 0
		.amdhsa_exception_fp_ieee_div_zero 0
		.amdhsa_exception_fp_ieee_overflow 0
		.amdhsa_exception_fp_ieee_underflow 0
		.amdhsa_exception_fp_ieee_inexact 0
		.amdhsa_exception_int_div_zero 0
	.end_amdhsa_kernel
	.section	.text._ZN2at6native12_GLOBAL__N_135GammaBetaBackwardCUDAKernelTemplateIN3c104HalfEfLj32ELj32ELj256ELb0ELb0ELb1EEEvllPKT_S7_PKT0_SA_PS5_SB_,"axG",@progbits,_ZN2at6native12_GLOBAL__N_135GammaBetaBackwardCUDAKernelTemplateIN3c104HalfEfLj32ELj32ELj256ELb0ELb0ELb1EEEvllPKT_S7_PKT0_SA_PS5_SB_,comdat
.Lfunc_end184:
	.size	_ZN2at6native12_GLOBAL__N_135GammaBetaBackwardCUDAKernelTemplateIN3c104HalfEfLj32ELj32ELj256ELb0ELb0ELb1EEEvllPKT_S7_PKT0_SA_PS5_SB_, .Lfunc_end184-_ZN2at6native12_GLOBAL__N_135GammaBetaBackwardCUDAKernelTemplateIN3c104HalfEfLj32ELj32ELj256ELb0ELb0ELb1EEEvllPKT_S7_PKT0_SA_PS5_SB_
                                        ; -- End function
	.set _ZN2at6native12_GLOBAL__N_135GammaBetaBackwardCUDAKernelTemplateIN3c104HalfEfLj32ELj32ELj256ELb0ELb0ELb1EEEvllPKT_S7_PKT0_SA_PS5_SB_.num_vgpr, 97
	.set _ZN2at6native12_GLOBAL__N_135GammaBetaBackwardCUDAKernelTemplateIN3c104HalfEfLj32ELj32ELj256ELb0ELb0ELb1EEEvllPKT_S7_PKT0_SA_PS5_SB_.num_agpr, 0
	.set _ZN2at6native12_GLOBAL__N_135GammaBetaBackwardCUDAKernelTemplateIN3c104HalfEfLj32ELj32ELj256ELb0ELb0ELb1EEEvllPKT_S7_PKT0_SA_PS5_SB_.numbered_sgpr, 50
	.set _ZN2at6native12_GLOBAL__N_135GammaBetaBackwardCUDAKernelTemplateIN3c104HalfEfLj32ELj32ELj256ELb0ELb0ELb1EEEvllPKT_S7_PKT0_SA_PS5_SB_.num_named_barrier, 0
	.set _ZN2at6native12_GLOBAL__N_135GammaBetaBackwardCUDAKernelTemplateIN3c104HalfEfLj32ELj32ELj256ELb0ELb0ELb1EEEvllPKT_S7_PKT0_SA_PS5_SB_.private_seg_size, 0
	.set _ZN2at6native12_GLOBAL__N_135GammaBetaBackwardCUDAKernelTemplateIN3c104HalfEfLj32ELj32ELj256ELb0ELb0ELb1EEEvllPKT_S7_PKT0_SA_PS5_SB_.uses_vcc, 1
	.set _ZN2at6native12_GLOBAL__N_135GammaBetaBackwardCUDAKernelTemplateIN3c104HalfEfLj32ELj32ELj256ELb0ELb0ELb1EEEvllPKT_S7_PKT0_SA_PS5_SB_.uses_flat_scratch, 0
	.set _ZN2at6native12_GLOBAL__N_135GammaBetaBackwardCUDAKernelTemplateIN3c104HalfEfLj32ELj32ELj256ELb0ELb0ELb1EEEvllPKT_S7_PKT0_SA_PS5_SB_.has_dyn_sized_stack, 0
	.set _ZN2at6native12_GLOBAL__N_135GammaBetaBackwardCUDAKernelTemplateIN3c104HalfEfLj32ELj32ELj256ELb0ELb0ELb1EEEvllPKT_S7_PKT0_SA_PS5_SB_.has_recursion, 0
	.set _ZN2at6native12_GLOBAL__N_135GammaBetaBackwardCUDAKernelTemplateIN3c104HalfEfLj32ELj32ELj256ELb0ELb0ELb1EEEvllPKT_S7_PKT0_SA_PS5_SB_.has_indirect_call, 0
	.section	.AMDGPU.csdata,"",@progbits
; Kernel info:
; codeLenInByte = 6796
; TotalNumSgprs: 56
; NumVgprs: 97
; NumAgprs: 0
; TotalNumVgprs: 97
; ScratchSize: 0
; MemoryBound: 0
; FloatMode: 240
; IeeeMode: 1
; LDSByteSize: 0 bytes/workgroup (compile time only)
; SGPRBlocks: 6
; VGPRBlocks: 12
; NumSGPRsForWavesPerEU: 56
; NumVGPRsForWavesPerEU: 97
; AccumOffset: 100
; Occupancy: 4
; WaveLimiterHint : 0
; COMPUTE_PGM_RSRC2:SCRATCH_EN: 0
; COMPUTE_PGM_RSRC2:USER_SGPR: 2
; COMPUTE_PGM_RSRC2:TRAP_HANDLER: 0
; COMPUTE_PGM_RSRC2:TGID_X_EN: 1
; COMPUTE_PGM_RSRC2:TGID_Y_EN: 1
; COMPUTE_PGM_RSRC2:TGID_Z_EN: 0
; COMPUTE_PGM_RSRC2:TIDIG_COMP_CNT: 1
; COMPUTE_PGM_RSRC3_GFX90A:ACCUM_OFFSET: 24
; COMPUTE_PGM_RSRC3_GFX90A:TG_SPLIT: 0
	.section	.text._ZN2at6native12_GLOBAL__N_118cuComputeGradInputIN3c108BFloat16EfLb1EEEvPKT_S7_llPKT0_SA_S7_PS5_,"axG",@progbits,_ZN2at6native12_GLOBAL__N_118cuComputeGradInputIN3c108BFloat16EfLb1EEEvPKT_S7_llPKT0_SA_S7_PS5_,comdat
	.globl	_ZN2at6native12_GLOBAL__N_118cuComputeGradInputIN3c108BFloat16EfLb1EEEvPKT_S7_llPKT0_SA_S7_PS5_ ; -- Begin function _ZN2at6native12_GLOBAL__N_118cuComputeGradInputIN3c108BFloat16EfLb1EEEvPKT_S7_llPKT0_SA_S7_PS5_
	.p2align	8
	.type	_ZN2at6native12_GLOBAL__N_118cuComputeGradInputIN3c108BFloat16EfLb1EEEvPKT_S7_llPKT0_SA_S7_PS5_,@function
_ZN2at6native12_GLOBAL__N_118cuComputeGradInputIN3c108BFloat16EfLb1EEEvPKT_S7_llPKT0_SA_S7_PS5_: ; @_ZN2at6native12_GLOBAL__N_118cuComputeGradInputIN3c108BFloat16EfLb1EEEvPKT_S7_llPKT0_SA_S7_PS5_
; %bb.0:
	s_load_dwordx4 s[16:19], s[0:1], 0x10
	s_mov_b32 s14, s3
	s_ashr_i32 s15, s3, 31
	v_mov_b64_e32 v[2:3], s[14:15]
	s_waitcnt lgkmcnt(0)
	v_cmp_le_i64_e32 vcc, s[16:17], v[2:3]
	s_cbranch_vccnz .LBB185_49
; %bb.1:
	s_load_dword s2, s[0:1], 0x4c
	s_load_dwordx4 s[20:23], s[0:1], 0x30
	s_load_dword s33, s[0:1], 0x44
	s_load_dwordx4 s[24:27], s[0:1], 0x0
	s_load_dwordx2 s[28:29], s[0:1], 0x28
	s_waitcnt lgkmcnt(0)
	s_lshr_b32 s44, s2, 16
	s_and_b32 s45, s2, 0xffff
	s_cmp_lg_u64 s[20:21], 0
	s_cselect_b64 s[6:7], -1, 0
	s_cmp_gt_u32 s45, 1
	s_cselect_b64 s[34:35], -1, 0
	s_cmp_gt_u32 s44, 1
	s_cselect_b64 s[36:37], -1, 0
	s_xor_b32 s1, s18, s19
	s_flbit_i32 s0, s19
	s_ashr_i32 s1, s1, 31
	s_add_i32 s0, s0, -1
	s_add_i32 s1, s1, 32
	s_min_u32 s2, s0, s1
	s_lshl_b64 s[0:1], s[18:19], s2
	s_min_u32 s0, s0, 1
	s_or_b32 s0, s1, s0
	v_cvt_f32_i32_e32 v1, s0
	s_sub_i32 s0, 32, s2
	v_and_b32_e32 v12, 0x3ff, v0
	v_bfe_u32 v13, v0, 10, 10
	v_ldexp_f32 v2, v1, s0
	v_div_scale_f32 v1, s[0:1], v2, v2, 1.0
	v_rcp_f32_e32 v4, v1
	s_mul_i32 s30, s44, s45
	v_mad_u32_u24 v0, v13, s45, v12
	v_lshlrev_b32_e32 v3, 3, v0
	v_fma_f32 v5, -v1, v4, 1.0
	v_fmac_f32_e32 v4, v5, v4
	v_div_scale_f32 v5, vcc, 1.0, v2, 1.0
	v_mul_f32_e32 v7, v5, v4
	v_fma_f32 v8, -v1, v7, v5
	v_fmac_f32_e32 v7, v8, v4
	v_fma_f32 v1, -v1, v7, v5
	v_add_u32_e32 v15, s30, v0
	s_ashr_i32 s31, s30, 31
	v_div_fmas_f32 v1, v1, v4, v7
	v_ashrrev_i32_e32 v5, 31, v15
	v_mov_b32_e32 v7, s31
	v_subrev_co_u32_e32 v4, vcc, s30, v15
	v_add_u32_e32 v16, 0, v3
	v_mbcnt_lo_u32_b32 v3, -1, 0
	v_subb_co_u32_e32 v5, vcc, v5, v7, vcc
	v_cndmask_b32_e64 v7, 0, 1, s[6:7]
	v_cmp_gt_i64_e64 s[6:7], s[18:19], 0
	v_mbcnt_hi_u32_b32 v17, -1, v3
	v_lshlrev_b32_e32 v6, 3, v12
	v_div_fixup_f32 v14, v1, v2, 1.0
	v_mov_b32_e32 v1, 0
	v_cndmask_b32_e64 v8, 0, 1, s[6:7]
	v_and_b32_e32 v3, 64, v17
	v_cmp_eq_u32_e64 s[0:1], 0, v13
	v_cmp_ne_u32_e64 s[2:3], 0, v13
	v_cmp_gt_i64_e64 s[4:5], s[18:19], v[0:1]
	s_movk_i32 s46, 0x7fff
	v_cmp_ne_u32_e64 s[6:7], 1, v7
	v_cmp_ne_u32_e64 s[8:9], 1, v8
	v_add_u32_e32 v18, 64, v3
	v_add_u32_e32 v19, 0, v6
	v_mov_b32_e32 v20, 0x7fc0
	s_branch .LBB185_4
.LBB185_2:                              ;   in Loop: Header=BB185_4 Depth=1
	s_or_b64 exec, exec, s[12:13]
.LBB185_3:                              ;   in Loop: Header=BB185_4 Depth=1
	s_add_i32 s14, s33, s14
	s_ashr_i32 s15, s14, 31
	v_mov_b64_e32 v[6:7], s[14:15]
	v_cmp_le_i64_e32 vcc, s[16:17], v[6:7]
	s_barrier
	s_cbranch_vccnz .LBB185_49
.LBB185_4:                              ; =>This Loop Header: Depth=1
                                        ;     Child Loop BB185_8 Depth 2
                                        ;     Child Loop BB185_20 Depth 2
	;; [unrolled: 1-line block ×6, first 2 shown]
	s_mul_i32 s10, s14, s19
	s_mul_hi_u32 s11, s14, s18
	s_add_i32 s10, s11, s10
	s_mul_i32 s11, s15, s18
	s_add_i32 s11, s10, s11
	s_lshl_b64 s[12:13], s[14:15], 2
	s_add_u32 s12, s28, s12
	s_mul_i32 s10, s14, s18
	s_addc_u32 s13, s29, s13
	s_load_dword s15, s[12:13], 0x0
	s_lshl_b64 s[42:43], s[10:11], 1
	s_add_u32 s38, s26, s42
	s_addc_u32 s39, s27, s43
	s_add_u32 s40, s24, s42
	s_addc_u32 s41, s25, s43
	s_and_b64 vcc, exec, s[6:7]
	s_cbranch_vccnz .LBB185_14
; %bb.5:                                ;   in Loop: Header=BB185_4 Depth=1
	s_and_b64 vcc, exec, s[8:9]
	s_cbranch_vccnz .LBB185_15
; %bb.6:                                ;   in Loop: Header=BB185_4 Depth=1
	s_mov_b32 s12, 0
	v_mov_b32_e32 v7, 0
	s_branch .LBB185_8
.LBB185_7:                              ;   in Loop: Header=BB185_8 Depth=2
	s_or_b64 exec, exec, s[10:11]
	s_add_i32 s12, s12, s30
	s_ashr_i32 s10, s12, 31
	v_mul_f32_e32 v3, v3, v10
	v_mov_b32_e32 v8, s12
	v_mov_b32_e32 v9, s10
	v_mul_f32_e32 v3, v6, v3
	v_cmp_le_i64_e32 vcc, s[18:19], v[8:9]
	s_waitcnt lgkmcnt(0)
	v_fmac_f32_e32 v7, s15, v3
	s_cbranch_vccnz .LBB185_16
.LBB185_8:                              ;   Parent Loop BB185_4 Depth=1
                                        ; =>  This Inner Loop Header: Depth=2
	v_add_u32_e32 v8, s12, v0
	v_ashrrev_i32_e32 v9, 31, v8
	v_cmp_gt_i64_e32 vcc, s[18:19], v[8:9]
	v_mov_b32_e32 v3, 0
	s_and_saveexec_b64 s[10:11], vcc
	s_cbranch_execz .LBB185_10
; %bb.9:                                ;   in Loop: Header=BB185_8 Depth=2
	v_lshl_add_u64 v[10:11], v[8:9], 1, s[20:21]
	global_load_ushort v3, v[10:11], off
	s_waitcnt vmcnt(0)
	v_lshlrev_b32_e32 v3, 16, v3
.LBB185_10:                             ;   in Loop: Header=BB185_8 Depth=2
	s_or_b64 exec, exec, s[10:11]
	v_mov_b32_e32 v10, 0
	v_mov_b32_e32 v6, 0
	s_and_saveexec_b64 s[10:11], vcc
	s_cbranch_execz .LBB185_12
; %bb.11:                               ;   in Loop: Header=BB185_8 Depth=2
	v_lshl_add_u64 v[22:23], v[8:9], 1, s[38:39]
	global_load_ushort v6, v[22:23], off
	s_waitcnt vmcnt(0)
	v_lshlrev_b32_e32 v6, 16, v6
.LBB185_12:                             ;   in Loop: Header=BB185_8 Depth=2
	s_or_b64 exec, exec, s[10:11]
	s_and_saveexec_b64 s[10:11], vcc
	s_cbranch_execz .LBB185_7
; %bb.13:                               ;   in Loop: Header=BB185_8 Depth=2
	v_lshl_add_u64 v[8:9], v[8:9], 1, s[40:41]
	global_load_ushort v8, v[8:9], off
	s_waitcnt vmcnt(0)
	v_lshlrev_b32_e32 v10, 16, v8
	s_branch .LBB185_7
.LBB185_14:                             ;   in Loop: Header=BB185_4 Depth=1
                                        ; implicit-def: $vgpr7
	s_branch .LBB185_17
.LBB185_15:                             ;   in Loop: Header=BB185_4 Depth=1
	v_mov_b32_e32 v7, 0
.LBB185_16:                             ;   in Loop: Header=BB185_4 Depth=1
	s_cbranch_execnz .LBB185_25
.LBB185_17:                             ;   in Loop: Header=BB185_4 Depth=1
	s_and_b64 vcc, exec, s[8:9]
	s_cbranch_vccnz .LBB185_24
; %bb.18:                               ;   in Loop: Header=BB185_4 Depth=1
	s_mov_b32 s12, 0
	v_mov_b32_e32 v7, 0
	s_branch .LBB185_20
.LBB185_19:                             ;   in Loop: Header=BB185_20 Depth=2
	s_or_b64 exec, exec, s[10:11]
	s_add_i32 s12, s12, s30
	s_ashr_i32 s10, s12, 31
	v_mov_b32_e32 v8, s12
	v_mov_b32_e32 v9, s10
	v_mul_f32_e32 v3, v3, v6
	v_cmp_le_i64_e32 vcc, s[18:19], v[8:9]
	s_waitcnt lgkmcnt(0)
	v_fmac_f32_e32 v7, s15, v3
	s_cbranch_vccnz .LBB185_25
.LBB185_20:                             ;   Parent Loop BB185_4 Depth=1
                                        ; =>  This Inner Loop Header: Depth=2
	v_add_u32_e32 v8, s12, v0
	v_ashrrev_i32_e32 v9, 31, v8
	v_cmp_gt_i64_e32 vcc, s[18:19], v[8:9]
	v_mov_b32_e32 v3, 0
	s_and_saveexec_b64 s[10:11], vcc
	s_cbranch_execz .LBB185_22
; %bb.21:                               ;   in Loop: Header=BB185_20 Depth=2
	v_lshl_add_u64 v[10:11], v[8:9], 1, s[38:39]
	global_load_ushort v3, v[10:11], off
	s_waitcnt vmcnt(0)
	v_lshlrev_b32_e32 v3, 16, v3
.LBB185_22:                             ;   in Loop: Header=BB185_20 Depth=2
	s_or_b64 exec, exec, s[10:11]
	v_mov_b32_e32 v6, 0
	s_and_saveexec_b64 s[10:11], vcc
	s_cbranch_execz .LBB185_19
; %bb.23:                               ;   in Loop: Header=BB185_20 Depth=2
	v_lshl_add_u64 v[8:9], v[8:9], 1, s[40:41]
	global_load_ushort v6, v[8:9], off
	s_waitcnt vmcnt(0)
	v_lshlrev_b32_e32 v6, 16, v6
	s_branch .LBB185_19
.LBB185_24:                             ;   in Loop: Header=BB185_4 Depth=1
	v_mov_b32_e32 v7, 0
.LBB185_25:                             ;   in Loop: Header=BB185_4 Depth=1
	s_andn2_b64 vcc, exec, s[34:35]
	s_cbranch_vccnz .LBB185_28
; %bb.26:                               ;   in Loop: Header=BB185_4 Depth=1
	s_mov_b32 s10, s45
.LBB185_27:                             ;   Parent Loop BB185_4 Depth=1
                                        ; =>  This Inner Loop Header: Depth=2
	s_lshr_b32 s11, s10, 1
	v_xor_b32_e32 v3, s11, v17
	v_cmp_lt_i32_e32 vcc, v3, v18
	s_cmp_lt_u32 s10, 4
	s_mov_b32 s10, s11
	v_cndmask_b32_e32 v3, v17, v3, vcc
	v_lshlrev_b32_e32 v3, 2, v3
	ds_bpermute_b32 v3, v3, v7
	s_waitcnt lgkmcnt(0)
	v_add_f32_e32 v7, v7, v3
	s_cbranch_scc0 .LBB185_27
.LBB185_28:                             ;   in Loop: Header=BB185_4 Depth=1
	s_andn2_b64 vcc, exec, s[36:37]
	s_mov_b32 s47, s44
	s_cbranch_vccnz .LBB185_40
.LBB185_29:                             ;   Parent Loop BB185_4 Depth=1
                                        ; =>  This Inner Loop Header: Depth=2
	s_lshr_b32 s48, s47, 1
	s_and_b32 s12, s47, 0xfffe
	v_cmp_le_u32_e64 s[10:11], s48, v13
	v_cmp_gt_u32_e64 s[12:13], s12, v13
	v_cmp_gt_u32_e32 vcc, s48, v13
	s_and_b64 s[12:13], s[10:11], s[12:13]
	s_and_saveexec_b64 s[10:11], s[12:13]
; %bb.30:                               ;   in Loop: Header=BB185_29 Depth=2
	v_subrev_u32_e32 v3, s48, v13
	v_mad_u32_u24 v3, v3, s45, v12
	v_lshl_add_u32 v3, v3, 3, 0
	ds_write_b32 v3, v7 offset:4
; %bb.31:                               ;   in Loop: Header=BB185_29 Depth=2
	s_or_b64 exec, exec, s[10:11]
	s_waitcnt lgkmcnt(0)
	s_barrier
	s_and_saveexec_b64 s[10:11], vcc
	s_cbranch_execz .LBB185_33
; %bb.32:                               ;   in Loop: Header=BB185_29 Depth=2
	ds_read_b32 v3, v16 offset:4
	s_waitcnt lgkmcnt(0)
	v_add_f32_e32 v7, v7, v3
.LBB185_33:                             ;   in Loop: Header=BB185_29 Depth=2
	s_or_b64 exec, exec, s[10:11]
	s_cmp_lt_u32 s47, 4
	s_barrier
	s_cbranch_scc1 .LBB185_35
; %bb.34:                               ;   in Loop: Header=BB185_29 Depth=2
	s_mov_b32 s47, s48
	s_branch .LBB185_29
.LBB185_35:                             ;   in Loop: Header=BB185_4 Depth=1
	s_and_saveexec_b64 s[10:11], s[0:1]
; %bb.36:                               ;   in Loop: Header=BB185_4 Depth=1
	ds_write_b32 v19, v7 offset:4
; %bb.37:                               ;   in Loop: Header=BB185_4 Depth=1
	s_or_b64 exec, exec, s[10:11]
	s_waitcnt lgkmcnt(0)
	s_barrier
	s_and_saveexec_b64 s[10:11], s[2:3]
; %bb.38:                               ;   in Loop: Header=BB185_4 Depth=1
	ds_read_b32 v7, v19 offset:4
; %bb.39:                               ;   in Loop: Header=BB185_4 Depth=1
	s_or_b64 exec, exec, s[10:11]
.LBB185_40:                             ;   in Loop: Header=BB185_4 Depth=1
	s_add_u32 s10, s22, s42
	s_addc_u32 s11, s23, s43
	s_and_b64 vcc, exec, s[6:7]
	s_waitcnt lgkmcnt(0)
	v_mul_f32_e32 v21, s15, v14
	s_cbranch_vccnz .LBB185_45
; %bb.41:                               ;   in Loop: Header=BB185_4 Depth=1
	s_and_saveexec_b64 s[12:13], s[4:5]
	s_cbranch_execz .LBB185_44
; %bb.42:                               ;   in Loop: Header=BB185_4 Depth=1
	v_mov_b32_e32 v3, s15
	s_mov_b64 s[42:43], 0
	v_mov_b32_e32 v8, v15
	v_mov_b64_e32 v[10:11], v[0:1]
.LBB185_43:                             ;   Parent Loop BB185_4 Depth=1
                                        ; =>  This Inner Loop Header: Depth=2
	v_lshlrev_b64 v[10:11], 1, v[10:11]
	v_lshl_add_u64 v[24:25], s[40:41], 0, v[10:11]
	v_lshl_add_u64 v[22:23], s[38:39], 0, v[10:11]
	;; [unrolled: 1-line block ×3, first 2 shown]
	global_load_ushort v28, v[24:25], off
	global_load_ushort v29, v[22:23], off
	;; [unrolled: 1-line block ×3, first 2 shown]
	v_ashrrev_i32_e32 v9, 31, v8
	v_lshl_add_u64 v[22:23], s[10:11], 0, v[10:11]
	v_mov_b64_e32 v[10:11], v[8:9]
	v_cmp_le_i64_e32 vcc, s[18:19], v[8:9]
	s_or_b64 s[42:43], vcc, s[42:43]
	v_add_u32_e32 v8, s30, v8
	s_waitcnt vmcnt(2)
	v_lshlrev_b32_e32 v24, 16, v28
	s_waitcnt vmcnt(1)
	v_lshlrev_b32_e32 v25, 16, v29
	;; [unrolled: 2-line block ×3, first 2 shown]
	v_pk_mul_f32 v[24:25], v[2:3], v[24:25]
	s_nop 0
	v_pk_mul_f32 v[24:25], v[24:25], v[6:7]
	s_nop 0
	v_sub_f32_e32 v6, v24, v25
	v_mul_f32_e32 v6, v21, v6
	v_bfe_u32 v9, v6, 16, 1
	v_add3_u32 v9, v6, v9, s46
	v_lshrrev_b32_e32 v9, 16, v9
	v_cmp_o_f32_e32 vcc, v6, v6
	s_nop 1
	v_cndmask_b32_e32 v6, v20, v9, vcc
	global_store_short v[22:23], v6, off
	s_andn2_b64 exec, exec, s[42:43]
	s_cbranch_execnz .LBB185_43
.LBB185_44:                             ;   in Loop: Header=BB185_4 Depth=1
	s_or_b64 exec, exec, s[12:13]
	s_cbranch_execnz .LBB185_3
	s_branch .LBB185_46
.LBB185_45:                             ;   in Loop: Header=BB185_4 Depth=1
.LBB185_46:                             ;   in Loop: Header=BB185_4 Depth=1
	s_and_saveexec_b64 s[12:13], s[4:5]
	s_cbranch_execz .LBB185_2
; %bb.47:                               ;   in Loop: Header=BB185_4 Depth=1
	v_mov_b32_e32 v3, s15
	s_mov_b64 s[42:43], 0
	v_mov_b64_e32 v[8:9], v[4:5]
	v_mov_b64_e32 v[10:11], v[0:1]
.LBB185_48:                             ;   Parent Loop BB185_4 Depth=1
                                        ; =>  This Inner Loop Header: Depth=2
	v_lshlrev_b64 v[10:11], 1, v[10:11]
	v_lshl_add_u64 v[22:23], s[38:39], 0, v[10:11]
	v_lshl_add_u64 v[24:25], s[40:41], 0, v[10:11]
	global_load_ushort v6, v[22:23], off
	global_load_ushort v26, v[24:25], off
	v_lshl_add_u64 v[8:9], v[8:9], 0, s[30:31]
	v_cmp_le_i64_e32 vcc, s[18:19], v[8:9]
	s_or_b64 s[42:43], vcc, s[42:43]
	v_lshl_add_u64 v[22:23], s[10:11], 0, v[10:11]
	v_ashrrev_i32_e32 v11, 31, v8
	v_mov_b32_e32 v10, v8
	s_waitcnt vmcnt(1)
	v_lshlrev_b32_e32 v25, 16, v6
	s_waitcnt vmcnt(0)
	v_lshlrev_b32_e32 v24, 16, v26
	v_pk_mul_f32 v[24:25], v[2:3], v[24:25]
	s_nop 0
	v_fma_f32 v6, -v7, v25, v24
	v_mul_f32_e32 v6, v21, v6
	v_bfe_u32 v24, v6, 16, 1
	v_cmp_o_f32_e32 vcc, v6, v6
	v_add3_u32 v6, v6, v24, s46
	s_nop 0
	v_cndmask_b32_sdwa v6, v20, v6, vcc dst_sel:DWORD dst_unused:UNUSED_PAD src0_sel:DWORD src1_sel:WORD_1
	global_store_short v[22:23], v6, off
	s_andn2_b64 exec, exec, s[42:43]
	s_cbranch_execnz .LBB185_48
	s_branch .LBB185_2
.LBB185_49:
	s_endpgm
	.section	.rodata,"a",@progbits
	.p2align	6, 0x0
	.amdhsa_kernel _ZN2at6native12_GLOBAL__N_118cuComputeGradInputIN3c108BFloat16EfLb1EEEvPKT_S7_llPKT0_SA_S7_PS5_
		.amdhsa_group_segment_fixed_size 0
		.amdhsa_private_segment_fixed_size 0
		.amdhsa_kernarg_size 320
		.amdhsa_user_sgpr_count 2
		.amdhsa_user_sgpr_dispatch_ptr 0
		.amdhsa_user_sgpr_queue_ptr 0
		.amdhsa_user_sgpr_kernarg_segment_ptr 1
		.amdhsa_user_sgpr_dispatch_id 0
		.amdhsa_user_sgpr_kernarg_preload_length 0
		.amdhsa_user_sgpr_kernarg_preload_offset 0
		.amdhsa_user_sgpr_private_segment_size 0
		.amdhsa_uses_dynamic_stack 0
		.amdhsa_enable_private_segment 0
		.amdhsa_system_sgpr_workgroup_id_x 1
		.amdhsa_system_sgpr_workgroup_id_y 1
		.amdhsa_system_sgpr_workgroup_id_z 0
		.amdhsa_system_sgpr_workgroup_info 0
		.amdhsa_system_vgpr_workitem_id 1
		.amdhsa_next_free_vgpr 30
		.amdhsa_next_free_sgpr 49
		.amdhsa_accum_offset 32
		.amdhsa_reserve_vcc 1
		.amdhsa_float_round_mode_32 0
		.amdhsa_float_round_mode_16_64 0
		.amdhsa_float_denorm_mode_32 3
		.amdhsa_float_denorm_mode_16_64 3
		.amdhsa_dx10_clamp 1
		.amdhsa_ieee_mode 1
		.amdhsa_fp16_overflow 0
		.amdhsa_tg_split 0
		.amdhsa_exception_fp_ieee_invalid_op 0
		.amdhsa_exception_fp_denorm_src 0
		.amdhsa_exception_fp_ieee_div_zero 0
		.amdhsa_exception_fp_ieee_overflow 0
		.amdhsa_exception_fp_ieee_underflow 0
		.amdhsa_exception_fp_ieee_inexact 0
		.amdhsa_exception_int_div_zero 0
	.end_amdhsa_kernel
	.section	.text._ZN2at6native12_GLOBAL__N_118cuComputeGradInputIN3c108BFloat16EfLb1EEEvPKT_S7_llPKT0_SA_S7_PS5_,"axG",@progbits,_ZN2at6native12_GLOBAL__N_118cuComputeGradInputIN3c108BFloat16EfLb1EEEvPKT_S7_llPKT0_SA_S7_PS5_,comdat
.Lfunc_end185:
	.size	_ZN2at6native12_GLOBAL__N_118cuComputeGradInputIN3c108BFloat16EfLb1EEEvPKT_S7_llPKT0_SA_S7_PS5_, .Lfunc_end185-_ZN2at6native12_GLOBAL__N_118cuComputeGradInputIN3c108BFloat16EfLb1EEEvPKT_S7_llPKT0_SA_S7_PS5_
                                        ; -- End function
	.set _ZN2at6native12_GLOBAL__N_118cuComputeGradInputIN3c108BFloat16EfLb1EEEvPKT_S7_llPKT0_SA_S7_PS5_.num_vgpr, 30
	.set _ZN2at6native12_GLOBAL__N_118cuComputeGradInputIN3c108BFloat16EfLb1EEEvPKT_S7_llPKT0_SA_S7_PS5_.num_agpr, 0
	.set _ZN2at6native12_GLOBAL__N_118cuComputeGradInputIN3c108BFloat16EfLb1EEEvPKT_S7_llPKT0_SA_S7_PS5_.numbered_sgpr, 49
	.set _ZN2at6native12_GLOBAL__N_118cuComputeGradInputIN3c108BFloat16EfLb1EEEvPKT_S7_llPKT0_SA_S7_PS5_.num_named_barrier, 0
	.set _ZN2at6native12_GLOBAL__N_118cuComputeGradInputIN3c108BFloat16EfLb1EEEvPKT_S7_llPKT0_SA_S7_PS5_.private_seg_size, 0
	.set _ZN2at6native12_GLOBAL__N_118cuComputeGradInputIN3c108BFloat16EfLb1EEEvPKT_S7_llPKT0_SA_S7_PS5_.uses_vcc, 1
	.set _ZN2at6native12_GLOBAL__N_118cuComputeGradInputIN3c108BFloat16EfLb1EEEvPKT_S7_llPKT0_SA_S7_PS5_.uses_flat_scratch, 0
	.set _ZN2at6native12_GLOBAL__N_118cuComputeGradInputIN3c108BFloat16EfLb1EEEvPKT_S7_llPKT0_SA_S7_PS5_.has_dyn_sized_stack, 0
	.set _ZN2at6native12_GLOBAL__N_118cuComputeGradInputIN3c108BFloat16EfLb1EEEvPKT_S7_llPKT0_SA_S7_PS5_.has_recursion, 0
	.set _ZN2at6native12_GLOBAL__N_118cuComputeGradInputIN3c108BFloat16EfLb1EEEvPKT_S7_llPKT0_SA_S7_PS5_.has_indirect_call, 0
	.section	.AMDGPU.csdata,"",@progbits
; Kernel info:
; codeLenInByte = 1556
; TotalNumSgprs: 55
; NumVgprs: 30
; NumAgprs: 0
; TotalNumVgprs: 30
; ScratchSize: 0
; MemoryBound: 0
; FloatMode: 240
; IeeeMode: 1
; LDSByteSize: 0 bytes/workgroup (compile time only)
; SGPRBlocks: 6
; VGPRBlocks: 3
; NumSGPRsForWavesPerEU: 55
; NumVGPRsForWavesPerEU: 30
; AccumOffset: 32
; Occupancy: 8
; WaveLimiterHint : 0
; COMPUTE_PGM_RSRC2:SCRATCH_EN: 0
; COMPUTE_PGM_RSRC2:USER_SGPR: 2
; COMPUTE_PGM_RSRC2:TRAP_HANDLER: 0
; COMPUTE_PGM_RSRC2:TGID_X_EN: 1
; COMPUTE_PGM_RSRC2:TGID_Y_EN: 1
; COMPUTE_PGM_RSRC2:TGID_Z_EN: 0
; COMPUTE_PGM_RSRC2:TIDIG_COMP_CNT: 1
; COMPUTE_PGM_RSRC3_GFX90A:ACCUM_OFFSET: 7
; COMPUTE_PGM_RSRC3_GFX90A:TG_SPLIT: 0
	.section	.text._ZN2at6native12_GLOBAL__N_128layer_norm_grad_input_kernelIN3c108BFloat16EfLb1EEEvPKT_S7_PKT0_SA_S7_PS5_i,"axG",@progbits,_ZN2at6native12_GLOBAL__N_128layer_norm_grad_input_kernelIN3c108BFloat16EfLb1EEEvPKT_S7_PKT0_SA_S7_PS5_i,comdat
	.globl	_ZN2at6native12_GLOBAL__N_128layer_norm_grad_input_kernelIN3c108BFloat16EfLb1EEEvPKT_S7_PKT0_SA_S7_PS5_i ; -- Begin function _ZN2at6native12_GLOBAL__N_128layer_norm_grad_input_kernelIN3c108BFloat16EfLb1EEEvPKT_S7_PKT0_SA_S7_PS5_i
	.p2align	8
	.type	_ZN2at6native12_GLOBAL__N_128layer_norm_grad_input_kernelIN3c108BFloat16EfLb1EEEvPKT_S7_PKT0_SA_S7_PS5_i,@function
_ZN2at6native12_GLOBAL__N_128layer_norm_grad_input_kernelIN3c108BFloat16EfLb1EEEvPKT_S7_PKT0_SA_S7_PS5_i: ; @_ZN2at6native12_GLOBAL__N_128layer_norm_grad_input_kernelIN3c108BFloat16EfLb1EEEvPKT_S7_PKT0_SA_S7_PS5_i
; %bb.0:
	s_load_dword s24, s[0:1], 0x30
	s_load_dwordx4 s[8:11], s[0:1], 0x0
	s_load_dwordx4 s[4:7], s[0:1], 0x18
	s_mov_b32 s3, 0
	v_lshlrev_b32_e32 v2, 2, v0
	s_waitcnt lgkmcnt(0)
	s_ashr_i32 s12, s24, 31
	s_mul_hi_u32 s13, s24, s2
	s_mul_i32 s12, s12, s2
	s_add_i32 s17, s13, s12
	s_mul_i32 s16, s24, s2
	s_lshl_b64 s[2:3], s[2:3], 2
	s_add_u32 s2, s4, s2
	s_addc_u32 s3, s5, s3
	s_load_dword s25, s[2:3], 0x0
	s_lshl_b64 s[14:15], s[16:17], 1
	s_add_u32 s4, s10, s14
	s_addc_u32 s5, s11, s15
	s_add_u32 s12, s8, s14
	v_or_b32_e32 v1, 3, v2
	s_addc_u32 s13, s9, s15
	v_cmp_gt_u32_e32 vcc, s24, v1
	v_mov_b32_e32 v1, 0
	s_and_saveexec_b64 s[18:19], vcc
	s_cbranch_execz .LBB186_12
; %bb.1:
	s_load_dword s2, s[0:1], 0x44
	s_cmp_lg_u64 s[6:7], 0
	s_cselect_b64 s[22:23], -1, 0
	v_cndmask_b32_e64 v1, 0, 1, s[22:23]
	s_mov_b64 s[20:21], 0
	s_waitcnt lgkmcnt(0)
	s_and_b32 s2, s2, 0xffff
	v_mov_b32_e32 v3, 0
	s_lshl_b32 s26, s2, 2
	v_cmp_ne_u32_e64 s[2:3], 1, v1
	v_mov_b32_e32 v1, 0
	s_branch .LBB186_3
.LBB186_2:                              ;   in Loop: Header=BB186_3 Depth=1
	global_load_ushort v8, v[4:5], off offset:6
	global_load_ushort v9, v[6:7], off offset:6
	s_waitcnt vmcnt(6)
	v_lshlrev_b32_e32 v5, 16, v14
	v_lshlrev_b32_e32 v4, 16, v13
	s_waitcnt vmcnt(4)
	v_lshlrev_b32_e32 v7, 16, v17
	v_mul_f32_e32 v5, v11, v5
	v_lshlrev_b32_e32 v6, 16, v16
	v_mul_f32_e32 v7, v10, v7
	v_mul_f32_e32 v4, v5, v4
	s_waitcnt vmcnt(2)
	v_lshlrev_b32_e32 v14, 16, v19
	v_mul_f32_e32 v5, v7, v6
	v_fmac_f32_e32 v1, s25, v4
	v_lshlrev_b32_e32 v13, 16, v18
	v_add_u32_e32 v2, s26, v2
	v_mul_f32_e32 v10, v15, v14
	v_fmac_f32_e32 v1, s25, v5
	v_add_u32_e32 v11, 3, v2
	v_mul_f32_e32 v6, v10, v13
	v_cmp_le_u32_e32 vcc, s24, v11
	v_fmac_f32_e32 v1, s25, v6
	s_or_b64 s[20:21], vcc, s[20:21]
	s_waitcnt vmcnt(1)
	v_lshlrev_b32_e32 v4, 16, v8
	s_waitcnt vmcnt(0)
	v_lshlrev_b32_e32 v5, 16, v9
	v_mul_f32_e32 v5, v12, v5
	v_mul_f32_e32 v4, v5, v4
	v_fmac_f32_e32 v1, s25, v4
	s_andn2_b64 exec, exec, s[20:21]
	s_cbranch_execz .LBB186_11
.LBB186_3:                              ; =>This Inner Loop Header: Depth=1
	v_mov_b32_e32 v10, 1.0
	s_and_b64 vcc, exec, s[22:23]
	v_lshl_add_u64 v[8:9], v[2:3], 1, s[6:7]
	v_mov_b32_e32 v11, 1.0
	s_cbranch_vccz .LBB186_5
; %bb.4:                                ;   in Loop: Header=BB186_3 Depth=1
	global_load_ushort v4, v[8:9], off
	s_waitcnt vmcnt(0)
	v_lshlrev_b32_e32 v11, 16, v4
.LBB186_5:                              ;   in Loop: Header=BB186_3 Depth=1
	v_lshlrev_b64 v[6:7], 1, v[2:3]
	v_lshl_add_u64 v[4:5], s[4:5], 0, v[6:7]
	v_lshl_add_u64 v[6:7], s[12:13], 0, v[6:7]
	global_load_ushort v13, v[4:5], off
	global_load_ushort v14, v[6:7], off
	s_and_b64 vcc, exec, s[2:3]
	s_cbranch_vccnz .LBB186_7
; %bb.6:                                ;   in Loop: Header=BB186_3 Depth=1
	global_load_ushort v10, v[8:9], off offset:2
	s_waitcnt vmcnt(0)
	v_lshlrev_b32_e32 v10, 16, v10
.LBB186_7:                              ;   in Loop: Header=BB186_3 Depth=1
	global_load_ushort v16, v[4:5], off offset:2
	global_load_ushort v17, v[6:7], off offset:2
	v_mov_b32_e32 v12, 1.0
	s_and_b64 vcc, exec, s[2:3]
	v_mov_b32_e32 v15, 1.0
	s_cbranch_vccnz .LBB186_9
; %bb.8:                                ;   in Loop: Header=BB186_3 Depth=1
	global_load_ushort v15, v[8:9], off offset:4
	s_waitcnt vmcnt(0)
	v_lshlrev_b32_e32 v15, 16, v15
.LBB186_9:                              ;   in Loop: Header=BB186_3 Depth=1
	global_load_ushort v18, v[4:5], off offset:4
	global_load_ushort v19, v[6:7], off offset:4
	s_and_b64 vcc, exec, s[2:3]
	s_cbranch_vccnz .LBB186_2
; %bb.10:                               ;   in Loop: Header=BB186_3 Depth=1
	global_load_ushort v8, v[8:9], off offset:6
	s_waitcnt vmcnt(0)
	v_lshlrev_b32_e32 v12, 16, v8
	s_branch .LBB186_2
.LBB186_11:
	s_or_b64 exec, exec, s[20:21]
.LBB186_12:
	s_or_b64 exec, exec, s[18:19]
	v_cmp_gt_u32_e32 vcc, s24, v2
	s_and_saveexec_b64 s[18:19], vcc
	s_cbranch_execz .LBB186_19
; %bb.13:
	s_cmp_lg_u64 s[6:7], 0
	v_mov_b32_e32 v3, 0
	v_lshlrev_b64 v[6:7], 1, v[2:3]
	s_cselect_b64 s[2:3], -1, 0
	v_lshl_add_u64 v[8:9], s[16:17], 1, v[6:7]
	v_cndmask_b32_e64 v3, 0, 1, s[2:3]
	s_mov_b64 s[20:21], 0
	v_lshl_add_u64 v[4:5], s[6:7], 0, v[6:7]
	v_lshl_add_u64 v[6:7], s[10:11], 0, v[8:9]
	;; [unrolled: 1-line block ×3, first 2 shown]
	v_cmp_ne_u32_e64 s[2:3], 1, v3
	s_branch .LBB186_16
.LBB186_14:                             ;   in Loop: Header=BB186_16 Depth=1
	global_load_ushort v3, v[4:5], off
	s_waitcnt vmcnt(0)
	v_lshlrev_b32_e32 v3, 16, v3
.LBB186_15:                             ;   in Loop: Header=BB186_16 Depth=1
	global_load_ushort v10, v[6:7], off
	global_load_ushort v11, v[8:9], off
	v_add_u32_e32 v2, 1, v2
	v_cmp_le_u32_e32 vcc, s24, v2
	v_lshl_add_u64 v[4:5], v[4:5], 0, 2
	v_lshl_add_u64 v[6:7], v[6:7], 0, 2
	s_or_b64 s[20:21], vcc, s[20:21]
	v_lshl_add_u64 v[8:9], v[8:9], 0, 2
	s_waitcnt vmcnt(1)
	v_lshlrev_b32_e32 v10, 16, v10
	s_waitcnt vmcnt(0)
	v_lshlrev_b32_e32 v11, 16, v11
	v_mul_f32_e32 v3, v3, v11
	v_mul_f32_e32 v3, v3, v10
	s_waitcnt lgkmcnt(0)
	v_fmac_f32_e32 v1, s25, v3
	s_andn2_b64 exec, exec, s[20:21]
	s_cbranch_execz .LBB186_18
.LBB186_16:                             ; =>This Inner Loop Header: Depth=1
	s_and_b64 vcc, exec, s[2:3]
	s_cbranch_vccz .LBB186_14
; %bb.17:                               ;   in Loop: Header=BB186_16 Depth=1
	v_mov_b32_e32 v3, 1.0
	s_branch .LBB186_15
.LBB186_18:
	s_or_b64 exec, exec, s[20:21]
.LBB186_19:
	s_or_b64 exec, exec, s[18:19]
	v_mbcnt_lo_u32_b32 v2, -1, 0
	v_mbcnt_hi_u32_b32 v6, -1, v2
	v_mov_b32_e32 v2, 0x80
	v_lshl_or_b32 v2, v6, 2, v2
	ds_bpermute_b32 v3, v2, v1
	v_and_b32_e32 v8, 63, v6
	v_cmp_gt_u32_e32 vcc, 48, v8
	s_waitcnt lgkmcnt(0)
	s_barrier
	v_cndmask_b32_e64 v4, 0, 16, vcc
	v_add_f32_e32 v5, v1, v3
	v_add_lshl_u32 v1, v4, v6, 2
	ds_bpermute_b32 v4, v1, v5
	v_cmp_gt_u32_e32 vcc, 56, v8
	s_waitcnt lgkmcnt(0)
	v_add_f32_e32 v5, v5, v4
	v_cndmask_b32_e64 v3, 0, 8, vcc
	v_add_lshl_u32 v3, v3, v6, 2
	ds_bpermute_b32 v7, v3, v5
	v_cmp_gt_u32_e32 vcc, 60, v8
	s_waitcnt lgkmcnt(0)
	v_add_f32_e32 v7, v5, v7
	v_cndmask_b32_e64 v4, 0, 4, vcc
	;; [unrolled: 6-line block ×3, first 2 shown]
	v_add_lshl_u32 v5, v5, v6, 2
	ds_bpermute_b32 v10, v5, v9
	v_cmp_ne_u32_e32 vcc, 63, v8
	v_and_b32_e32 v7, 63, v0
	s_waitcnt lgkmcnt(0)
	v_add_f32_e32 v8, v9, v10
	v_addc_co_u32_e32 v6, vcc, 0, v6, vcc
	v_lshlrev_b32_e32 v6, 2, v6
	ds_bpermute_b32 v9, v6, v8
	v_cmp_eq_u32_e32 vcc, 0, v7
	s_and_saveexec_b64 s[2:3], vcc
	s_cbranch_execz .LBB186_21
; %bb.20:
	v_lshrrev_b32_e32 v10, 4, v0
	v_add_u32_e32 v10, 0, v10
	s_waitcnt lgkmcnt(0)
	v_add_f32_e32 v8, v8, v9
	ds_write_b32 v10, v8
.LBB186_21:
	s_or_b64 exec, exec, s[2:3]
	s_waitcnt lgkmcnt(0)
	s_barrier
	s_load_dword s8, s[0:1], 0x44
	v_mov_b32_e32 v8, 0
	s_waitcnt lgkmcnt(0)
	s_bfe_u32 s2, s8, 0xa0006
	v_cmp_gt_u32_e32 vcc, s2, v0
	s_and_saveexec_b64 s[2:3], vcc
	s_cbranch_execnz .LBB186_32
; %bb.22:
	s_or_b64 exec, exec, s[2:3]
	v_cmp_gt_u32_e32 vcc, 64, v0
	s_and_saveexec_b64 s[2:3], vcc
	s_cbranch_execnz .LBB186_33
.LBB186_23:
	s_or_b64 exec, exec, s[2:3]
	v_cmp_eq_u32_e32 vcc, 0, v0
	s_and_saveexec_b64 s[2:3], vcc
	s_cbranch_execz .LBB186_25
.LBB186_24:
	v_mov_b32_e32 v1, 0
	s_waitcnt lgkmcnt(0)
	ds_write_b32 v1, v8 offset:4
.LBB186_25:
	s_or_b64 exec, exec, s[2:3]
	v_cmp_gt_i32_e32 vcc, s24, v0
	s_waitcnt lgkmcnt(0)
	s_barrier
	s_and_saveexec_b64 s[2:3], vcc
	s_cbranch_execz .LBB186_31
; %bb.26:
	v_cvt_f32_i32_e32 v2, s24
	s_load_dwordx2 s[0:1], s[0:1], 0x28
	s_and_b32 s10, 0xffff, s8
	s_mov_b64 s[8:9], 0
	v_div_scale_f32 v1, s[2:3], v2, v2, 1.0
	v_rcp_f32_e32 v3, v1
	v_div_scale_f32 v4, vcc, 1.0, v2, 1.0
	s_waitcnt lgkmcnt(0)
	s_add_u32 s2, s0, s14
	v_fma_f32 v5, -v1, v3, 1.0
	v_fmac_f32_e32 v3, v5, v3
	v_mul_f32_e32 v5, v4, v3
	v_fma_f32 v6, -v1, v5, v4
	v_fmac_f32_e32 v5, v6, v3
	v_fma_f32 v1, -v1, v5, v4
	v_div_fmas_f32 v1, v1, v3, v5
	v_div_fixup_f32 v1, v1, v2, 1.0
	v_mul_f32_e32 v8, s25, v1
	v_mov_b32_e32 v1, 0
	s_addc_u32 s3, s1, s15
	ds_read_b32 v5, v1 offset:4
	s_cmp_lg_u64 s[6:7], 0
	s_cselect_b64 s[0:1], -1, 0
	v_cndmask_b32_e64 v1, 0, 1, s[0:1]
	v_cmp_ne_u32_e64 s[0:1], 1, v1
	s_movk_i32 s11, 0x7fff
	v_mov_b32_e32 v9, 0x7fc0
	s_branch .LBB186_29
.LBB186_27:                             ;   in Loop: Header=BB186_29 Depth=1
	v_lshl_add_u64 v[6:7], v[0:1], 1, s[6:7]
	global_load_ushort v6, v[6:7], off
	s_waitcnt vmcnt(0)
	v_lshlrev_b32_e32 v6, 16, v6
.LBB186_28:                             ;   in Loop: Header=BB186_29 Depth=1
	s_waitcnt vmcnt(1)
	v_lshlrev_b32_e32 v3, 16, v3
	v_mov_b32_e32 v7, s25
	s_waitcnt vmcnt(0)
	v_lshlrev_b32_e32 v4, 16, v4
	v_pk_mul_f32 v[6:7], v[6:7], v[2:3]
	s_waitcnt lgkmcnt(0)
	v_pk_mul_f32 v[6:7], v[6:7], v[4:5]
	s_nop 0
	v_sub_f32_e32 v3, v6, v7
	v_mul_f32_e32 v3, v8, v3
	v_bfe_u32 v4, v3, 16, 1
	v_add3_u32 v4, v3, v4, s11
	v_cmp_o_f32_e32 vcc, v3, v3
	v_lshl_add_u64 v[6:7], v[0:1], 1, s[2:3]
	v_add_u32_e32 v0, s10, v0
	v_cndmask_b32_sdwa v3, v9, v4, vcc dst_sel:DWORD dst_unused:UNUSED_PAD src0_sel:DWORD src1_sel:WORD_1
	v_cmp_le_i32_e32 vcc, s24, v0
	s_or_b64 s[8:9], vcc, s[8:9]
	global_store_short v[6:7], v3, off
	s_andn2_b64 exec, exec, s[8:9]
	s_cbranch_execz .LBB186_31
.LBB186_29:                             ; =>This Inner Loop Header: Depth=1
	v_ashrrev_i32_e32 v1, 31, v0
	v_lshlrev_b64 v[6:7], 1, v[0:1]
	v_lshl_add_u64 v[10:11], s[4:5], 0, v[6:7]
	v_lshl_add_u64 v[6:7], s[12:13], 0, v[6:7]
	global_load_ushort v3, v[10:11], off
	global_load_ushort v4, v[6:7], off
	s_and_b64 vcc, exec, s[0:1]
	s_cbranch_vccz .LBB186_27
; %bb.30:                               ;   in Loop: Header=BB186_29 Depth=1
	v_mov_b32_e32 v6, 1.0
	s_branch .LBB186_28
.LBB186_31:
	s_endpgm
.LBB186_32:
	v_lshl_add_u32 v7, v7, 2, 0
	ds_read_b32 v8, v7
	s_or_b64 exec, exec, s[2:3]
	v_cmp_gt_u32_e32 vcc, 64, v0
	s_and_saveexec_b64 s[2:3], vcc
	s_cbranch_execz .LBB186_23
.LBB186_33:
	s_waitcnt lgkmcnt(0)
	ds_bpermute_b32 v2, v2, v8
	s_waitcnt lgkmcnt(0)
	v_add_f32_e32 v2, v8, v2
	ds_bpermute_b32 v1, v1, v2
	s_waitcnt lgkmcnt(0)
	v_add_f32_e32 v1, v2, v1
	;; [unrolled: 3-line block ×6, first 2 shown]
	s_or_b64 exec, exec, s[2:3]
	v_cmp_eq_u32_e32 vcc, 0, v0
	s_and_saveexec_b64 s[2:3], vcc
	s_cbranch_execnz .LBB186_24
	s_branch .LBB186_25
	.section	.rodata,"a",@progbits
	.p2align	6, 0x0
	.amdhsa_kernel _ZN2at6native12_GLOBAL__N_128layer_norm_grad_input_kernelIN3c108BFloat16EfLb1EEEvPKT_S7_PKT0_SA_S7_PS5_i
		.amdhsa_group_segment_fixed_size 0
		.amdhsa_private_segment_fixed_size 0
		.amdhsa_kernarg_size 312
		.amdhsa_user_sgpr_count 2
		.amdhsa_user_sgpr_dispatch_ptr 0
		.amdhsa_user_sgpr_queue_ptr 0
		.amdhsa_user_sgpr_kernarg_segment_ptr 1
		.amdhsa_user_sgpr_dispatch_id 0
		.amdhsa_user_sgpr_kernarg_preload_length 0
		.amdhsa_user_sgpr_kernarg_preload_offset 0
		.amdhsa_user_sgpr_private_segment_size 0
		.amdhsa_uses_dynamic_stack 0
		.amdhsa_enable_private_segment 0
		.amdhsa_system_sgpr_workgroup_id_x 1
		.amdhsa_system_sgpr_workgroup_id_y 0
		.amdhsa_system_sgpr_workgroup_id_z 0
		.amdhsa_system_sgpr_workgroup_info 0
		.amdhsa_system_vgpr_workitem_id 0
		.amdhsa_next_free_vgpr 20
		.amdhsa_next_free_sgpr 27
		.amdhsa_accum_offset 20
		.amdhsa_reserve_vcc 1
		.amdhsa_float_round_mode_32 0
		.amdhsa_float_round_mode_16_64 0
		.amdhsa_float_denorm_mode_32 3
		.amdhsa_float_denorm_mode_16_64 3
		.amdhsa_dx10_clamp 1
		.amdhsa_ieee_mode 1
		.amdhsa_fp16_overflow 0
		.amdhsa_tg_split 0
		.amdhsa_exception_fp_ieee_invalid_op 0
		.amdhsa_exception_fp_denorm_src 0
		.amdhsa_exception_fp_ieee_div_zero 0
		.amdhsa_exception_fp_ieee_overflow 0
		.amdhsa_exception_fp_ieee_underflow 0
		.amdhsa_exception_fp_ieee_inexact 0
		.amdhsa_exception_int_div_zero 0
	.end_amdhsa_kernel
	.section	.text._ZN2at6native12_GLOBAL__N_128layer_norm_grad_input_kernelIN3c108BFloat16EfLb1EEEvPKT_S7_PKT0_SA_S7_PS5_i,"axG",@progbits,_ZN2at6native12_GLOBAL__N_128layer_norm_grad_input_kernelIN3c108BFloat16EfLb1EEEvPKT_S7_PKT0_SA_S7_PS5_i,comdat
.Lfunc_end186:
	.size	_ZN2at6native12_GLOBAL__N_128layer_norm_grad_input_kernelIN3c108BFloat16EfLb1EEEvPKT_S7_PKT0_SA_S7_PS5_i, .Lfunc_end186-_ZN2at6native12_GLOBAL__N_128layer_norm_grad_input_kernelIN3c108BFloat16EfLb1EEEvPKT_S7_PKT0_SA_S7_PS5_i
                                        ; -- End function
	.set _ZN2at6native12_GLOBAL__N_128layer_norm_grad_input_kernelIN3c108BFloat16EfLb1EEEvPKT_S7_PKT0_SA_S7_PS5_i.num_vgpr, 20
	.set _ZN2at6native12_GLOBAL__N_128layer_norm_grad_input_kernelIN3c108BFloat16EfLb1EEEvPKT_S7_PKT0_SA_S7_PS5_i.num_agpr, 0
	.set _ZN2at6native12_GLOBAL__N_128layer_norm_grad_input_kernelIN3c108BFloat16EfLb1EEEvPKT_S7_PKT0_SA_S7_PS5_i.numbered_sgpr, 27
	.set _ZN2at6native12_GLOBAL__N_128layer_norm_grad_input_kernelIN3c108BFloat16EfLb1EEEvPKT_S7_PKT0_SA_S7_PS5_i.num_named_barrier, 0
	.set _ZN2at6native12_GLOBAL__N_128layer_norm_grad_input_kernelIN3c108BFloat16EfLb1EEEvPKT_S7_PKT0_SA_S7_PS5_i.private_seg_size, 0
	.set _ZN2at6native12_GLOBAL__N_128layer_norm_grad_input_kernelIN3c108BFloat16EfLb1EEEvPKT_S7_PKT0_SA_S7_PS5_i.uses_vcc, 1
	.set _ZN2at6native12_GLOBAL__N_128layer_norm_grad_input_kernelIN3c108BFloat16EfLb1EEEvPKT_S7_PKT0_SA_S7_PS5_i.uses_flat_scratch, 0
	.set _ZN2at6native12_GLOBAL__N_128layer_norm_grad_input_kernelIN3c108BFloat16EfLb1EEEvPKT_S7_PKT0_SA_S7_PS5_i.has_dyn_sized_stack, 0
	.set _ZN2at6native12_GLOBAL__N_128layer_norm_grad_input_kernelIN3c108BFloat16EfLb1EEEvPKT_S7_PKT0_SA_S7_PS5_i.has_recursion, 0
	.set _ZN2at6native12_GLOBAL__N_128layer_norm_grad_input_kernelIN3c108BFloat16EfLb1EEEvPKT_S7_PKT0_SA_S7_PS5_i.has_indirect_call, 0
	.section	.AMDGPU.csdata,"",@progbits
; Kernel info:
; codeLenInByte = 1644
; TotalNumSgprs: 33
; NumVgprs: 20
; NumAgprs: 0
; TotalNumVgprs: 20
; ScratchSize: 0
; MemoryBound: 0
; FloatMode: 240
; IeeeMode: 1
; LDSByteSize: 0 bytes/workgroup (compile time only)
; SGPRBlocks: 4
; VGPRBlocks: 2
; NumSGPRsForWavesPerEU: 33
; NumVGPRsForWavesPerEU: 20
; AccumOffset: 20
; Occupancy: 8
; WaveLimiterHint : 0
; COMPUTE_PGM_RSRC2:SCRATCH_EN: 0
; COMPUTE_PGM_RSRC2:USER_SGPR: 2
; COMPUTE_PGM_RSRC2:TRAP_HANDLER: 0
; COMPUTE_PGM_RSRC2:TGID_X_EN: 1
; COMPUTE_PGM_RSRC2:TGID_Y_EN: 0
; COMPUTE_PGM_RSRC2:TGID_Z_EN: 0
; COMPUTE_PGM_RSRC2:TIDIG_COMP_CNT: 0
; COMPUTE_PGM_RSRC3_GFX90A:ACCUM_OFFSET: 4
; COMPUTE_PGM_RSRC3_GFX90A:TG_SPLIT: 0
	.section	.text._ZN2at6native12_GLOBAL__N_133GammaBetaBackwardSimpleCUDAKernelIN3c108BFloat16EfLb1EEEvllPKT_S7_PKT0_SA_PS5_SB_,"axG",@progbits,_ZN2at6native12_GLOBAL__N_133GammaBetaBackwardSimpleCUDAKernelIN3c108BFloat16EfLb1EEEvllPKT_S7_PKT0_SA_PS5_SB_,comdat
	.globl	_ZN2at6native12_GLOBAL__N_133GammaBetaBackwardSimpleCUDAKernelIN3c108BFloat16EfLb1EEEvllPKT_S7_PKT0_SA_PS5_SB_ ; -- Begin function _ZN2at6native12_GLOBAL__N_133GammaBetaBackwardSimpleCUDAKernelIN3c108BFloat16EfLb1EEEvllPKT_S7_PKT0_SA_PS5_SB_
	.p2align	8
	.type	_ZN2at6native12_GLOBAL__N_133GammaBetaBackwardSimpleCUDAKernelIN3c108BFloat16EfLb1EEEvllPKT_S7_PKT0_SA_PS5_SB_,@function
_ZN2at6native12_GLOBAL__N_133GammaBetaBackwardSimpleCUDAKernelIN3c108BFloat16EfLb1EEEvllPKT_S7_PKT0_SA_PS5_SB_: ; @_ZN2at6native12_GLOBAL__N_133GammaBetaBackwardSimpleCUDAKernelIN3c108BFloat16EfLb1EEEvllPKT_S7_PKT0_SA_PS5_SB_
; %bb.0:
	s_load_dword s3, s[0:1], 0x4c
	s_load_dwordx8 s[4:11], s[0:1], 0x0
	v_mov_b32_e32 v1, 0
	v_mov_b32_e32 v2, s2
	s_waitcnt lgkmcnt(0)
	s_and_b32 s3, s3, 0xffff
	v_mad_u64_u32 v[2:3], s[2:3], s3, v2, v[0:1]
	v_cmp_gt_i64_e32 vcc, s[6:7], v[2:3]
	s_and_saveexec_b64 s[2:3], vcc
	s_cbranch_execz .LBB187_8
; %bb.1:
	s_load_dwordx4 s[12:15], s[0:1], 0x28
	v_cmp_lt_i64_e64 s[0:1], s[4:5], 1
	s_and_b64 vcc, exec, s[0:1]
	s_cbranch_vccnz .LBB187_6
; %bb.2:
	s_waitcnt lgkmcnt(0)
	s_cmp_lg_u64 s[14:15], 0
	s_cselect_b64 s[0:1], -1, 0
	v_cndmask_b32_e64 v0, 0, 1, s[0:1]
	v_lshlrev_b64 v[4:5], 1, v[2:3]
	s_lshl_b64 s[2:3], s[6:7], 1
	v_mov_b32_e32 v1, 0
	v_cmp_ne_u32_e64 s[0:1], 1, v0
	s_branch .LBB187_4
.LBB187_3:                              ;   in Loop: Header=BB187_4 Depth=1
	s_add_u32 s4, s4, -1
	s_addc_u32 s5, s5, -1
	s_add_u32 s12, s12, 4
	s_addc_u32 s13, s13, 0
	v_add_f32_e32 v1, v1, v0
	s_cmp_eq_u64 s[4:5], 0
	v_lshl_add_u64 v[4:5], v[4:5], 0, s[2:3]
	s_cbranch_scc1 .LBB187_6
.LBB187_4:                              ; =>This Inner Loop Header: Depth=1
	s_and_b64 vcc, exec, s[0:1]
	v_mov_b32_e32 v0, 0
	s_cbranch_vccnz .LBB187_3
; %bb.5:                                ;   in Loop: Header=BB187_4 Depth=1
	v_lshl_add_u64 v[6:7], s[8:9], 0, v[4:5]
	v_lshl_add_u64 v[8:9], s[10:11], 0, v[4:5]
	global_load_ushort v0, v[6:7], off
	global_load_ushort v10, v[8:9], off
	s_load_dword s6, s[12:13], 0x0
	s_waitcnt vmcnt(1)
	v_lshlrev_b32_e32 v0, 16, v0
	s_waitcnt vmcnt(0)
	v_lshlrev_b32_e32 v6, 16, v10
	v_mul_f32_e32 v0, v6, v0
	s_waitcnt lgkmcnt(0)
	v_mul_f32_e32 v0, s6, v0
	s_branch .LBB187_3
.LBB187_6:
	s_waitcnt lgkmcnt(0)
	s_cmp_lg_u64 s[14:15], 0
	s_cbranch_scc0 .LBB187_8
; %bb.7:
	v_bfe_u32 v0, v1, 16, 1
	s_movk_i32 s0, 0x7fff
	v_add3_u32 v0, v1, v0, s0
	v_cmp_o_f32_e32 vcc, v1, v1
	v_mov_b32_e32 v1, 0x7fc0
	s_nop 0
	v_cndmask_b32_sdwa v4, v1, v0, vcc dst_sel:DWORD dst_unused:UNUSED_PAD src0_sel:DWORD src1_sel:WORD_1
	v_lshl_add_u64 v[0:1], v[2:3], 1, s[14:15]
	global_store_short v[0:1], v4, off
.LBB187_8:
	s_endpgm
	.section	.rodata,"a",@progbits
	.p2align	6, 0x0
	.amdhsa_kernel _ZN2at6native12_GLOBAL__N_133GammaBetaBackwardSimpleCUDAKernelIN3c108BFloat16EfLb1EEEvllPKT_S7_PKT0_SA_PS5_SB_
		.amdhsa_group_segment_fixed_size 0
		.amdhsa_private_segment_fixed_size 0
		.amdhsa_kernarg_size 320
		.amdhsa_user_sgpr_count 2
		.amdhsa_user_sgpr_dispatch_ptr 0
		.amdhsa_user_sgpr_queue_ptr 0
		.amdhsa_user_sgpr_kernarg_segment_ptr 1
		.amdhsa_user_sgpr_dispatch_id 0
		.amdhsa_user_sgpr_kernarg_preload_length 0
		.amdhsa_user_sgpr_kernarg_preload_offset 0
		.amdhsa_user_sgpr_private_segment_size 0
		.amdhsa_uses_dynamic_stack 0
		.amdhsa_enable_private_segment 0
		.amdhsa_system_sgpr_workgroup_id_x 1
		.amdhsa_system_sgpr_workgroup_id_y 0
		.amdhsa_system_sgpr_workgroup_id_z 0
		.amdhsa_system_sgpr_workgroup_info 0
		.amdhsa_system_vgpr_workitem_id 0
		.amdhsa_next_free_vgpr 11
		.amdhsa_next_free_sgpr 16
		.amdhsa_accum_offset 12
		.amdhsa_reserve_vcc 1
		.amdhsa_float_round_mode_32 0
		.amdhsa_float_round_mode_16_64 0
		.amdhsa_float_denorm_mode_32 3
		.amdhsa_float_denorm_mode_16_64 3
		.amdhsa_dx10_clamp 1
		.amdhsa_ieee_mode 1
		.amdhsa_fp16_overflow 0
		.amdhsa_tg_split 0
		.amdhsa_exception_fp_ieee_invalid_op 0
		.amdhsa_exception_fp_denorm_src 0
		.amdhsa_exception_fp_ieee_div_zero 0
		.amdhsa_exception_fp_ieee_overflow 0
		.amdhsa_exception_fp_ieee_underflow 0
		.amdhsa_exception_fp_ieee_inexact 0
		.amdhsa_exception_int_div_zero 0
	.end_amdhsa_kernel
	.section	.text._ZN2at6native12_GLOBAL__N_133GammaBetaBackwardSimpleCUDAKernelIN3c108BFloat16EfLb1EEEvllPKT_S7_PKT0_SA_PS5_SB_,"axG",@progbits,_ZN2at6native12_GLOBAL__N_133GammaBetaBackwardSimpleCUDAKernelIN3c108BFloat16EfLb1EEEvllPKT_S7_PKT0_SA_PS5_SB_,comdat
.Lfunc_end187:
	.size	_ZN2at6native12_GLOBAL__N_133GammaBetaBackwardSimpleCUDAKernelIN3c108BFloat16EfLb1EEEvllPKT_S7_PKT0_SA_PS5_SB_, .Lfunc_end187-_ZN2at6native12_GLOBAL__N_133GammaBetaBackwardSimpleCUDAKernelIN3c108BFloat16EfLb1EEEvllPKT_S7_PKT0_SA_PS5_SB_
                                        ; -- End function
	.set _ZN2at6native12_GLOBAL__N_133GammaBetaBackwardSimpleCUDAKernelIN3c108BFloat16EfLb1EEEvllPKT_S7_PKT0_SA_PS5_SB_.num_vgpr, 11
	.set _ZN2at6native12_GLOBAL__N_133GammaBetaBackwardSimpleCUDAKernelIN3c108BFloat16EfLb1EEEvllPKT_S7_PKT0_SA_PS5_SB_.num_agpr, 0
	.set _ZN2at6native12_GLOBAL__N_133GammaBetaBackwardSimpleCUDAKernelIN3c108BFloat16EfLb1EEEvllPKT_S7_PKT0_SA_PS5_SB_.numbered_sgpr, 16
	.set _ZN2at6native12_GLOBAL__N_133GammaBetaBackwardSimpleCUDAKernelIN3c108BFloat16EfLb1EEEvllPKT_S7_PKT0_SA_PS5_SB_.num_named_barrier, 0
	.set _ZN2at6native12_GLOBAL__N_133GammaBetaBackwardSimpleCUDAKernelIN3c108BFloat16EfLb1EEEvllPKT_S7_PKT0_SA_PS5_SB_.private_seg_size, 0
	.set _ZN2at6native12_GLOBAL__N_133GammaBetaBackwardSimpleCUDAKernelIN3c108BFloat16EfLb1EEEvllPKT_S7_PKT0_SA_PS5_SB_.uses_vcc, 1
	.set _ZN2at6native12_GLOBAL__N_133GammaBetaBackwardSimpleCUDAKernelIN3c108BFloat16EfLb1EEEvllPKT_S7_PKT0_SA_PS5_SB_.uses_flat_scratch, 0
	.set _ZN2at6native12_GLOBAL__N_133GammaBetaBackwardSimpleCUDAKernelIN3c108BFloat16EfLb1EEEvllPKT_S7_PKT0_SA_PS5_SB_.has_dyn_sized_stack, 0
	.set _ZN2at6native12_GLOBAL__N_133GammaBetaBackwardSimpleCUDAKernelIN3c108BFloat16EfLb1EEEvllPKT_S7_PKT0_SA_PS5_SB_.has_recursion, 0
	.set _ZN2at6native12_GLOBAL__N_133GammaBetaBackwardSimpleCUDAKernelIN3c108BFloat16EfLb1EEEvllPKT_S7_PKT0_SA_PS5_SB_.has_indirect_call, 0
	.section	.AMDGPU.csdata,"",@progbits
; Kernel info:
; codeLenInByte = 324
; TotalNumSgprs: 22
; NumVgprs: 11
; NumAgprs: 0
; TotalNumVgprs: 11
; ScratchSize: 0
; MemoryBound: 0
; FloatMode: 240
; IeeeMode: 1
; LDSByteSize: 0 bytes/workgroup (compile time only)
; SGPRBlocks: 2
; VGPRBlocks: 1
; NumSGPRsForWavesPerEU: 22
; NumVGPRsForWavesPerEU: 11
; AccumOffset: 12
; Occupancy: 8
; WaveLimiterHint : 0
; COMPUTE_PGM_RSRC2:SCRATCH_EN: 0
; COMPUTE_PGM_RSRC2:USER_SGPR: 2
; COMPUTE_PGM_RSRC2:TRAP_HANDLER: 0
; COMPUTE_PGM_RSRC2:TGID_X_EN: 1
; COMPUTE_PGM_RSRC2:TGID_Y_EN: 0
; COMPUTE_PGM_RSRC2:TGID_Z_EN: 0
; COMPUTE_PGM_RSRC2:TIDIG_COMP_CNT: 0
; COMPUTE_PGM_RSRC3_GFX90A:ACCUM_OFFSET: 2
; COMPUTE_PGM_RSRC3_GFX90A:TG_SPLIT: 0
	.section	.text._ZN2at6native12_GLOBAL__N_135GammaBetaBackwardCUDAKernelTemplateIN3c108BFloat16EfLj64ELj1ELj32ELb1ELb1ELb1EEEvllPKT_S7_PKT0_SA_PS5_SB_,"axG",@progbits,_ZN2at6native12_GLOBAL__N_135GammaBetaBackwardCUDAKernelTemplateIN3c108BFloat16EfLj64ELj1ELj32ELb1ELb1ELb1EEEvllPKT_S7_PKT0_SA_PS5_SB_,comdat
	.globl	_ZN2at6native12_GLOBAL__N_135GammaBetaBackwardCUDAKernelTemplateIN3c108BFloat16EfLj64ELj1ELj32ELb1ELb1ELb1EEEvllPKT_S7_PKT0_SA_PS5_SB_ ; -- Begin function _ZN2at6native12_GLOBAL__N_135GammaBetaBackwardCUDAKernelTemplateIN3c108BFloat16EfLj64ELj1ELj32ELb1ELb1ELb1EEEvllPKT_S7_PKT0_SA_PS5_SB_
	.p2align	8
	.type	_ZN2at6native12_GLOBAL__N_135GammaBetaBackwardCUDAKernelTemplateIN3c108BFloat16EfLj64ELj1ELj32ELb1ELb1ELb1EEEvllPKT_S7_PKT0_SA_PS5_SB_,@function
_ZN2at6native12_GLOBAL__N_135GammaBetaBackwardCUDAKernelTemplateIN3c108BFloat16EfLj64ELj1ELj32ELb1ELb1ELb1EEEvllPKT_S7_PKT0_SA_PS5_SB_: ; @_ZN2at6native12_GLOBAL__N_135GammaBetaBackwardCUDAKernelTemplateIN3c108BFloat16EfLj64ELj1ELj32ELb1ELb1ELb1EEEvllPKT_S7_PKT0_SA_PS5_SB_
; %bb.0:
	s_load_dwordx4 s[8:11], s[0:1], 0x0
	s_load_dwordx2 s[16:17], s[0:1], 0x30
	s_lshl_b32 s18, s3, 5
	s_mov_b32 s19, 0
	v_mov_b64_e32 v[2:3], s[18:19]
	s_waitcnt lgkmcnt(0)
	v_cmp_le_i64_e32 vcc, s[8:9], v[2:3]
	s_mov_b32 s6, s3
	v_mov_b32_e32 v13, 0
	v_bfe_u32 v2, v0, 10, 10
	s_cbranch_vccnz .LBB188_7
; %bb.1:
	s_load_dword s3, s[0:1], 0x4c
	s_load_dword s7, s[0:1], 0x44
	s_load_dwordx4 s[12:15], s[0:1], 0x10
	s_load_dwordx2 s[22:23], s[0:1], 0x28
	v_and_b32_e32 v1, 0x3ff, v0
	s_waitcnt lgkmcnt(0)
	s_and_b32 s3, s3, 0xffff
	v_mad_u32_u24 v3, v2, s3, v1
	v_lshlrev_b32_e32 v12, 5, v2
	v_mov_b32_e32 v13, 0
	v_lshl_or_b32 v8, s2, 6, v1
	v_mbcnt_lo_u32_b32 v1, -1, 0
	v_and_b32_e32 v4, 63, v3
	v_mov_b32_e32 v5, v13
	v_mbcnt_hi_u32_b32 v1, -1, v1
	s_lshl_b32 s20, s7, 5
	v_lshl_add_u64 v[10:11], v[12:13], 0, s[18:19]
	v_cmp_gt_u32_e64 s[4:5], 32, v4
	v_mov_b32_e32 v9, v13
	v_lshlrev_b32_e32 v1, 2, v1
	v_lshl_add_u64 v[4:5], v[10:11], 0, v[4:5]
	v_mul_lo_u32 v12, s11, v10
	v_mul_lo_u32 v44, s10, v11
	v_mad_u64_u32 v[10:11], s[24:25], s10, v10, 0
	s_mul_i32 s3, s11, s20
	s_mul_hi_u32 s7, s10, s20
	v_and_b32_e32 v1, 0x100, v1
	s_mov_b32 s21, s19
	v_add3_u32 v11, v11, v44, v12
	v_lshlrev_b64 v[8:9], 1, v[8:9]
	s_add_i32 s25, s7, s3
	s_mul_i32 s24, s10, s20
	v_or_b32_e32 v3, 4, v1
	v_or_b32_e32 v14, 8, v1
	;; [unrolled: 1-line block ×31, first 2 shown]
	v_lshl_add_u64 v[6:7], v[4:5], 2, s[22:23]
	s_lshl_b64 s[22:23], s[20:21], 2
	v_lshl_add_u64 v[8:9], v[10:11], 1, v[8:9]
	s_lshl_b64 s[24:25], s[24:25], 1
	s_lshl_b64 s[26:27], s[10:11], 1
	v_mov_b64_e32 v[10:11], s[8:9]
	s_branch .LBB188_4
.LBB188_2:                              ;   in Loop: Header=BB188_4 Depth=1
	s_or_b64 exec, exec, s[30:31]
.LBB188_3:                              ;   in Loop: Header=BB188_4 Depth=1
	s_or_b64 exec, exec, s[28:29]
	v_lshl_add_u64 v[44:45], s[12:13], 0, v[8:9]
	v_lshl_add_u64 v[46:47], s[14:15], 0, v[8:9]
	global_load_ushort v48, v[44:45], off
	global_load_ushort v49, v[46:47], off
	v_lshl_add_u64 v[44:45], v[44:45], 0, s[26:27]
	v_lshl_add_u64 v[46:47], v[46:47], 0, s[26:27]
	global_load_ushort v50, v[44:45], off
	global_load_ushort v51, v[46:47], off
	;; [unrolled: 4-line block ×6, first 2 shown]
	s_waitcnt vmcnt(12)
	ds_bpermute_b32 v60, v1, v12
	v_lshl_add_u64 v[44:45], v[44:45], 0, s[26:27]
	v_lshl_add_u64 v[46:47], v[46:47], 0, s[26:27]
	s_add_u32 s18, s18, s20
	s_addc_u32 s19, s19, 0
	v_cmp_lt_i64_e32 vcc, s[18:19], v[10:11]
	v_lshl_add_u64 v[6:7], v[6:7], 0, s[22:23]
	v_lshl_add_u64 v[4:5], v[4:5], 0, s[20:21]
	;; [unrolled: 1-line block ×3, first 2 shown]
	s_and_b64 vcc, exec, vcc
	s_waitcnt vmcnt(11)
	v_lshlrev_b32_e32 v48, 16, v48
	s_waitcnt vmcnt(10)
	v_lshlrev_b32_e32 v49, 16, v49
	v_mul_f32_e32 v48, v48, v49
	ds_bpermute_b32 v49, v3, v12
	s_waitcnt vmcnt(9)
	v_lshlrev_b32_e32 v50, 16, v50
	s_waitcnt vmcnt(8)
	v_lshlrev_b32_e32 v51, 16, v51
	s_waitcnt lgkmcnt(1)
	v_fmac_f32_e32 v13, v48, v60
	v_mul_f32_e32 v50, v50, v51
	global_load_ushort v51, v[44:45], off
	s_waitcnt lgkmcnt(0)
	v_fmac_f32_e32 v13, v50, v49
	global_load_ushort v49, v[46:47], off
	ds_bpermute_b32 v48, v14, v12
	ds_bpermute_b32 v60, v15, v12
	v_lshl_add_u64 v[44:45], v[44:45], 0, s[26:27]
	v_lshl_add_u64 v[46:47], v[46:47], 0, s[26:27]
	s_waitcnt vmcnt(9)
	v_lshlrev_b32_e32 v52, 16, v52
	s_waitcnt vmcnt(8)
	v_lshlrev_b32_e32 v53, 16, v53
	global_load_ushort v50, v[44:45], off
	v_mul_f32_e32 v52, v52, v53
	global_load_ushort v53, v[46:47], off
	s_waitcnt vmcnt(9)
	v_lshlrev_b32_e32 v54, 16, v54
	s_waitcnt vmcnt(8)
	v_lshlrev_b32_e32 v55, 16, v55
	s_waitcnt lgkmcnt(1)
	v_fmac_f32_e32 v13, v52, v48
	v_mul_f32_e32 v54, v54, v55
	v_lshl_add_u64 v[44:45], v[44:45], 0, s[26:27]
	s_waitcnt lgkmcnt(0)
	v_fmac_f32_e32 v13, v54, v60
	ds_bpermute_b32 v60, v16, v12
	v_lshl_add_u64 v[46:47], v[46:47], 0, s[26:27]
	global_load_ushort v48, v[44:45], off
	global_load_ushort v52, v[46:47], off
	v_lshl_add_u64 v[44:45], v[44:45], 0, s[26:27]
	s_waitcnt vmcnt(9)
	v_lshlrev_b32_e32 v56, 16, v56
	s_waitcnt vmcnt(8)
	v_lshlrev_b32_e32 v57, 16, v57
	v_lshl_add_u64 v[46:47], v[46:47], 0, s[26:27]
	global_load_ushort v55, v[44:45], off
	v_mul_f32_e32 v56, v56, v57
	v_lshl_add_u64 v[44:45], v[44:45], 0, s[26:27]
	global_load_ushort v54, v[46:47], off
	v_lshl_add_u64 v[46:47], v[46:47], 0, s[26:27]
	s_waitcnt lgkmcnt(0)
	v_fmac_f32_e32 v13, v56, v60
	global_load_ushort v56, v[44:45], off
	global_load_ushort v60, v[46:47], off
	ds_bpermute_b32 v57, v17, v12
	s_waitcnt vmcnt(11)
	v_lshlrev_b32_e32 v58, 16, v58
	s_waitcnt vmcnt(10)
	v_lshlrev_b32_e32 v59, 16, v59
	v_lshl_add_u64 v[44:45], v[44:45], 0, s[26:27]
	v_lshl_add_u64 v[46:47], v[46:47], 0, s[26:27]
	v_mul_f32_e32 v58, v58, v59
	global_load_ushort v59, v[44:45], off
	s_waitcnt lgkmcnt(0)
	v_fmac_f32_e32 v13, v58, v57
	global_load_ushort v57, v[46:47], off
	ds_bpermute_b32 v58, v18, v12
	v_lshl_add_u64 v[44:45], v[44:45], 0, s[26:27]
	v_lshl_add_u64 v[46:47], v[46:47], 0, s[26:27]
	s_waitcnt vmcnt(11)
	v_lshlrev_b32_e32 v51, 16, v51
	s_waitcnt vmcnt(10)
	v_lshlrev_b32_e32 v49, 16, v49
	v_mul_f32_e32 v49, v51, v49
	s_waitcnt lgkmcnt(0)
	v_fmac_f32_e32 v13, v49, v58
	ds_bpermute_b32 v58, v19, v12
	global_load_ushort v51, v[44:45], off
	global_load_ushort v49, v[46:47], off
	v_lshl_add_u64 v[44:45], v[44:45], 0, s[26:27]
	s_waitcnt vmcnt(11)
	v_lshlrev_b32_e32 v50, 16, v50
	v_lshl_add_u64 v[46:47], v[46:47], 0, s[26:27]
	s_waitcnt vmcnt(10)
	v_lshlrev_b32_e32 v53, 16, v53
	v_mul_f32_e32 v50, v50, v53
	s_waitcnt lgkmcnt(0)
	v_fmac_f32_e32 v13, v50, v58
	ds_bpermute_b32 v58, v20, v12
	global_load_ushort v53, v[44:45], off
	global_load_ushort v50, v[46:47], off
	v_lshl_add_u64 v[44:45], v[44:45], 0, s[26:27]
	v_lshl_add_u64 v[46:47], v[46:47], 0, s[26:27]
	s_waitcnt vmcnt(11)
	v_lshlrev_b32_e32 v48, 16, v48
	s_waitcnt vmcnt(10)
	v_lshlrev_b32_e32 v52, 16, v52
	v_mul_f32_e32 v48, v48, v52
	s_waitcnt lgkmcnt(0)
	v_fmac_f32_e32 v13, v48, v58
	ds_bpermute_b32 v58, v21, v12
	global_load_ushort v52, v[44:45], off
	s_waitcnt vmcnt(10)
	v_lshlrev_b32_e32 v55, 16, v55
	global_load_ushort v48, v[46:47], off
	v_lshl_add_u64 v[44:45], v[44:45], 0, s[26:27]
	s_waitcnt vmcnt(10)
	v_lshlrev_b32_e32 v54, 16, v54
	v_mul_f32_e32 v54, v55, v54
	s_waitcnt vmcnt(9)
	v_lshlrev_b32_e32 v56, 16, v56
	s_waitcnt vmcnt(8)
	v_lshlrev_b32_e32 v60, 16, v60
	v_mul_f32_e32 v56, v56, v60
	ds_bpermute_b32 v60, v22, v12
	v_lshl_add_u64 v[46:47], v[46:47], 0, s[26:27]
	global_load_ushort v55, v[44:45], off
	s_waitcnt lgkmcnt(1)
	v_fmac_f32_e32 v13, v54, v58
	global_load_ushort v54, v[46:47], off
	v_lshl_add_u64 v[44:45], v[44:45], 0, s[26:27]
	global_load_ushort v58, v[44:45], off
	s_waitcnt vmcnt(10)
	v_lshlrev_b32_e32 v59, 16, v59
	s_waitcnt vmcnt(9)
	v_lshlrev_b32_e32 v57, 16, v57
	v_lshl_add_u64 v[46:47], v[46:47], 0, s[26:27]
	s_waitcnt lgkmcnt(0)
	v_fmac_f32_e32 v13, v56, v60
	ds_bpermute_b32 v60, v23, v12
	v_lshl_add_u64 v[44:45], v[44:45], 0, s[26:27]
	global_load_ushort v56, v[46:47], off
	v_mul_f32_e32 v57, v59, v57
	global_load_ushort v59, v[44:45], off
	v_lshl_add_u64 v[46:47], v[46:47], 0, s[26:27]
	s_waitcnt lgkmcnt(0)
	v_fmac_f32_e32 v13, v57, v60
	global_load_ushort v57, v[46:47], off
	ds_bpermute_b32 v60, v24, v12
	v_lshl_add_u64 v[46:47], v[46:47], 0, s[26:27]
	v_lshl_add_u64 v[44:45], v[44:45], 0, s[26:27]
	global_load_ushort v61, v[44:45], off
	v_lshl_add_u64 v[44:45], v[44:45], 0, s[26:27]
	s_waitcnt vmcnt(12)
	v_lshlrev_b32_e32 v51, 16, v51
	s_waitcnt vmcnt(11)
	v_lshlrev_b32_e32 v49, 16, v49
	v_mul_f32_e32 v49, v51, v49
	s_waitcnt lgkmcnt(0)
	v_fmac_f32_e32 v13, v49, v60
	ds_bpermute_b32 v49, v25, v12
	global_load_ushort v60, v[46:47], off
	v_lshl_add_u64 v[46:47], v[46:47], 0, s[26:27]
	global_load_ushort v62, v[46:47], off
	v_lshl_add_u64 v[46:47], v[46:47], 0, s[26:27]
	s_waitcnt vmcnt(12)
	v_lshlrev_b32_e32 v53, 16, v53
	s_waitcnt vmcnt(11)
	v_lshlrev_b32_e32 v50, 16, v50
	v_mul_f32_e32 v50, v53, v50
	s_waitcnt lgkmcnt(0)
	v_fmac_f32_e32 v13, v50, v49
	ds_bpermute_b32 v49, v26, v12
	ds_bpermute_b32 v50, v27, v12
	global_load_ushort v53, v[44:45], off
	v_lshl_add_u64 v[44:45], v[44:45], 0, s[26:27]
	s_waitcnt vmcnt(11)
	v_lshlrev_b32_e32 v52, 16, v52
	s_waitcnt vmcnt(10)
	v_lshlrev_b32_e32 v48, 16, v48
	v_mul_f32_e32 v48, v52, v48
	s_waitcnt lgkmcnt(1)
	v_fmac_f32_e32 v13, v48, v49
	v_lshl_add_u64 v[48:49], v[44:45], 0, s[26:27]
	s_waitcnt vmcnt(9)
	v_lshlrev_b32_e32 v55, 16, v55
	s_waitcnt vmcnt(8)
	v_lshlrev_b32_e32 v54, 16, v54
	v_mul_f32_e32 v51, v55, v54
	s_waitcnt lgkmcnt(0)
	v_fmac_f32_e32 v13, v51, v50
	v_lshl_add_u64 v[50:51], v[46:47], 0, s[26:27]
	global_load_ushort v52, v[44:45], off
	global_load_ushort v54, v[48:49], off
	;; [unrolled: 1-line block ×4, first 2 shown]
	s_waitcnt vmcnt(11)
	v_lshlrev_b32_e32 v58, 16, v58
	v_lshl_add_u64 v[44:45], v[48:49], 0, s[26:27]
	s_waitcnt vmcnt(10)
	v_lshlrev_b32_e32 v46, 16, v56
	v_mul_f32_e32 v48, v58, v46
	s_waitcnt vmcnt(9)
	v_lshlrev_b32_e32 v56, 16, v59
	ds_bpermute_b32 v59, v28, v12
	ds_bpermute_b32 v58, v29, v12
	s_waitcnt vmcnt(8)
	v_lshlrev_b32_e32 v57, 16, v57
	v_lshl_add_u64 v[46:47], v[50:51], 0, s[26:27]
	v_mul_f32_e32 v50, v56, v57
	s_waitcnt lgkmcnt(1)
	v_fmac_f32_e32 v13, v48, v59
	v_lshl_add_u64 v[48:49], v[44:45], 0, s[26:27]
	s_waitcnt lgkmcnt(0)
	v_fmac_f32_e32 v13, v50, v58
	v_lshl_add_u64 v[50:51], v[46:47], 0, s[26:27]
	global_load_ushort v58, v[44:45], off
	global_load_ushort v59, v[48:49], off
	;; [unrolled: 1-line block ×4, first 2 shown]
	ds_bpermute_b32 v57, v30, v12
	s_waitcnt vmcnt(11)
	v_lshlrev_b32_e32 v46, 16, v61
	v_lshl_add_u64 v[44:45], v[48:49], 0, s[26:27]
	s_waitcnt vmcnt(10)
	v_lshlrev_b32_e32 v47, 16, v60
	ds_bpermute_b32 v60, v31, v12
	s_waitcnt vmcnt(9)
	v_lshlrev_b32_e32 v56, 16, v62
	v_mul_f32_e32 v48, v46, v47
	v_lshl_add_u64 v[46:47], v[50:51], 0, s[26:27]
	s_waitcnt lgkmcnt(1)
	v_fmac_f32_e32 v13, v48, v57
	v_lshl_add_u64 v[48:49], v[44:45], 0, s[26:27]
	ds_bpermute_b32 v51, v33, v12
	s_waitcnt vmcnt(8)
	v_lshlrev_b32_e32 v53, 16, v53
	v_mul_f32_e32 v50, v53, v56
	s_waitcnt lgkmcnt(1)
	v_fmac_f32_e32 v13, v50, v60
	ds_bpermute_b32 v50, v32, v12
	global_load_ushort v60, v[48:49], off
	global_load_ushort v61, v[44:45], off
	s_waitcnt vmcnt(9)
	v_lshlrev_b32_e32 v52, 16, v52
	s_waitcnt vmcnt(8)
	v_lshlrev_b32_e32 v53, 16, v54
	;; [unrolled: 2-line block ×4, first 2 shown]
	v_pk_mul_f32 v[52:53], v[52:53], v[54:55]
	v_lshl_add_u64 v[54:55], v[46:47], 0, s[26:27]
	global_load_ushort v62, v[54:55], off
	global_load_ushort v63, v[46:47], off
	s_waitcnt lgkmcnt(0)
	v_pk_mul_f32 v[50:51], v[52:53], v[50:51]
	v_lshl_add_u64 v[52:53], v[48:49], 0, s[26:27]
	v_add_f32_e32 v13, v13, v50
	v_lshl_add_u64 v[56:57], v[54:55], 0, s[26:27]
	v_lshl_add_u64 v[44:45], v[52:53], 0, s[26:27]
	;; [unrolled: 1-line block ×3, first 2 shown]
	v_add_f32_e32 v13, v13, v51
	v_lshl_add_u64 v[54:55], v[44:45], 0, s[26:27]
	s_waitcnt vmcnt(7)
	v_lshlrev_b32_e32 v48, 16, v58
	s_waitcnt vmcnt(6)
	v_lshlrev_b32_e32 v49, 16, v59
	;; [unrolled: 2-line block ×4, first 2 shown]
	v_pk_mul_f32 v[48:49], v[48:49], v[50:51]
	ds_bpermute_b32 v50, v34, v12
	ds_bpermute_b32 v51, v35, v12
	global_load_ushort v58, v[44:45], off
	global_load_ushort v59, v[52:53], off
	s_nop 0
	global_load_ushort v52, v[46:47], off
	global_load_ushort v53, v[56:57], off
	v_lshl_add_u64 v[44:45], v[46:47], 0, s[26:27]
	v_lshl_add_u64 v[46:47], v[54:55], 0, s[26:27]
	s_waitcnt lgkmcnt(0)
	v_pk_mul_f32 v[48:49], v[48:49], v[50:51]
	v_lshl_add_u64 v[50:51], v[46:47], 0, s[26:27]
	global_load_ushort v56, v[46:47], off
	global_load_ushort v57, v[54:55], off
	v_lshl_add_u64 v[46:47], v[50:51], 0, s[26:27]
	global_load_ushort v54, v[46:47], off
	global_load_ushort v55, v[44:45], off
	;; [unrolled: 3-line block ×3, first 2 shown]
	v_lshl_add_u64 v[44:45], v[44:45], 0, s[26:27]
	global_load_ushort v50, v[44:45], off
	v_lshl_add_u64 v[44:45], v[44:45], 0, s[26:27]
	global_load_ushort v51, v[44:45], off
	v_add_f32_e32 v13, v13, v48
	v_add_f32_e32 v13, v13, v49
	ds_bpermute_b32 v48, v36, v12
	ds_bpermute_b32 v49, v37, v12
	s_waitcnt vmcnt(15)
	v_lshlrev_b32_e32 v45, 16, v60
	s_waitcnt vmcnt(14)
	v_lshlrev_b32_e32 v44, 16, v61
	;; [unrolled: 2-line block ×4, first 2 shown]
	v_pk_mul_f32 v[44:45], v[44:45], v[46:47]
	s_waitcnt vmcnt(11)
	v_lshlrev_b32_e32 v47, 16, v58
	s_waitcnt lgkmcnt(0)
	v_pk_mul_f32 v[44:45], v[44:45], v[48:49]
	s_waitcnt vmcnt(10)
	v_lshlrev_b32_e32 v46, 16, v59
	v_add_f32_e32 v13, v13, v44
	v_add_f32_e32 v13, v13, v45
	ds_bpermute_b32 v44, v38, v12
	ds_bpermute_b32 v45, v39, v12
	s_waitcnt vmcnt(8)
	v_lshlrev_b32_e32 v48, 16, v53
	v_lshlrev_b32_e32 v49, 16, v52
	v_pk_mul_f32 v[46:47], v[46:47], v[48:49]
	s_waitcnt vmcnt(4)
	v_lshlrev_b32_e32 v48, 16, v55
	s_waitcnt lgkmcnt(0)
	v_pk_mul_f32 v[44:45], v[46:47], v[44:45]
	v_lshlrev_b32_e32 v46, 16, v57
	v_add_f32_e32 v13, v13, v44
	v_add_f32_e32 v13, v13, v45
	ds_bpermute_b32 v44, v40, v12
	ds_bpermute_b32 v45, v41, v12
	v_lshlrev_b32_e32 v47, 16, v56
	s_waitcnt vmcnt(2)
	v_lshlrev_b32_e32 v49, 16, v65
	v_pk_mul_f32 v[46:47], v[46:47], v[48:49]
	s_waitcnt lgkmcnt(0)
	v_pk_mul_f32 v[44:45], v[46:47], v[44:45]
	s_waitcnt vmcnt(1)
	v_lshlrev_b32_e32 v46, 16, v50
	v_add_f32_e32 v13, v13, v44
	v_add_f32_e32 v48, v13, v45
	ds_bpermute_b32 v44, v42, v12
	ds_bpermute_b32 v45, v43, v12
	v_lshlrev_b32_e32 v12, 16, v64
	v_lshlrev_b32_e32 v13, 16, v54
	s_waitcnt vmcnt(0)
	v_lshlrev_b32_e32 v47, 16, v51
	v_pk_mul_f32 v[12:13], v[12:13], v[46:47]
	s_waitcnt lgkmcnt(0)
	v_pk_mul_f32 v[12:13], v[12:13], v[44:45]
	s_nop 0
	v_add_f32_e32 v12, v48, v12
	v_add_f32_e32 v13, v12, v13
	s_cbranch_vccz .LBB188_7
.LBB188_4:                              ; =>This Inner Loop Header: Depth=1
	v_mov_b32_e32 v12, 0
	s_and_saveexec_b64 s[28:29], s[4:5]
	s_cbranch_execz .LBB188_3
; %bb.5:                                ;   in Loop: Header=BB188_4 Depth=1
	v_cmp_gt_i64_e32 vcc, s[8:9], v[4:5]
	v_mov_b32_e32 v12, 0
	s_and_saveexec_b64 s[30:31], vcc
	s_cbranch_execz .LBB188_2
; %bb.6:                                ;   in Loop: Header=BB188_4 Depth=1
	global_load_dword v12, v[6:7], off
	s_branch .LBB188_2
.LBB188_7:
	s_cmp_eq_u64 s[16:17], 0
	s_cbranch_scc1 .LBB188_9
; %bb.8:
	s_load_dword s0, s[0:1], 0x4c
	v_mov_b32_e32 v3, 0
	v_mov_b32_e32 v1, s6
	v_cmp_o_f32_e32 vcc, v13, v13
	s_mov_b32 s3, 0
	s_waitcnt lgkmcnt(0)
	s_lshr_b32 s0, s0, 16
	v_mad_u64_u32 v[4:5], s[0:1], s0, v1, v[2:3]
	v_bfe_u32 v1, v13, 16, 1
	s_movk_i32 s0, 0x7fff
	v_add3_u32 v1, v13, v1, s0
	v_lshrrev_b32_e32 v1, 16, v1
	v_mov_b32_e32 v2, 0x7fc0
	v_cndmask_b32_e32 v6, v2, v1, vcc
	v_mul_lo_u32 v1, v5, s10
	v_mul_lo_u32 v2, v4, s11
	v_mad_u64_u32 v[4:5], s[0:1], v4, s10, 0
	v_add3_u32 v5, v5, v2, v1
	v_lshl_add_u64 v[4:5], v[4:5], 1, s[16:17]
	s_lshl_b64 s[0:1], s[2:3], 7
	v_and_b32_e32 v0, 0x3ff, v0
	v_lshl_add_u64 v[4:5], v[4:5], 0, s[0:1]
	v_lshlrev_b32_e32 v2, 1, v0
	v_lshl_add_u64 v[0:1], v[4:5], 0, v[2:3]
	global_store_short v[0:1], v6, off
.LBB188_9:
	s_endpgm
	.section	.rodata,"a",@progbits
	.p2align	6, 0x0
	.amdhsa_kernel _ZN2at6native12_GLOBAL__N_135GammaBetaBackwardCUDAKernelTemplateIN3c108BFloat16EfLj64ELj1ELj32ELb1ELb1ELb1EEEvllPKT_S7_PKT0_SA_PS5_SB_
		.amdhsa_group_segment_fixed_size 0
		.amdhsa_private_segment_fixed_size 0
		.amdhsa_kernarg_size 320
		.amdhsa_user_sgpr_count 2
		.amdhsa_user_sgpr_dispatch_ptr 0
		.amdhsa_user_sgpr_queue_ptr 0
		.amdhsa_user_sgpr_kernarg_segment_ptr 1
		.amdhsa_user_sgpr_dispatch_id 0
		.amdhsa_user_sgpr_kernarg_preload_length 0
		.amdhsa_user_sgpr_kernarg_preload_offset 0
		.amdhsa_user_sgpr_private_segment_size 0
		.amdhsa_uses_dynamic_stack 0
		.amdhsa_enable_private_segment 0
		.amdhsa_system_sgpr_workgroup_id_x 1
		.amdhsa_system_sgpr_workgroup_id_y 1
		.amdhsa_system_sgpr_workgroup_id_z 0
		.amdhsa_system_sgpr_workgroup_info 0
		.amdhsa_system_vgpr_workitem_id 1
		.amdhsa_next_free_vgpr 66
		.amdhsa_next_free_sgpr 32
		.amdhsa_accum_offset 68
		.amdhsa_reserve_vcc 1
		.amdhsa_float_round_mode_32 0
		.amdhsa_float_round_mode_16_64 0
		.amdhsa_float_denorm_mode_32 3
		.amdhsa_float_denorm_mode_16_64 3
		.amdhsa_dx10_clamp 1
		.amdhsa_ieee_mode 1
		.amdhsa_fp16_overflow 0
		.amdhsa_tg_split 0
		.amdhsa_exception_fp_ieee_invalid_op 0
		.amdhsa_exception_fp_denorm_src 0
		.amdhsa_exception_fp_ieee_div_zero 0
		.amdhsa_exception_fp_ieee_overflow 0
		.amdhsa_exception_fp_ieee_underflow 0
		.amdhsa_exception_fp_ieee_inexact 0
		.amdhsa_exception_int_div_zero 0
	.end_amdhsa_kernel
	.section	.text._ZN2at6native12_GLOBAL__N_135GammaBetaBackwardCUDAKernelTemplateIN3c108BFloat16EfLj64ELj1ELj32ELb1ELb1ELb1EEEvllPKT_S7_PKT0_SA_PS5_SB_,"axG",@progbits,_ZN2at6native12_GLOBAL__N_135GammaBetaBackwardCUDAKernelTemplateIN3c108BFloat16EfLj64ELj1ELj32ELb1ELb1ELb1EEEvllPKT_S7_PKT0_SA_PS5_SB_,comdat
.Lfunc_end188:
	.size	_ZN2at6native12_GLOBAL__N_135GammaBetaBackwardCUDAKernelTemplateIN3c108BFloat16EfLj64ELj1ELj32ELb1ELb1ELb1EEEvllPKT_S7_PKT0_SA_PS5_SB_, .Lfunc_end188-_ZN2at6native12_GLOBAL__N_135GammaBetaBackwardCUDAKernelTemplateIN3c108BFloat16EfLj64ELj1ELj32ELb1ELb1ELb1EEEvllPKT_S7_PKT0_SA_PS5_SB_
                                        ; -- End function
	.set _ZN2at6native12_GLOBAL__N_135GammaBetaBackwardCUDAKernelTemplateIN3c108BFloat16EfLj64ELj1ELj32ELb1ELb1ELb1EEEvllPKT_S7_PKT0_SA_PS5_SB_.num_vgpr, 66
	.set _ZN2at6native12_GLOBAL__N_135GammaBetaBackwardCUDAKernelTemplateIN3c108BFloat16EfLj64ELj1ELj32ELb1ELb1ELb1EEEvllPKT_S7_PKT0_SA_PS5_SB_.num_agpr, 0
	.set _ZN2at6native12_GLOBAL__N_135GammaBetaBackwardCUDAKernelTemplateIN3c108BFloat16EfLj64ELj1ELj32ELb1ELb1ELb1EEEvllPKT_S7_PKT0_SA_PS5_SB_.numbered_sgpr, 32
	.set _ZN2at6native12_GLOBAL__N_135GammaBetaBackwardCUDAKernelTemplateIN3c108BFloat16EfLj64ELj1ELj32ELb1ELb1ELb1EEEvllPKT_S7_PKT0_SA_PS5_SB_.num_named_barrier, 0
	.set _ZN2at6native12_GLOBAL__N_135GammaBetaBackwardCUDAKernelTemplateIN3c108BFloat16EfLj64ELj1ELj32ELb1ELb1ELb1EEEvllPKT_S7_PKT0_SA_PS5_SB_.private_seg_size, 0
	.set _ZN2at6native12_GLOBAL__N_135GammaBetaBackwardCUDAKernelTemplateIN3c108BFloat16EfLj64ELj1ELj32ELb1ELb1ELb1EEEvllPKT_S7_PKT0_SA_PS5_SB_.uses_vcc, 1
	.set _ZN2at6native12_GLOBAL__N_135GammaBetaBackwardCUDAKernelTemplateIN3c108BFloat16EfLj64ELj1ELj32ELb1ELb1ELb1EEEvllPKT_S7_PKT0_SA_PS5_SB_.uses_flat_scratch, 0
	.set _ZN2at6native12_GLOBAL__N_135GammaBetaBackwardCUDAKernelTemplateIN3c108BFloat16EfLj64ELj1ELj32ELb1ELb1ELb1EEEvllPKT_S7_PKT0_SA_PS5_SB_.has_dyn_sized_stack, 0
	.set _ZN2at6native12_GLOBAL__N_135GammaBetaBackwardCUDAKernelTemplateIN3c108BFloat16EfLj64ELj1ELj32ELb1ELb1ELb1EEEvllPKT_S7_PKT0_SA_PS5_SB_.has_recursion, 0
	.set _ZN2at6native12_GLOBAL__N_135GammaBetaBackwardCUDAKernelTemplateIN3c108BFloat16EfLj64ELj1ELj32ELb1ELb1ELb1EEEvllPKT_S7_PKT0_SA_PS5_SB_.has_indirect_call, 0
	.section	.AMDGPU.csdata,"",@progbits
; Kernel info:
; codeLenInByte = 2932
; TotalNumSgprs: 38
; NumVgprs: 66
; NumAgprs: 0
; TotalNumVgprs: 66
; ScratchSize: 0
; MemoryBound: 0
; FloatMode: 240
; IeeeMode: 1
; LDSByteSize: 0 bytes/workgroup (compile time only)
; SGPRBlocks: 4
; VGPRBlocks: 8
; NumSGPRsForWavesPerEU: 38
; NumVGPRsForWavesPerEU: 66
; AccumOffset: 68
; Occupancy: 7
; WaveLimiterHint : 0
; COMPUTE_PGM_RSRC2:SCRATCH_EN: 0
; COMPUTE_PGM_RSRC2:USER_SGPR: 2
; COMPUTE_PGM_RSRC2:TRAP_HANDLER: 0
; COMPUTE_PGM_RSRC2:TGID_X_EN: 1
; COMPUTE_PGM_RSRC2:TGID_Y_EN: 1
; COMPUTE_PGM_RSRC2:TGID_Z_EN: 0
; COMPUTE_PGM_RSRC2:TIDIG_COMP_CNT: 1
; COMPUTE_PGM_RSRC3_GFX90A:ACCUM_OFFSET: 16
; COMPUTE_PGM_RSRC3_GFX90A:TG_SPLIT: 0
	.section	.text._ZN2at6native12_GLOBAL__N_135GammaBetaBackwardCUDAKernelTemplateIN3c108BFloat16EfLj64ELj1ELj32ELb1ELb0ELb1EEEvllPKT_S7_PKT0_SA_PS5_SB_,"axG",@progbits,_ZN2at6native12_GLOBAL__N_135GammaBetaBackwardCUDAKernelTemplateIN3c108BFloat16EfLj64ELj1ELj32ELb1ELb0ELb1EEEvllPKT_S7_PKT0_SA_PS5_SB_,comdat
	.globl	_ZN2at6native12_GLOBAL__N_135GammaBetaBackwardCUDAKernelTemplateIN3c108BFloat16EfLj64ELj1ELj32ELb1ELb0ELb1EEEvllPKT_S7_PKT0_SA_PS5_SB_ ; -- Begin function _ZN2at6native12_GLOBAL__N_135GammaBetaBackwardCUDAKernelTemplateIN3c108BFloat16EfLj64ELj1ELj32ELb1ELb0ELb1EEEvllPKT_S7_PKT0_SA_PS5_SB_
	.p2align	8
	.type	_ZN2at6native12_GLOBAL__N_135GammaBetaBackwardCUDAKernelTemplateIN3c108BFloat16EfLj64ELj1ELj32ELb1ELb0ELb1EEEvllPKT_S7_PKT0_SA_PS5_SB_,@function
_ZN2at6native12_GLOBAL__N_135GammaBetaBackwardCUDAKernelTemplateIN3c108BFloat16EfLj64ELj1ELj32ELb1ELb0ELb1EEEvllPKT_S7_PKT0_SA_PS5_SB_: ; @_ZN2at6native12_GLOBAL__N_135GammaBetaBackwardCUDAKernelTemplateIN3c108BFloat16EfLj64ELj1ELj32ELb1ELb0ELb1EEEvllPKT_S7_PKT0_SA_PS5_SB_
; %bb.0:
	s_load_dwordx8 s[12:19], s[0:1], 0x0
	s_load_dwordx2 s[10:11], s[0:1], 0x28
	s_mov_b32 s8, s3
	s_lshl_b32 s3, s2, 6
	s_mov_b32 s21, 0
	s_lshl_b32 s20, s8, 5
	v_mov_b32_e32 v129, v0
	s_or_b32 s4, s3, 63
	v_mov_b64_e32 v[0:1], s[20:21]
	v_mov_b32_e32 v2, s4
	v_mov_b32_e32 v3, 0
	s_waitcnt lgkmcnt(0)
	v_cmp_gt_i64_e64 s[4:5], s[12:13], v[0:1]
	v_cmp_le_i64_e32 vcc, s[14:15], v[2:3]
	s_nop 0
	v_cndmask_b32_e64 v0, 0, 1, s[4:5]
	v_cmp_ne_u32_e64 s[4:5], 1, v0
	s_cbranch_vccz .LBB189_145
; %bb.1:
	s_and_b64 vcc, exec, s[4:5]
	s_cbranch_vccnz .LBB189_147
; %bb.2:
	v_mov_b32_e32 v2, 0
	v_bfe_u32 v181, v129, 10, 10
	v_and_b32_e32 v180, 0x3ff, v129
	v_lshlrev_b32_e32 v36, 5, v181
	v_mov_b32_e32 v37, v2
	v_add_u32_e32 v0, s3, v180
	v_mov_b32_e32 v1, v2
	v_lshl_add_u64 v[4:5], v[36:37], 0, s[20:21]
	v_cmp_gt_i64_e64 s[6:7], s[14:15], v[0:1]
	v_lshlrev_b64 v[38:39], 1, v[0:1]
	v_mul_lo_u32 v3, s15, v4
	v_mul_lo_u32 v8, s14, v5
	v_mad_u64_u32 v[0:1], s[26:27], s14, v4, 0
	v_add3_u32 v1, v1, v8, v3
	v_lshlrev_b64 v[0:1], 1, v[0:1]
	v_lshl_add_u64 v[40:41], s[16:17], 0, v[0:1]
	v_lshl_add_u64 v[42:43], s[18:19], 0, v[0:1]
	v_lshl_add_u64 v[0:1], v[4:5], 0, 31
	v_mul_lo_u32 v6, s15, v0
	v_mul_lo_u32 v7, s14, v1
	v_mad_u64_u32 v[0:1], s[30:31], s14, v0, 0
	v_add3_u32 v1, v1, v7, v6
	v_lshlrev_b64 v[0:1], 1, v[0:1]
	v_lshl_add_u64 v[44:45], s[16:17], 0, v[0:1]
	v_lshl_add_u64 v[46:47], s[18:19], 0, v[0:1]
	v_lshl_add_u64 v[0:1], v[4:5], 0, 30
	;; [unrolled: 8-line block ×22, first 2 shown]
	v_mul_lo_u32 v6, s15, v0
	v_mul_lo_u32 v7, s14, v1
	v_mad_u64_u32 v[0:1], s[30:31], s14, v0, 0
	v_add3_u32 v1, v1, v7, v6
	v_lshlrev_b64 v[0:1], 1, v[0:1]
	v_mov_b32_e32 v206, v129
	v_lshl_add_u64 v[128:129], s[16:17], 0, v[0:1]
	v_lshl_add_u64 v[130:131], s[18:19], 0, v[0:1]
	v_lshl_add_u64 v[0:1], v[4:5], 0, 9
	v_mul_lo_u32 v6, s15, v0
	v_mul_lo_u32 v7, s14, v1
	v_mad_u64_u32 v[0:1], s[30:31], s14, v0, 0
	v_add3_u32 v1, v1, v7, v6
	v_lshlrev_b64 v[0:1], 1, v[0:1]
	v_lshl_add_u64 v[132:133], s[16:17], 0, v[0:1]
	v_lshl_add_u64 v[134:135], s[18:19], 0, v[0:1]
	v_lshl_add_u64 v[0:1], v[4:5], 0, 8
	v_mul_lo_u32 v6, s15, v0
	v_mul_lo_u32 v7, s14, v1
	v_mad_u64_u32 v[0:1], s[30:31], s14, v0, 0
	v_add3_u32 v1, v1, v7, v6
	v_lshlrev_b64 v[0:1], 1, v[0:1]
	;; [unrolled: 8-line block ×7, first 2 shown]
	v_lshl_add_u64 v[154:155], s[16:17], 0, v[6:7]
	v_lshl_add_u64 v[156:157], s[18:19], 0, v[6:7]
	;; [unrolled: 1-line block ×3, first 2 shown]
	s_load_dword s9, s[0:1], 0x44
	v_mul_lo_u32 v5, s15, v6
	v_mul_lo_u32 v9, s14, v7
	v_mad_u64_u32 v[6:7], s[30:31], s14, v6, 0
	v_add3_u32 v7, v7, v9, v5
	v_lshlrev_b64 v[6:7], 1, v[6:7]
	v_lshl_add_u64 v[158:159], s[16:17], 0, v[6:7]
	v_lshl_add_u64 v[160:161], s[18:19], 0, v[6:7]
	v_mov_b64_e32 v[6:7], s[14:15]
	s_add_u32 s24, s0, 64
	v_mad_u64_u32 v[4:5], s[30:31], s14, v4, v[6:7]
	s_addc_u32 s25, s1, 0
	s_waitcnt lgkmcnt(0)
	s_lshl_b32 s22, s9, 5
	v_add3_u32 v5, v3, v5, v8
	v_mbcnt_lo_u32_b32 v3, -1, 0
	s_mul_i32 s9, s15, s22
	s_mul_hi_u32 s26, s14, s22
	v_mbcnt_hi_u32_b32 v3, -1, v3
	s_add_i32 s27, s26, s9
	s_mul_i32 s26, s14, s22
	v_lshlrev_b64 v[4:5], 1, v[4:5]
	v_lshlrev_b32_e32 v3, 2, v3
	s_mov_b32 s23, 0
	s_lshl_b64 s[26:27], s[26:27], 1
	s_mov_b64 s[28:29], 31
	v_lshl_add_u64 v[162:163], s[16:17], 0, v[4:5]
	v_lshl_add_u64 v[164:165], s[18:19], 0, v[4:5]
	v_and_b32_e32 v182, 0x100, v3
	s_mov_b64 s[30:31], s[20:21]
	v_mov_b32_e32 v183, 0
.LBB189_3:                              ; =>This Inner Loop Header: Depth=1
	s_add_u32 s34, s20, s28
	s_addc_u32 s35, 0, s29
	v_mov_b64_e32 v[4:5], s[12:13]
	v_cmp_ge_i64_e32 vcc, s[34:35], v[4:5]
	v_lshl_add_u64 v[166:167], s[20:21], 0, v[36:37]
	s_mov_b64 s[34:35], -1
	s_and_b64 vcc, exec, vcc
                                        ; implicit-def: $vgpr4_vgpr5_vgpr6_vgpr7_vgpr8_vgpr9_vgpr10_vgpr11_vgpr12_vgpr13_vgpr14_vgpr15_vgpr16_vgpr17_vgpr18_vgpr19_vgpr20_vgpr21_vgpr22_vgpr23_vgpr24_vgpr25_vgpr26_vgpr27_vgpr28_vgpr29_vgpr30_vgpr31_vgpr32_vgpr33_vgpr34_vgpr35
                                        ; implicit-def: $vgpr3
                                        ; implicit-def: $vgpr203
                                        ; implicit-def: $vgpr4
	s_cbranch_vccz .LBB189_73
; %bb.4:                                ;   in Loop: Header=BB189_3 Depth=1
	s_load_dword s9, s[24:25], 0xc
	v_mov_b32_e32 v185, 0
	v_mov_b32_e32 v184, 0
	s_waitcnt lgkmcnt(0)
	s_and_b32 s9, s9, 0xffff
	v_mad_u32_u24 v3, v181, s9, v180
	v_and_b32_e32 v4, 63, v3
	v_cmp_gt_u32_e32 vcc, 32, v4
	s_and_saveexec_b64 s[34:35], vcc
	s_cbranch_execz .LBB189_8
; %bb.5:                                ;   in Loop: Header=BB189_3 Depth=1
	v_mov_b32_e32 v5, v2
	v_lshl_add_u64 v[4:5], v[166:167], 0, v[4:5]
	v_cmp_gt_i64_e32 vcc, s[12:13], v[4:5]
	v_mov_b32_e32 v184, 0
	s_and_saveexec_b64 s[36:37], vcc
	s_cbranch_execz .LBB189_7
; %bb.6:                                ;   in Loop: Header=BB189_3 Depth=1
	v_lshl_add_u64 v[4:5], v[4:5], 2, s[10:11]
	global_load_dword v184, v[4:5], off
.LBB189_7:                              ;   in Loop: Header=BB189_3 Depth=1
	s_or_b64 exec, exec, s[36:37]
.LBB189_8:                              ;   in Loop: Header=BB189_3 Depth=1
	s_or_b64 exec, exec, s[34:35]
	v_mov_b32_e32 v4, v2
	v_mov_b32_e32 v5, v2
	v_mov_b32_e32 v6, v2
	v_mov_b32_e32 v7, v2
	v_mov_b32_e32 v8, v2
	v_mov_b32_e32 v9, v2
	v_mov_b32_e32 v10, v2
	v_mov_b32_e32 v11, v2
	v_mov_b32_e32 v12, v2
	v_mov_b32_e32 v13, v2
	v_mov_b32_e32 v14, v2
	v_mov_b32_e32 v15, v2
	v_mov_b32_e32 v16, v2
	v_mov_b32_e32 v17, v2
	v_mov_b32_e32 v18, v2
	v_mov_b32_e32 v19, v2
	v_mov_b32_e32 v20, v2
	v_mov_b32_e32 v21, v2
	v_mov_b32_e32 v22, v2
	v_mov_b32_e32 v23, v2
	v_mov_b32_e32 v24, v2
	v_mov_b32_e32 v25, v2
	v_mov_b32_e32 v26, v2
	v_mov_b32_e32 v27, v2
	v_mov_b32_e32 v28, v2
	v_mov_b32_e32 v29, v2
	v_mov_b32_e32 v30, v2
	v_mov_b32_e32 v31, v2
	v_mov_b32_e32 v32, v2
	v_mov_b32_e32 v33, v2
	v_cmp_gt_i64_e32 vcc, s[12:13], v[166:167]
	v_mov_b32_e32 v3, v2
	v_mov_b64_e32 v[34:35], v[32:33]
	s_and_b64 s[36:37], s[6:7], vcc
	v_mov_b64_e32 v[32:33], v[30:31]
	v_mov_b64_e32 v[30:31], v[28:29]
	;; [unrolled: 1-line block ×15, first 2 shown]
	s_and_saveexec_b64 s[34:35], s[36:37]
	s_cbranch_execz .LBB189_10
; %bb.9:                                ;   in Loop: Header=BB189_3 Depth=1
	v_lshl_add_u64 v[4:5], v[40:41], 0, v[38:39]
	global_load_ushort v3, v[4:5], off
	v_lshl_add_u64 v[4:5], v[42:43], 0, v[38:39]
	global_load_ushort v168, v[4:5], off
	v_mov_b32_e32 v5, v2
	v_mov_b32_e32 v6, v2
	;; [unrolled: 1-line block ×31, first 2 shown]
	s_waitcnt vmcnt(1)
	v_lshlrev_b32_e32 v4, 16, v3
	s_waitcnt vmcnt(0)
	v_lshlrev_b32_e32 v185, 16, v168
.LBB189_10:                             ;   in Loop: Header=BB189_3 Depth=1
	s_or_b64 exec, exec, s[34:35]
	v_lshl_add_u64 v[168:169], v[166:167], 0, 1
	v_cmp_gt_i64_e32 vcc, s[12:13], v[168:169]
	s_and_b64 s[36:37], s[6:7], vcc
	v_mov_b32_e32 v3, 0
	v_mov_b32_e32 v186, 0
	s_and_saveexec_b64 s[34:35], s[36:37]
	s_cbranch_execz .LBB189_12
; %bb.11:                               ;   in Loop: Header=BB189_3 Depth=1
	v_lshl_add_u64 v[168:169], v[162:163], 0, v[38:39]
	global_load_ushort v5, v[168:169], off
	v_lshl_add_u64 v[168:169], v[164:165], 0, v[38:39]
	global_load_ushort v168, v[168:169], off
	s_waitcnt vmcnt(1)
	v_lshlrev_b32_e32 v5, 16, v5
	s_waitcnt vmcnt(0)
	v_lshlrev_b32_e32 v186, 16, v168
.LBB189_12:                             ;   in Loop: Header=BB189_3 Depth=1
	s_or_b64 exec, exec, s[34:35]
	v_lshl_add_u64 v[168:169], v[166:167], 0, 2
	v_cmp_gt_i64_e32 vcc, s[12:13], v[168:169]
	s_and_b64 s[36:37], s[6:7], vcc
	s_and_saveexec_b64 s[34:35], s[36:37]
	s_cbranch_execz .LBB189_14
; %bb.13:                               ;   in Loop: Header=BB189_3 Depth=1
	v_lshl_add_u64 v[168:169], v[158:159], 0, v[38:39]
	global_load_ushort v3, v[168:169], off
	v_lshl_add_u64 v[168:169], v[160:161], 0, v[38:39]
	global_load_ushort v168, v[168:169], off
	s_waitcnt vmcnt(1)
	v_lshlrev_b32_e32 v6, 16, v3
	s_waitcnt vmcnt(0)
	v_lshlrev_b32_e32 v3, 16, v168
.LBB189_14:                             ;   in Loop: Header=BB189_3 Depth=1
	s_or_b64 exec, exec, s[34:35]
	v_lshl_add_u64 v[168:169], v[166:167], 0, 3
	v_cmp_gt_i64_e32 vcc, s[12:13], v[168:169]
	s_and_b64 s[36:37], s[6:7], vcc
	v_mov_b32_e32 v187, 0
	v_mov_b32_e32 v188, 0
	s_and_saveexec_b64 s[34:35], s[36:37]
	s_cbranch_execz .LBB189_16
; %bb.15:                               ;   in Loop: Header=BB189_3 Depth=1
	v_lshl_add_u64 v[168:169], v[154:155], 0, v[38:39]
	global_load_ushort v7, v[168:169], off
	v_lshl_add_u64 v[168:169], v[156:157], 0, v[38:39]
	global_load_ushort v168, v[168:169], off
	s_waitcnt vmcnt(1)
	v_lshlrev_b32_e32 v7, 16, v7
	s_waitcnt vmcnt(0)
	v_lshlrev_b32_e32 v188, 16, v168
.LBB189_16:                             ;   in Loop: Header=BB189_3 Depth=1
	s_or_b64 exec, exec, s[34:35]
	v_lshl_add_u64 v[168:169], v[166:167], 0, 4
	v_cmp_gt_i64_e32 vcc, s[12:13], v[168:169]
	s_and_b64 s[36:37], s[6:7], vcc
	s_and_saveexec_b64 s[34:35], s[36:37]
	s_cbranch_execz .LBB189_18
; %bb.17:                               ;   in Loop: Header=BB189_3 Depth=1
	v_lshl_add_u64 v[168:169], v[150:151], 0, v[38:39]
	global_load_ushort v8, v[168:169], off
	v_lshl_add_u64 v[168:169], v[152:153], 0, v[38:39]
	global_load_ushort v168, v[168:169], off
	s_waitcnt vmcnt(1)
	v_lshlrev_b32_e32 v8, 16, v8
	s_waitcnt vmcnt(0)
	v_lshlrev_b32_e32 v187, 16, v168
.LBB189_18:                             ;   in Loop: Header=BB189_3 Depth=1
	;; [unrolled: 34-line block ×15, first 2 shown]
	s_or_b64 exec, exec, s[34:35]
	v_lshl_add_u64 v[204:205], v[166:167], 0, 31
	v_cmp_gt_i64_e32 vcc, s[12:13], v[204:205]
	s_and_b64 s[36:37], s[6:7], vcc
	v_mov_b32_e32 v203, 0
	s_and_saveexec_b64 s[34:35], s[36:37]
	s_cbranch_execz .LBB189_72
; %bb.71:                               ;   in Loop: Header=BB189_3 Depth=1
	v_lshl_add_u64 v[204:205], v[44:45], 0, v[38:39]
	global_load_ushort v35, v[204:205], off
	v_lshl_add_u64 v[204:205], v[46:47], 0, v[38:39]
	global_load_ushort v203, v[204:205], off
	s_waitcnt vmcnt(1)
	v_lshlrev_b32_e32 v35, 16, v35
	s_waitcnt vmcnt(0)
	v_lshlrev_b32_e32 v203, 16, v203
.LBB189_72:                             ;   in Loop: Header=BB189_3 Depth=1
	s_or_b64 exec, exec, s[34:35]
	s_waitcnt vmcnt(0)
	ds_bpermute_b32 v204, v182, v184
	ds_bpermute_b32 v205, v182, v184 offset:4
	v_mul_f32_e32 v4, v185, v4
	ds_bpermute_b32 v185, v182, v184 offset:8
	v_mul_f32_e32 v5, v186, v5
	s_waitcnt lgkmcnt(2)
	v_fma_f32 v186, v4, v204, v183
	ds_bpermute_b32 v4, v182, v184 offset:12
	s_waitcnt lgkmcnt(2)
	v_fmac_f32_e32 v186, v5, v205
	v_mul_f32_e32 v3, v3, v6
	s_waitcnt lgkmcnt(1)
	v_fmac_f32_e32 v186, v3, v185
	ds_bpermute_b32 v3, v182, v184 offset:16
	v_mul_f32_e32 v5, v188, v7
	s_waitcnt lgkmcnt(1)
	v_fmac_f32_e32 v186, v5, v4
	ds_bpermute_b32 v4, v182, v184 offset:20
	;; [unrolled: 4-line block ×14, first 2 shown]
	v_mul_f32_e32 v5, v199, v20
	ds_bpermute_b32 v6, v182, v184 offset:72
	s_waitcnt lgkmcnt(2)
	v_fmac_f32_e32 v186, v5, v3
	v_mul_f32_e32 v3, v202, v21
	s_waitcnt lgkmcnt(1)
	v_fmac_f32_e32 v186, v3, v4
	ds_bpermute_b32 v4, v182, v184 offset:76
	ds_bpermute_b32 v5, v182, v184 offset:80
	v_mul_f32_e32 v3, v201, v22
	s_waitcnt lgkmcnt(2)
	v_fmac_f32_e32 v186, v3, v6
	v_mov_b32_e32 v6, v23
	v_mov_b32_e32 v7, v24
	v_pk_mul_f32 v[6:7], v[168:169], v[6:7]
	s_mov_b64 s[34:35], 0
	s_waitcnt lgkmcnt(0)
	v_pk_mul_f32 v[4:5], v[6:7], v[4:5]
	ds_bpermute_b32 v6, v182, v184 offset:84
	ds_bpermute_b32 v7, v182, v184 offset:88
	v_add_f32_e32 v3, v186, v4
	v_add_f32_e32 v3, v3, v5
	v_mov_b32_e32 v4, v25
	v_mov_b32_e32 v5, v26
	v_pk_mul_f32 v[4:5], v[170:171], v[4:5]
	s_waitcnt lgkmcnt(0)
	v_pk_mul_f32 v[4:5], v[4:5], v[6:7]
	ds_bpermute_b32 v6, v182, v184 offset:92
	ds_bpermute_b32 v7, v182, v184 offset:96
	v_add_f32_e32 v3, v3, v4
	v_add_f32_e32 v3, v3, v5
	v_mov_b32_e32 v4, v27
	v_mov_b32_e32 v5, v28
	v_pk_mul_f32 v[4:5], v[172:173], v[4:5]
	;; [unrolled: 9-line block ×5, first 2 shown]
	ds_bpermute_b32 v4, v182, v184 offset:124
	s_waitcnt lgkmcnt(1)
	v_pk_mul_f32 v[6:7], v[8:9], v[6:7]
	s_nop 0
	v_add_f32_e32 v3, v3, v6
	v_add_f32_e32 v3, v3, v7
.LBB189_73:                             ;   in Loop: Header=BB189_3 Depth=1
	s_and_b64 vcc, exec, s[34:35]
	s_cbranch_vccz .LBB189_141
; %bb.74:                               ;   in Loop: Header=BB189_3 Depth=1
	s_load_dword s9, s[24:25], 0x0
	v_mov_b32_e32 v179, 0
	v_mov_b32_e32 v178, 0
	s_waitcnt lgkmcnt(0)
	s_cmp_lt_u32 s2, s9
	s_cselect_b32 s9, 12, 18
	s_add_u32 s34, s24, s9
	s_addc_u32 s35, s25, 0
	global_load_ushort v3, v2, s[34:35]
	s_waitcnt vmcnt(0)
	v_mad_u32_u24 v3, v181, v3, v180
	v_and_b32_e32 v4, 63, v3
	v_cmp_gt_u32_e32 vcc, 32, v4
	s_and_saveexec_b64 s[34:35], vcc
	s_cbranch_execz .LBB189_78
; %bb.75:                               ;   in Loop: Header=BB189_3 Depth=1
	v_mov_b32_e32 v5, v2
	v_lshl_add_u64 v[4:5], v[166:167], 0, v[4:5]
	v_cmp_gt_i64_e32 vcc, s[12:13], v[4:5]
	v_mov_b32_e32 v178, 0
	s_and_saveexec_b64 s[36:37], vcc
	s_cbranch_execz .LBB189_77
; %bb.76:                               ;   in Loop: Header=BB189_3 Depth=1
	v_lshl_add_u64 v[4:5], v[4:5], 2, s[10:11]
	global_load_dword v178, v[4:5], off
.LBB189_77:                             ;   in Loop: Header=BB189_3 Depth=1
	s_or_b64 exec, exec, s[36:37]
.LBB189_78:                             ;   in Loop: Header=BB189_3 Depth=1
	s_or_b64 exec, exec, s[34:35]
	v_mov_b32_e32 v4, v2
	v_mov_b32_e32 v5, v2
	;; [unrolled: 1-line block ×31, first 2 shown]
	v_mov_b64_e32 v[34:35], v[32:33]
	v_mov_b64_e32 v[32:33], v[30:31]
	;; [unrolled: 1-line block ×16, first 2 shown]
	s_and_saveexec_b64 s[34:35], s[6:7]
	s_cbranch_execz .LBB189_80
; %bb.79:                               ;   in Loop: Header=BB189_3 Depth=1
	v_lshl_add_u64 v[4:5], v[40:41], 0, v[38:39]
	global_load_ushort v3, v[4:5], off
	v_lshl_add_u64 v[4:5], v[42:43], 0, v[38:39]
	global_load_ushort v166, v[4:5], off
	v_mov_b32_e32 v5, v2
	v_mov_b32_e32 v6, v2
	;; [unrolled: 1-line block ×31, first 2 shown]
	s_waitcnt vmcnt(1)
	v_lshlrev_b32_e32 v4, 16, v3
	s_waitcnt vmcnt(0)
	v_lshlrev_b32_e32 v179, 16, v166
.LBB189_80:                             ;   in Loop: Header=BB189_3 Depth=1
	s_or_b64 exec, exec, s[34:35]
	v_mov_b32_e32 v3, 0
	v_mov_b32_e32 v184, 0
	s_and_saveexec_b64 s[34:35], s[6:7]
	s_cbranch_execz .LBB189_82
; %bb.81:                               ;   in Loop: Header=BB189_3 Depth=1
	v_lshl_add_u64 v[166:167], v[162:163], 0, v[38:39]
	global_load_ushort v5, v[166:167], off
	v_lshl_add_u64 v[166:167], v[164:165], 0, v[38:39]
	global_load_ushort v166, v[166:167], off
	s_waitcnt vmcnt(1)
	v_lshlrev_b32_e32 v5, 16, v5
	s_waitcnt vmcnt(0)
	v_lshlrev_b32_e32 v184, 16, v166
.LBB189_82:                             ;   in Loop: Header=BB189_3 Depth=1
	s_or_b64 exec, exec, s[34:35]
	s_and_saveexec_b64 s[34:35], s[6:7]
	s_cbranch_execz .LBB189_84
; %bb.83:                               ;   in Loop: Header=BB189_3 Depth=1
	v_lshl_add_u64 v[166:167], v[158:159], 0, v[38:39]
	global_load_ushort v3, v[166:167], off
	v_lshl_add_u64 v[166:167], v[160:161], 0, v[38:39]
	global_load_ushort v166, v[166:167], off
	s_waitcnt vmcnt(1)
	v_lshlrev_b32_e32 v6, 16, v3
	s_waitcnt vmcnt(0)
	v_lshlrev_b32_e32 v3, 16, v166
.LBB189_84:                             ;   in Loop: Header=BB189_3 Depth=1
	s_or_b64 exec, exec, s[34:35]
	v_mov_b32_e32 v185, 0
	v_mov_b32_e32 v186, 0
	s_and_saveexec_b64 s[34:35], s[6:7]
	s_cbranch_execz .LBB189_86
; %bb.85:                               ;   in Loop: Header=BB189_3 Depth=1
	v_lshl_add_u64 v[166:167], v[154:155], 0, v[38:39]
	global_load_ushort v7, v[166:167], off
	v_lshl_add_u64 v[166:167], v[156:157], 0, v[38:39]
	global_load_ushort v166, v[166:167], off
	s_waitcnt vmcnt(1)
	v_lshlrev_b32_e32 v7, 16, v7
	s_waitcnt vmcnt(0)
	v_lshlrev_b32_e32 v186, 16, v166
.LBB189_86:                             ;   in Loop: Header=BB189_3 Depth=1
	s_or_b64 exec, exec, s[34:35]
	s_and_saveexec_b64 s[34:35], s[6:7]
	s_cbranch_execz .LBB189_88
; %bb.87:                               ;   in Loop: Header=BB189_3 Depth=1
	v_lshl_add_u64 v[166:167], v[150:151], 0, v[38:39]
	global_load_ushort v8, v[166:167], off
	v_lshl_add_u64 v[166:167], v[152:153], 0, v[38:39]
	global_load_ushort v166, v[166:167], off
	s_waitcnt vmcnt(1)
	v_lshlrev_b32_e32 v8, 16, v8
	s_waitcnt vmcnt(0)
	v_lshlrev_b32_e32 v185, 16, v166
.LBB189_88:                             ;   in Loop: Header=BB189_3 Depth=1
	;; [unrolled: 28-line block ×4, first 2 shown]
	s_or_b64 exec, exec, s[34:35]
	v_mov_b32_e32 v191, 0
	v_mov_b32_e32 v192, 0
	s_and_saveexec_b64 s[34:35], s[6:7]
	s_cbranch_execz .LBB189_98
; %bb.97:                               ;   in Loop: Header=BB189_3 Depth=1
	v_lshl_add_u64 v[166:167], v[132:133], 0, v[38:39]
	global_load_ushort v13, v[166:167], off
	v_lshl_add_u64 v[166:167], v[134:135], 0, v[38:39]
	global_load_ushort v166, v[166:167], off
	s_waitcnt vmcnt(1)
	v_lshlrev_b32_e32 v13, 16, v13
	s_waitcnt vmcnt(0)
	v_lshlrev_b32_e32 v192, 16, v166
.LBB189_98:                             ;   in Loop: Header=BB189_3 Depth=1
	s_or_b64 exec, exec, s[34:35]
	s_and_saveexec_b64 s[34:35], s[6:7]
	s_cbranch_execz .LBB189_100
; %bb.99:                               ;   in Loop: Header=BB189_3 Depth=1
	v_lshl_add_u64 v[166:167], v[128:129], 0, v[38:39]
	global_load_ushort v14, v[166:167], off
	v_lshl_add_u64 v[166:167], v[130:131], 0, v[38:39]
	global_load_ushort v166, v[166:167], off
	s_waitcnt vmcnt(1)
	v_lshlrev_b32_e32 v14, 16, v14
	s_waitcnt vmcnt(0)
	v_lshlrev_b32_e32 v191, 16, v166
.LBB189_100:                            ;   in Loop: Header=BB189_3 Depth=1
	s_or_b64 exec, exec, s[34:35]
	v_mov_b32_e32 v193, 0
	v_mov_b32_e32 v194, 0
	s_and_saveexec_b64 s[34:35], s[6:7]
	s_cbranch_execz .LBB189_102
; %bb.101:                              ;   in Loop: Header=BB189_3 Depth=1
	v_lshl_add_u64 v[166:167], v[124:125], 0, v[38:39]
	global_load_ushort v15, v[166:167], off
	v_lshl_add_u64 v[166:167], v[126:127], 0, v[38:39]
	global_load_ushort v166, v[166:167], off
	s_waitcnt vmcnt(1)
	v_lshlrev_b32_e32 v15, 16, v15
	s_waitcnt vmcnt(0)
	v_lshlrev_b32_e32 v194, 16, v166
.LBB189_102:                            ;   in Loop: Header=BB189_3 Depth=1
	s_or_b64 exec, exec, s[34:35]
	s_and_saveexec_b64 s[34:35], s[6:7]
	s_cbranch_execz .LBB189_104
; %bb.103:                              ;   in Loop: Header=BB189_3 Depth=1
	v_lshl_add_u64 v[166:167], v[120:121], 0, v[38:39]
	global_load_ushort v16, v[166:167], off
	v_lshl_add_u64 v[166:167], v[122:123], 0, v[38:39]
	global_load_ushort v166, v[166:167], off
	s_waitcnt vmcnt(1)
	v_lshlrev_b32_e32 v16, 16, v16
	s_waitcnt vmcnt(0)
	v_lshlrev_b32_e32 v193, 16, v166
.LBB189_104:                            ;   in Loop: Header=BB189_3 Depth=1
	s_or_b64 exec, exec, s[34:35]
	v_mov_b32_e32 v195, 0
	v_mov_b32_e32 v196, 0
	s_and_saveexec_b64 s[34:35], s[6:7]
	s_cbranch_execz .LBB189_106
; %bb.105:                              ;   in Loop: Header=BB189_3 Depth=1
	v_lshl_add_u64 v[166:167], v[116:117], 0, v[38:39]
	global_load_ushort v17, v[166:167], off
	v_lshl_add_u64 v[166:167], v[118:119], 0, v[38:39]
	global_load_ushort v166, v[166:167], off
	s_waitcnt vmcnt(1)
	v_lshlrev_b32_e32 v17, 16, v17
	s_waitcnt vmcnt(0)
	v_lshlrev_b32_e32 v196, 16, v166
.LBB189_106:                            ;   in Loop: Header=BB189_3 Depth=1
	s_or_b64 exec, exec, s[34:35]
	s_and_saveexec_b64 s[34:35], s[6:7]
	s_cbranch_execz .LBB189_108
; %bb.107:                              ;   in Loop: Header=BB189_3 Depth=1
	v_lshl_add_u64 v[166:167], v[112:113], 0, v[38:39]
	global_load_ushort v18, v[166:167], off
	v_lshl_add_u64 v[166:167], v[114:115], 0, v[38:39]
	global_load_ushort v166, v[166:167], off
	s_waitcnt vmcnt(1)
	v_lshlrev_b32_e32 v18, 16, v18
	s_waitcnt vmcnt(0)
	v_lshlrev_b32_e32 v195, 16, v166
.LBB189_108:                            ;   in Loop: Header=BB189_3 Depth=1
	;; [unrolled: 28-line block ×9, first 2 shown]
	s_or_b64 exec, exec, s[34:35]
	v_mov_b32_e32 v177, 0
	v_mov_b32_e32 v176, 0
	s_and_saveexec_b64 s[34:35], s[6:7]
	s_cbranch_execnz .LBB189_143
; %bb.137:                              ;   in Loop: Header=BB189_3 Depth=1
	s_or_b64 exec, exec, s[34:35]
	s_and_saveexec_b64 s[34:35], s[6:7]
	s_cbranch_execnz .LBB189_144
.LBB189_138:                            ;   in Loop: Header=BB189_3 Depth=1
	s_or_b64 exec, exec, s[34:35]
	v_mov_b32_e32 v203, 0
	s_and_saveexec_b64 s[34:35], s[6:7]
	s_cbranch_execz .LBB189_140
.LBB189_139:                            ;   in Loop: Header=BB189_3 Depth=1
	v_lshl_add_u64 v[202:203], v[44:45], 0, v[38:39]
	global_load_ushort v35, v[202:203], off
	v_lshl_add_u64 v[202:203], v[46:47], 0, v[38:39]
	global_load_ushort v201, v[202:203], off
	s_waitcnt vmcnt(1)
	v_lshlrev_b32_e32 v35, 16, v35
	s_waitcnt vmcnt(0)
	v_lshlrev_b32_e32 v203, 16, v201
.LBB189_140:                            ;   in Loop: Header=BB189_3 Depth=1
	s_or_b64 exec, exec, s[34:35]
	s_waitcnt vmcnt(0)
	ds_bpermute_b32 v201, v182, v178
	ds_bpermute_b32 v202, v182, v178 offset:4
	v_mul_f32_e32 v4, v179, v4
	ds_bpermute_b32 v179, v182, v178 offset:8
	v_mul_f32_e32 v5, v184, v5
	s_waitcnt lgkmcnt(2)
	v_fmac_f32_e32 v183, v4, v201
	ds_bpermute_b32 v4, v182, v178 offset:12
	s_waitcnt lgkmcnt(2)
	v_fmac_f32_e32 v183, v5, v202
	v_mul_f32_e32 v3, v3, v6
	s_waitcnt lgkmcnt(1)
	v_fmac_f32_e32 v183, v3, v179
	ds_bpermute_b32 v3, v182, v178 offset:16
	v_mul_f32_e32 v5, v186, v7
	s_waitcnt lgkmcnt(1)
	v_fmac_f32_e32 v183, v5, v4
	ds_bpermute_b32 v4, v182, v178 offset:20
	;; [unrolled: 4-line block ×14, first 2 shown]
	v_mul_f32_e32 v5, v197, v20
	ds_bpermute_b32 v6, v182, v178 offset:72
	s_waitcnt lgkmcnt(2)
	v_fmac_f32_e32 v183, v5, v3
	v_mul_f32_e32 v3, v200, v21
	s_waitcnt lgkmcnt(1)
	v_fmac_f32_e32 v183, v3, v4
	ds_bpermute_b32 v4, v182, v178 offset:76
	ds_bpermute_b32 v5, v182, v178 offset:80
	v_mul_f32_e32 v3, v199, v22
	s_waitcnt lgkmcnt(2)
	v_fmac_f32_e32 v183, v3, v6
	v_mov_b32_e32 v6, v23
	v_mov_b32_e32 v7, v24
	v_pk_mul_f32 v[6:7], v[166:167], v[6:7]
	v_mov_b32_e32 v8, v33
	s_waitcnt lgkmcnt(0)
	v_pk_mul_f32 v[4:5], v[6:7], v[4:5]
	ds_bpermute_b32 v6, v182, v178 offset:84
	ds_bpermute_b32 v7, v182, v178 offset:88
	v_add_f32_e32 v3, v183, v4
	v_add_f32_e32 v3, v3, v5
	v_mov_b32_e32 v4, v25
	v_mov_b32_e32 v5, v26
	v_pk_mul_f32 v[4:5], v[168:169], v[4:5]
	v_mov_b32_e32 v9, v34
	s_waitcnt lgkmcnt(0)
	v_pk_mul_f32 v[4:5], v[4:5], v[6:7]
	ds_bpermute_b32 v6, v182, v178 offset:92
	ds_bpermute_b32 v7, v182, v178 offset:96
	v_add_f32_e32 v3, v3, v4
	v_add_f32_e32 v3, v3, v5
	v_mov_b32_e32 v4, v27
	v_mov_b32_e32 v5, v28
	v_pk_mul_f32 v[4:5], v[170:171], v[4:5]
	v_pk_mul_f32 v[8:9], v[176:177], v[8:9]
	s_waitcnt lgkmcnt(0)
	v_pk_mul_f32 v[4:5], v[4:5], v[6:7]
	ds_bpermute_b32 v6, v182, v178 offset:100
	ds_bpermute_b32 v7, v182, v178 offset:104
	v_add_f32_e32 v3, v3, v4
	v_add_f32_e32 v3, v3, v5
	v_mov_b32_e32 v4, v29
	v_mov_b32_e32 v5, v30
	v_pk_mul_f32 v[4:5], v[172:173], v[4:5]
	s_waitcnt lgkmcnt(0)
	v_pk_mul_f32 v[4:5], v[4:5], v[6:7]
	ds_bpermute_b32 v6, v182, v178 offset:108
	ds_bpermute_b32 v7, v182, v178 offset:112
	v_add_f32_e32 v3, v3, v4
	v_add_f32_e32 v3, v3, v5
	v_mov_b32_e32 v4, v31
	v_mov_b32_e32 v5, v32
	v_pk_mul_f32 v[4:5], v[174:175], v[4:5]
	s_waitcnt lgkmcnt(0)
	v_pk_mul_f32 v[4:5], v[4:5], v[6:7]
	ds_bpermute_b32 v6, v182, v178 offset:116
	ds_bpermute_b32 v7, v182, v178 offset:120
	v_add_f32_e32 v3, v3, v4
	ds_bpermute_b32 v4, v182, v178 offset:124
	v_add_f32_e32 v3, v3, v5
	s_waitcnt lgkmcnt(1)
	v_pk_mul_f32 v[6:7], v[8:9], v[6:7]
	s_nop 0
	v_add_f32_e32 v3, v3, v6
	v_add_f32_e32 v3, v3, v7
.LBB189_141:                            ;   in Loop: Header=BB189_3 Depth=1
	v_mul_f32_e32 v5, v203, v35
	s_add_u32 s30, s30, s22
	s_waitcnt lgkmcnt(0)
	v_fmac_f32_e32 v3, v5, v4
	s_addc_u32 s31, s31, 0
	v_mov_b64_e32 v[4:5], s[12:13]
	s_add_u32 s28, s28, s22
	v_cmp_lt_i64_e32 vcc, s[30:31], v[4:5]
	v_lshl_add_u64 v[40:41], v[40:41], 0, s[26:27]
	v_lshl_add_u64 v[42:43], v[42:43], 0, s[26:27]
	;; [unrolled: 1-line block ×65, first 2 shown]
	s_addc_u32 s29, 0, s29
	s_cbranch_vccz .LBB189_146
; %bb.142:                              ;   in Loop: Header=BB189_3 Depth=1
	v_mov_b32_e32 v183, v3
	s_branch .LBB189_3
.LBB189_143:                            ;   in Loop: Header=BB189_3 Depth=1
	v_lshl_add_u64 v[202:203], v[52:53], 0, v[38:39]
	global_load_ushort v33, v[202:203], off
	v_lshl_add_u64 v[202:203], v[54:55], 0, v[38:39]
	global_load_ushort v176, v[202:203], off
	s_waitcnt vmcnt(1)
	v_lshlrev_b32_e32 v33, 16, v33
	s_waitcnt vmcnt(0)
	v_lshlrev_b32_e32 v176, 16, v176
	s_or_b64 exec, exec, s[34:35]
	s_and_saveexec_b64 s[34:35], s[6:7]
	s_cbranch_execz .LBB189_138
.LBB189_144:                            ;   in Loop: Header=BB189_3 Depth=1
	v_lshl_add_u64 v[202:203], v[48:49], 0, v[38:39]
	global_load_ushort v34, v[202:203], off
	v_lshl_add_u64 v[202:203], v[50:51], 0, v[38:39]
	global_load_ushort v177, v[202:203], off
	s_waitcnt vmcnt(1)
	v_lshlrev_b32_e32 v34, 16, v34
	s_waitcnt vmcnt(0)
	v_lshlrev_b32_e32 v177, 16, v177
	s_or_b64 exec, exec, s[34:35]
	v_mov_b32_e32 v203, 0
	s_and_saveexec_b64 s[34:35], s[6:7]
	s_cbranch_execnz .LBB189_139
	s_branch .LBB189_140
.LBB189_145:
                                        ; implicit-def: $vgpr3
	s_load_dwordx2 s[6:7], s[0:1], 0x30
	s_branch .LBB189_148
.LBB189_146:
	v_mov_b32_e32 v129, v206
.LBB189_147:
	s_load_dwordx2 s[6:7], s[0:1], 0x30
	s_cbranch_execnz .LBB189_228
.LBB189_148:
	s_and_b64 vcc, exec, s[4:5]
	v_mov_b32_e32 v3, 0
	s_cbranch_vccnz .LBB189_228
; %bb.149:
	v_mov_b32_e32 v2, 0
	v_bfe_u32 v18, v129, 10, 10
	v_lshlrev_b32_e32 v0, 6, v18
	v_mov_b32_e32 v1, v2
	v_lshl_add_u64 v[0:1], s[20:21], 1, v[0:1]
	v_lshl_add_u64 v[8:9], v[0:1], 0, 2
	v_mov_b64_e32 v[4:5], s[16:17]
	v_mov_b64_e32 v[6:7], s[18:19]
	v_mad_u64_u32 v[90:91], s[4:5], s14, v8, v[4:5]
	v_mul_lo_u32 v3, s14, v9
	v_mul_lo_u32 v9, s15, v8
	v_lshl_add_u64 v[10:11], v[0:1], 0, 4
	v_lshl_add_u64 v[14:15], v[0:1], 0, 8
	v_mad_u64_u32 v[96:97], s[4:5], s14, v8, v[6:7]
	v_add3_u32 v91, v9, v91, v3
	v_mad_u64_u32 v[92:93], s[4:5], s14, v10, v[4:5]
	v_mul_lo_u32 v16, s15, v10
	v_add3_u32 v97, v9, v97, v3
	v_mad_u64_u32 v[98:99], s[4:5], s14, v14, v[4:5]
	v_mad_u64_u32 v[100:101], s[4:5], s14, v10, v[6:7]
	v_mul_lo_u32 v3, s14, v15
	v_mul_lo_u32 v10, s15, v14
	v_lshl_add_u64 v[8:9], v[0:1], 0, 10
	v_mad_u64_u32 v[104:105], s[4:5], s14, v14, v[6:7]
	v_add3_u32 v99, v10, v99, v3
	v_add3_u32 v105, v10, v105, v3
	v_mul_lo_u32 v3, s14, v9
	v_mul_lo_u32 v9, s15, v8
	v_mad_u64_u32 v[106:107], s[4:5], s14, v8, v[4:5]
	v_mad_u64_u32 v[108:109], s[4:5], s14, v8, v[6:7]
	v_add3_u32 v107, v9, v107, v3
	v_add3_u32 v109, v9, v109, v3
	v_lshl_add_u64 v[8:9], v[0:1], 0, 12
	v_mul_lo_u32 v3, s14, v9
	v_mul_lo_u32 v9, s15, v8
	v_mad_u64_u32 v[110:111], s[4:5], s14, v8, v[4:5]
	v_mad_u64_u32 v[112:113], s[4:5], s14, v8, v[6:7]
	v_add3_u32 v111, v9, v111, v3
	v_add3_u32 v113, v9, v113, v3
	v_lshl_add_u64 v[8:9], v[0:1], 0, 14
	;; [unrolled: 7-line block ×4, first 2 shown]
	v_mul_lo_u32 v3, s14, v9
	v_mul_lo_u32 v9, s15, v8
	v_mad_u64_u32 v[122:123], s[4:5], s14, v8, v[4:5]
	v_mad_u64_u32 v[124:125], s[4:5], s14, v8, v[6:7]
	v_mul_lo_u32 v11, s14, v11
	v_add3_u32 v123, v9, v123, v3
	v_add3_u32 v125, v9, v125, v3
	v_lshl_add_u64 v[8:9], v[0:1], 0, 20
	v_add3_u32 v93, v16, v93, v11
	v_add3_u32 v101, v16, v101, v11
	v_mul_lo_u32 v3, s14, v9
	v_mul_lo_u32 v9, s15, v8
	v_mad_u64_u32 v[10:11], s[4:5], s14, v8, v[6:7]
	v_mad_u64_u32 v[126:127], s[4:5], s14, v8, v[4:5]
	v_add3_u32 v11, v9, v11, v3
	v_add3_u32 v127, v9, v127, v3
	v_accvgpr_write_b32 a41, v11
	v_lshl_add_u64 v[8:9], v[0:1], 0, 22
	v_accvgpr_write_b32 a40, v10
	v_mul_lo_u32 v3, s14, v9
	v_mul_lo_u32 v9, s15, v8
	v_mad_u64_u32 v[10:11], s[4:5], s14, v8, v[4:5]
	v_add3_u32 v11, v9, v11, v3
	v_accvgpr_write_b32 a43, v11
	v_accvgpr_write_b32 a42, v10
	v_mad_u64_u32 v[10:11], s[4:5], s14, v8, v[6:7]
	v_add3_u32 v11, v9, v11, v3
	v_accvgpr_write_b32 a45, v11
	v_lshl_add_u64 v[8:9], v[0:1], 0, 24
	v_accvgpr_write_b32 a44, v10
	v_mul_lo_u32 v3, s14, v9
	v_mul_lo_u32 v9, s15, v8
	v_mad_u64_u32 v[10:11], s[4:5], s14, v8, v[4:5]
	v_add3_u32 v11, v9, v11, v3
	v_accvgpr_write_b32 a47, v11
	v_accvgpr_write_b32 a46, v10
	v_mad_u64_u32 v[10:11], s[4:5], s14, v8, v[6:7]
	;; [unrolled: 11-line block ×13, first 2 shown]
	v_add3_u32 v11, v9, v11, v3
	v_accvgpr_write_b32 a93, v11
	v_lshl_add_u64 v[8:9], v[0:1], 0, 48
	v_accvgpr_write_b32 a92, v10
	v_mul_lo_u32 v3, s14, v9
	v_mul_lo_u32 v9, s15, v8
	v_mad_u64_u32 v[10:11], s[4:5], s14, v8, v[4:5]
	v_mad_u64_u32 v[130:131], s[4:5], s14, v8, v[6:7]
	v_add3_u32 v11, v9, v11, v3
	v_add3_u32 v131, v9, v131, v3
	v_lshl_add_u64 v[8:9], v[0:1], 0, 50
	v_mul_lo_u32 v3, s14, v9
	v_mul_lo_u32 v9, s15, v8
	v_mad_u64_u32 v[132:133], s[4:5], s14, v8, v[4:5]
	v_mad_u64_u32 v[134:135], s[4:5], s14, v8, v[6:7]
	v_add3_u32 v133, v9, v133, v3
	v_add3_u32 v135, v9, v135, v3
	v_lshl_add_u64 v[8:9], v[0:1], 0, 52
	;; [unrolled: 7-line block ×5, first 2 shown]
	v_mul_lo_u32 v3, s14, v9
	v_mul_lo_u32 v9, s15, v8
	v_mad_u64_u32 v[148:149], s[4:5], s14, v8, v[4:5]
	v_mad_u64_u32 v[150:151], s[4:5], s14, v8, v[6:7]
	v_lshl_add_u64 v[12:13], v[0:1], 0, 6
	v_add3_u32 v149, v9, v149, v3
	v_add3_u32 v151, v9, v151, v3
	v_lshl_add_u64 v[8:9], v[0:1], 0, 60
	v_lshl_add_u64 v[0:1], v[0:1], 0, 62
	v_lshlrev_b32_e32 v160, 5, v18
	v_mov_b32_e32 v161, v2
	v_mad_u64_u32 v[102:103], s[4:5], s14, v12, v[6:7]
	v_mad_u64_u32 v[154:155], s[4:5], s14, v8, v[6:7]
	;; [unrolled: 1-line block ×4, first 2 shown]
	v_mul_lo_u32 v1, s14, v1
	v_mul_lo_u32 v0, s15, v0
	v_lshl_add_u64 v[6:7], v[160:161], 0, s[20:21]
	v_mul_lo_u32 v3, s14, v9
	v_mul_lo_u32 v9, s15, v8
	v_mad_u64_u32 v[152:153], s[4:5], s14, v8, v[4:5]
	v_add3_u32 v157, v0, v157, v1
	v_add3_u32 v159, v0, v159, v1
	v_lshl_add_u64 v[0:1], v[6:7], 0, 31
	v_mad_u64_u32 v[94:95], s[4:5], s14, v12, v[4:5]
	v_add3_u32 v153, v9, v153, v3
	v_add3_u32 v155, v9, v155, v3
	v_mul_lo_u32 v3, s15, v0
	v_mul_lo_u32 v4, s14, v1
	v_mad_u64_u32 v[0:1], s[4:5], s14, v0, 0
	v_add3_u32 v1, v1, v4, v3
	v_lshl_add_u64 v[4:5], v[6:7], 0, 30
	v_mul_lo_u32 v3, s15, v4
	v_mul_lo_u32 v8, s14, v5
	v_mad_u64_u32 v[4:5], s[4:5], s14, v4, 0
	v_accvgpr_write_b32 a95, v11
	v_add3_u32 v5, v5, v8, v3
	v_lshl_add_u64 v[8:9], v[6:7], 0, 29
	v_accvgpr_write_b32 a94, v10
	v_mul_lo_u32 v3, s15, v8
	v_mul_lo_u32 v10, s14, v9
	v_mad_u64_u32 v[8:9], s[4:5], s14, v8, 0
	v_add3_u32 v9, v9, v10, v3
	v_lshl_add_u64 v[10:11], v[6:7], 0, 28
	v_mul_lo_u32 v13, s14, v13
	v_mul_lo_u32 v17, s15, v12
	;; [unrolled: 1-line block ×4, first 2 shown]
	v_mad_u64_u32 v[10:11], s[4:5], s14, v10, 0
	v_add3_u32 v95, v17, v95, v13
	v_add3_u32 v103, v17, v103, v13
	;; [unrolled: 1-line block ×3, first 2 shown]
	v_lshl_add_u64 v[12:13], v[6:7], 0, 27
	v_mul_lo_u32 v3, s15, v12
	v_mul_lo_u32 v14, s14, v13
	v_mad_u64_u32 v[12:13], s[4:5], s14, v12, 0
	v_add3_u32 v13, v13, v14, v3
	v_lshl_add_u64 v[14:15], v[6:7], 0, 26
	v_mul_lo_u32 v3, s15, v14
	v_mul_lo_u32 v16, s14, v15
	v_mad_u64_u32 v[14:15], s[4:5], s14, v14, 0
	v_add3_u32 v15, v15, v16, v3
	v_lshl_add_u64 v[16:17], v[6:7], 0, 25
	v_accvgpr_write_b32 a0, v18
	v_mul_lo_u32 v3, s15, v16
	v_mul_lo_u32 v18, s14, v17
	v_mad_u64_u32 v[16:17], s[4:5], s14, v16, 0
	v_add3_u32 v17, v17, v18, v3
	v_lshl_add_u64 v[18:19], v[6:7], 0, 24
	v_mul_lo_u32 v3, s15, v18
	v_mul_lo_u32 v20, s14, v19
	v_mad_u64_u32 v[18:19], s[4:5], s14, v18, 0
	v_add3_u32 v19, v19, v20, v3
	v_lshl_add_u64 v[20:21], v[6:7], 0, 23
	;; [unrolled: 5-line block ×15, first 2 shown]
	v_mul_lo_u32 v3, s15, v46
	v_mul_lo_u32 v48, s14, v47
	v_mad_u64_u32 v[46:47], s[4:5], s14, v46, 0
	v_lshlrev_b64 v[0:1], 1, v[0:1]
	v_add3_u32 v47, v47, v48, v3
	v_lshl_add_u64 v[48:49], v[6:7], 0, 9
	v_lshl_add_u64 v[168:169], s[16:17], 0, v[0:1]
	v_lshl_add_u64 v[170:171], s[18:19], 0, v[0:1]
	v_lshlrev_b64 v[0:1], 1, v[4:5]
	v_mul_lo_u32 v3, s15, v48
	v_mul_lo_u32 v50, s14, v49
	v_mad_u64_u32 v[48:49], s[4:5], s14, v48, 0
	v_lshl_add_u64 v[172:173], s[16:17], 0, v[0:1]
	v_lshl_add_u64 v[174:175], s[18:19], 0, v[0:1]
	v_lshlrev_b64 v[0:1], 1, v[8:9]
	v_add3_u32 v49, v49, v50, v3
	v_lshl_add_u64 v[50:51], v[6:7], 0, 8
	v_lshl_add_u64 v[176:177], s[16:17], 0, v[0:1]
	v_lshl_add_u64 v[178:179], s[18:19], 0, v[0:1]
	v_lshlrev_b64 v[0:1], 1, v[10:11]
	v_mul_lo_u32 v3, s15, v50
	v_mul_lo_u32 v52, s14, v51
	v_mad_u64_u32 v[50:51], s[4:5], s14, v50, 0
	v_lshl_add_u64 v[180:181], s[16:17], 0, v[0:1]
	v_lshl_add_u64 v[182:183], s[18:19], 0, v[0:1]
	;; [unrolled: 11-line block ×8, first 2 shown]
	v_lshlrev_b64 v[0:1], 1, v[36:37]
	v_add3_u32 v63, v63, v64, v3
	v_mov_b64_e32 v[64:65], s[14:15]
	v_lshl_add_u64 v[232:233], s[16:17], 0, v[0:1]
	v_lshl_add_u64 v[234:235], s[18:19], 0, v[0:1]
	v_lshlrev_b64 v[0:1], 1, v[38:39]
	v_mad_u64_u32 v[66:67], s[4:5], s14, v6, v[64:65]
	v_mul_lo_u32 v3, s15, v6
	v_mul_lo_u32 v64, s14, v7
	v_mad_u64_u32 v[6:7], s[4:5], s14, v6, 0
	v_lshl_add_u64 v[236:237], s[16:17], 0, v[0:1]
	v_lshl_add_u64 v[238:239], s[18:19], 0, v[0:1]
	v_lshlrev_b64 v[0:1], 1, v[40:41]
	s_load_dword s4, s[0:1], 0x44
	v_lshl_add_u64 v[240:241], s[16:17], 0, v[0:1]
	v_lshl_add_u64 v[242:243], s[18:19], 0, v[0:1]
	v_lshlrev_b64 v[0:1], 1, v[42:43]
	v_lshlrev_b64 v[4:5], 1, v[50:51]
	v_lshl_add_u64 v[244:245], s[16:17], 0, v[0:1]
	v_lshl_add_u64 v[246:247], s[18:19], 0, v[0:1]
	v_lshlrev_b64 v[0:1], 1, v[44:45]
	v_lshl_add_u64 v[38:39], s[16:17], 0, v[4:5]
	v_lshl_add_u64 v[40:41], s[18:19], 0, v[4:5]
	;; [unrolled: 3-line block ×6, first 2 shown]
	v_lshlrev_b64 v[4:5], 1, v[56:57]
	v_add3_u32 v7, v7, v64, v3
	v_add3_u32 v67, v3, v67, v64
	v_and_b32_e32 v3, 0x3ff, v129
	s_add_u32 s22, s0, 64
	v_lshl_add_u64 v[50:51], s[16:17], 0, v[4:5]
	v_lshl_add_u64 v[52:53], s[18:19], 0, v[4:5]
	v_lshlrev_b64 v[4:5], 1, v[58:59]
	v_accvgpr_write_b32 a1, v3
	v_add_u32_e32 v64, s3, v3
	s_addc_u32 s23, s1, 0
	s_waitcnt lgkmcnt(0)
	s_lshl_b32 s4, s4, 5
	v_lshl_add_u64 v[54:55], s[16:17], 0, v[4:5]
	v_lshl_add_u64 v[56:57], s[18:19], 0, v[4:5]
	v_lshlrev_b64 v[4:5], 1, v[60:61]
	v_mbcnt_lo_u32_b32 v3, -1, 0
	v_mov_b32_e32 v65, v2
	s_mul_i32 s3, s15, s4
	s_mul_hi_u32 s9, s14, s4
	v_lshl_add_u64 v[58:59], s[16:17], 0, v[4:5]
	v_lshl_add_u64 v[60:61], s[18:19], 0, v[4:5]
	v_lshlrev_b64 v[4:5], 1, v[62:63]
	v_mbcnt_hi_u32_b32 v3, -1, v3
	v_lshlrev_b64 v[162:163], 1, v[64:65]
	v_lshlrev_b64 v[6:7], 1, v[6:7]
	s_add_i32 s25, s9, s3
	s_mul_i32 s24, s14, s4
	v_lshl_add_u64 v[62:63], s[16:17], 0, v[4:5]
	v_lshl_add_u64 v[64:65], s[18:19], 0, v[4:5]
	v_lshlrev_b64 v[4:5], 1, v[66:67]
	v_lshlrev_b32_e32 v3, 2, v3
	s_mov_b32 s5, 0
	s_lshl_b64 s[24:25], s[24:25], 1
	v_lshl_add_u64 v[164:165], s[16:17], 0, v[6:7]
	v_lshl_add_u64 v[166:167], s[18:19], 0, v[6:7]
	s_mov_b64 s[26:27], 31
	v_lshl_add_u64 v[36:37], s[16:17], 0, v[0:1]
	v_lshl_add_u64 v[0:1], s[18:19], 0, v[0:1]
	;; [unrolled: 1-line block ×4, first 2 shown]
	v_and_b32_e32 v84, 0x100, v3
	s_mov_b64 s[16:17], s[20:21]
	v_mov_b32_e32 v85, 0
.LBB189_150:                            ; =>This Inner Loop Header: Depth=1
	s_add_u32 s18, s20, s26
	s_addc_u32 s19, 0, s27
	v_mov_b64_e32 v[4:5], s[12:13]
	v_cmp_ge_i64_e32 vcc, s[18:19], v[4:5]
	v_lshl_add_u64 v[70:71], s[20:21], 0, v[160:161]
	s_mov_b64 s[18:19], -1
                                        ; implicit-def: $vgpr3
	s_cbranch_vccz .LBB189_220
; %bb.151:                              ;   in Loop: Header=BB189_150 Depth=1
	s_load_dword s3, s[22:23], 0xc
	v_accvgpr_read_b32 v3, a0
	v_accvgpr_read_b32 v4, a1
	v_mov_b32_e32 v128, 0
	v_mov_b32_e32 v86, 0
	s_waitcnt lgkmcnt(0)
	s_and_b32 s3, s3, 0xffff
	v_mad_u32_u24 v3, v3, s3, v4
	v_and_b32_e32 v4, 63, v3
	v_cmp_gt_u32_e32 vcc, 32, v4
	s_and_saveexec_b64 s[18:19], vcc
	s_cbranch_execz .LBB189_155
; %bb.152:                              ;   in Loop: Header=BB189_150 Depth=1
	v_mov_b32_e32 v5, v2
	v_lshl_add_u64 v[4:5], v[70:71], 0, v[4:5]
	v_cmp_gt_i64_e32 vcc, s[12:13], v[4:5]
	v_mov_b32_e32 v86, 0
	s_and_saveexec_b64 s[28:29], vcc
	s_cbranch_execz .LBB189_154
; %bb.153:                              ;   in Loop: Header=BB189_150 Depth=1
	v_lshl_add_u64 v[4:5], v[4:5], 2, s[10:11]
	global_load_dword v86, v[4:5], off
.LBB189_154:                            ;   in Loop: Header=BB189_150 Depth=1
	s_or_b64 exec, exec, s[28:29]
.LBB189_155:                            ;   in Loop: Header=BB189_150 Depth=1
	s_or_b64 exec, exec, s[18:19]
	v_mov_b32_e32 v4, v2
	v_mov_b32_e32 v5, v2
	;; [unrolled: 1-line block ×31, first 2 shown]
	v_mov_b64_e32 v[34:35], v[32:33]
	v_cmp_gt_i64_e32 vcc, s[12:13], v[70:71]
	v_mov_b64_e32 v[32:33], v[30:31]
	v_mov_b64_e32 v[30:31], v[28:29]
	;; [unrolled: 1-line block ×15, first 2 shown]
	s_and_saveexec_b64 s[18:19], vcc
	s_cbranch_execz .LBB189_157
; %bb.156:                              ;   in Loop: Header=BB189_150 Depth=1
	v_lshl_add_u64 v[4:5], v[164:165], 0, v[162:163]
	global_load_ushort v3, v[4:5], off
	v_lshl_add_u64 v[4:5], v[166:167], 0, v[162:163]
	global_load_ushort v72, v[4:5], off
	v_mov_b32_e32 v5, v2
	v_mov_b32_e32 v6, v2
	;; [unrolled: 1-line block ×31, first 2 shown]
	s_waitcnt vmcnt(1)
	v_lshlrev_b32_e32 v4, 16, v3
	s_waitcnt vmcnt(0)
	v_lshlrev_b32_e32 v128, 16, v72
.LBB189_157:                            ;   in Loop: Header=BB189_150 Depth=1
	s_or_b64 exec, exec, s[18:19]
	v_lshl_add_u64 v[72:73], v[70:71], 0, 1
	v_cmp_gt_i64_e32 vcc, s[12:13], v[72:73]
	v_accvgpr_write_b32 a2, 0
	v_accvgpr_write_b32 a3, 0
	s_and_saveexec_b64 s[18:19], vcc
	s_cbranch_execz .LBB189_159
; %bb.158:                              ;   in Loop: Header=BB189_150 Depth=1
	v_lshl_add_u64 v[72:73], v[66:67], 0, v[162:163]
	global_load_ushort v3, v[72:73], off
	v_lshl_add_u64 v[72:73], v[68:69], 0, v[162:163]
	global_load_ushort v72, v[72:73], off
	s_waitcnt vmcnt(1)
	v_lshlrev_b32_e32 v5, 16, v3
	s_waitcnt vmcnt(0)
	v_lshlrev_b32_e32 v3, 16, v72
	v_accvgpr_write_b32 a3, v3
.LBB189_159:                            ;   in Loop: Header=BB189_150 Depth=1
	s_or_b64 exec, exec, s[18:19]
	v_lshl_add_u64 v[72:73], v[70:71], 0, 2
	v_cmp_gt_i64_e32 vcc, s[12:13], v[72:73]
	s_and_saveexec_b64 s[18:19], vcc
	s_cbranch_execz .LBB189_161
; %bb.160:                              ;   in Loop: Header=BB189_150 Depth=1
	v_lshl_add_u64 v[72:73], v[62:63], 0, v[162:163]
	global_load_ushort v3, v[72:73], off
	v_lshl_add_u64 v[72:73], v[64:65], 0, v[162:163]
	global_load_ushort v72, v[72:73], off
	s_waitcnt vmcnt(1)
	v_lshlrev_b32_e32 v6, 16, v3
	s_waitcnt vmcnt(0)
	v_lshlrev_b32_e32 v3, 16, v72
	v_accvgpr_write_b32 a2, v3
.LBB189_161:                            ;   in Loop: Header=BB189_150 Depth=1
	s_or_b64 exec, exec, s[18:19]
	v_lshl_add_u64 v[72:73], v[70:71], 0, 3
	v_cmp_gt_i64_e32 vcc, s[12:13], v[72:73]
	v_accvgpr_write_b32 a4, 0
	v_accvgpr_write_b32 a5, 0
	s_and_saveexec_b64 s[18:19], vcc
	s_cbranch_execz .LBB189_163
; %bb.162:                              ;   in Loop: Header=BB189_150 Depth=1
	v_lshl_add_u64 v[72:73], v[58:59], 0, v[162:163]
	global_load_ushort v3, v[72:73], off
	v_lshl_add_u64 v[72:73], v[60:61], 0, v[162:163]
	global_load_ushort v72, v[72:73], off
	s_waitcnt vmcnt(1)
	v_lshlrev_b32_e32 v7, 16, v3
	s_waitcnt vmcnt(0)
	v_lshlrev_b32_e32 v3, 16, v72
	v_accvgpr_write_b32 a5, v3
.LBB189_163:                            ;   in Loop: Header=BB189_150 Depth=1
	s_or_b64 exec, exec, s[18:19]
	v_lshl_add_u64 v[72:73], v[70:71], 0, 4
	v_cmp_gt_i64_e32 vcc, s[12:13], v[72:73]
	s_and_saveexec_b64 s[18:19], vcc
	s_cbranch_execz .LBB189_165
; %bb.164:                              ;   in Loop: Header=BB189_150 Depth=1
	v_lshl_add_u64 v[72:73], v[54:55], 0, v[162:163]
	global_load_ushort v3, v[72:73], off
	v_lshl_add_u64 v[72:73], v[56:57], 0, v[162:163]
	global_load_ushort v72, v[72:73], off
	s_waitcnt vmcnt(1)
	v_lshlrev_b32_e32 v8, 16, v3
	s_waitcnt vmcnt(0)
	v_lshlrev_b32_e32 v3, 16, v72
	v_accvgpr_write_b32 a4, v3
.LBB189_165:                            ;   in Loop: Header=BB189_150 Depth=1
	;; [unrolled: 34-line block ×8, first 2 shown]
	s_or_b64 exec, exec, s[18:19]
	v_lshl_add_u64 v[72:73], v[70:71], 0, 17
	v_cmp_gt_i64_e32 vcc, s[12:13], v[72:73]
	v_accvgpr_write_b32 a17, 0
	v_mov_b32_e32 v87, 0
	s_and_saveexec_b64 s[18:19], vcc
	s_cbranch_execz .LBB189_191
; %bb.190:                              ;   in Loop: Header=BB189_150 Depth=1
	v_lshl_add_u64 v[72:73], v[224:225], 0, v[162:163]
	global_load_ushort v3, v[72:73], off
	v_lshl_add_u64 v[72:73], v[226:227], 0, v[162:163]
	global_load_ushort v72, v[72:73], off
	s_waitcnt vmcnt(1)
	v_lshlrev_b32_e32 v21, 16, v3
	s_waitcnt vmcnt(0)
	v_lshlrev_b32_e32 v87, 16, v72
.LBB189_191:                            ;   in Loop: Header=BB189_150 Depth=1
	s_or_b64 exec, exec, s[18:19]
	v_lshl_add_u64 v[72:73], v[70:71], 0, 18
	v_cmp_gt_i64_e32 vcc, s[12:13], v[72:73]
	s_and_saveexec_b64 s[18:19], vcc
	s_cbranch_execz .LBB189_193
; %bb.192:                              ;   in Loop: Header=BB189_150 Depth=1
	v_lshl_add_u64 v[72:73], v[220:221], 0, v[162:163]
	global_load_ushort v3, v[72:73], off
	v_lshl_add_u64 v[72:73], v[222:223], 0, v[162:163]
	global_load_ushort v72, v[72:73], off
	s_waitcnt vmcnt(1)
	v_lshlrev_b32_e32 v22, 16, v3
	s_waitcnt vmcnt(0)
	v_lshlrev_b32_e32 v3, 16, v72
	v_accvgpr_write_b32 a17, v3
.LBB189_193:                            ;   in Loop: Header=BB189_150 Depth=1
	s_or_b64 exec, exec, s[18:19]
	v_lshl_add_u64 v[72:73], v[70:71], 0, 19
	v_cmp_gt_i64_e32 vcc, s[12:13], v[72:73]
	v_mov_b32_e32 v72, 0
	v_mov_b32_e32 v3, 0
	s_and_saveexec_b64 s[18:19], vcc
	s_cbranch_execz .LBB189_195
; %bb.194:                              ;   in Loop: Header=BB189_150 Depth=1
	v_lshl_add_u64 v[74:75], v[216:217], 0, v[162:163]
	global_load_ushort v3, v[74:75], off
	v_lshl_add_u64 v[74:75], v[218:219], 0, v[162:163]
	global_load_ushort v73, v[74:75], off
	s_waitcnt vmcnt(1)
	v_lshlrev_b32_e32 v23, 16, v3
	s_waitcnt vmcnt(0)
	v_lshlrev_b32_e32 v3, 16, v73
.LBB189_195:                            ;   in Loop: Header=BB189_150 Depth=1
	s_or_b64 exec, exec, s[18:19]
	v_lshl_add_u64 v[74:75], v[70:71], 0, 20
	v_cmp_gt_i64_e32 vcc, s[12:13], v[74:75]
	s_and_saveexec_b64 s[18:19], vcc
	s_cbranch_execz .LBB189_197
; %bb.196:                              ;   in Loop: Header=BB189_150 Depth=1
	v_lshl_add_u64 v[72:73], v[212:213], 0, v[162:163]
	global_load_ushort v24, v[72:73], off
	v_lshl_add_u64 v[72:73], v[214:215], 0, v[162:163]
	global_load_ushort v72, v[72:73], off
	s_waitcnt vmcnt(1)
	v_lshlrev_b32_e32 v24, 16, v24
	s_waitcnt vmcnt(0)
	v_lshlrev_b32_e32 v72, 16, v72
.LBB189_197:                            ;   in Loop: Header=BB189_150 Depth=1
	s_or_b64 exec, exec, s[18:19]
	v_lshl_add_u64 v[74:75], v[70:71], 0, 21
	v_cmp_gt_i64_e32 vcc, s[12:13], v[74:75]
	v_mov_b32_e32 v74, 0
	v_mov_b32_e32 v73, 0
	s_and_saveexec_b64 s[18:19], vcc
	s_cbranch_execz .LBB189_199
; %bb.198:                              ;   in Loop: Header=BB189_150 Depth=1
	v_lshl_add_u64 v[76:77], v[208:209], 0, v[162:163]
	global_load_ushort v25, v[76:77], off
	v_lshl_add_u64 v[76:77], v[210:211], 0, v[162:163]
	global_load_ushort v73, v[76:77], off
	s_waitcnt vmcnt(1)
	v_lshlrev_b32_e32 v25, 16, v25
	s_waitcnt vmcnt(0)
	v_lshlrev_b32_e32 v73, 16, v73
.LBB189_199:                            ;   in Loop: Header=BB189_150 Depth=1
	s_or_b64 exec, exec, s[18:19]
	v_lshl_add_u64 v[76:77], v[70:71], 0, 22
	v_cmp_gt_i64_e32 vcc, s[12:13], v[76:77]
	s_and_saveexec_b64 s[18:19], vcc
	s_cbranch_execz .LBB189_201
; %bb.200:                              ;   in Loop: Header=BB189_150 Depth=1
	v_lshl_add_u64 v[74:75], v[204:205], 0, v[162:163]
	global_load_ushort v26, v[74:75], off
	v_lshl_add_u64 v[74:75], v[206:207], 0, v[162:163]
	global_load_ushort v74, v[74:75], off
	s_waitcnt vmcnt(1)
	v_lshlrev_b32_e32 v26, 16, v26
	s_waitcnt vmcnt(0)
	v_lshlrev_b32_e32 v74, 16, v74
.LBB189_201:                            ;   in Loop: Header=BB189_150 Depth=1
	;; [unrolled: 32-line block ×6, first 2 shown]
	s_or_b64 exec, exec, s[18:19]
	v_lshl_add_u64 v[88:89], v[70:71], 0, 31
	v_cmp_gt_i64_e32 vcc, s[12:13], v[88:89]
	v_mov_b32_e32 v83, 0
	s_and_saveexec_b64 s[18:19], vcc
	s_cbranch_execz .LBB189_219
; %bb.218:                              ;   in Loop: Header=BB189_150 Depth=1
	v_lshl_add_u64 v[88:89], v[168:169], 0, v[162:163]
	global_load_ushort v35, v[88:89], off
	v_lshl_add_u64 v[88:89], v[170:171], 0, v[162:163]
	global_load_ushort v83, v[88:89], off
	s_waitcnt vmcnt(1)
	v_lshlrev_b32_e32 v35, 16, v35
	s_waitcnt vmcnt(0)
	v_lshlrev_b32_e32 v83, 16, v83
.LBB189_219:                            ;   in Loop: Header=BB189_150 Depth=1
	s_or_b64 exec, exec, s[18:19]
	s_waitcnt vmcnt(0)
	ds_bpermute_b32 v88, v84, v86
	v_mul_f32_e32 v4, v128, v4
	v_accvgpr_read_b32 v89, a3
	v_mul_f32_e32 v5, v89, v5
	v_mul_f32_e32 v3, v3, v23
	s_waitcnt lgkmcnt(0)
	v_fma_f32 v88, v4, v88, v85
	ds_bpermute_b32 v4, v84, v86 offset:4
	s_mov_b64 s[18:19], 0
	s_waitcnt lgkmcnt(0)
	v_fmac_f32_e32 v88, v5, v4
	ds_bpermute_b32 v4, v84, v86 offset:8
	v_accvgpr_read_b32 v5, a2
	v_mul_f32_e32 v5, v5, v6
	s_waitcnt lgkmcnt(0)
	v_fmac_f32_e32 v88, v5, v4
	ds_bpermute_b32 v4, v84, v86 offset:12
	v_accvgpr_read_b32 v5, a5
	v_mul_f32_e32 v5, v5, v7
	v_pk_mul_f32 v[6:7], v[72:73], v[24:25]
	s_waitcnt lgkmcnt(0)
	v_fmac_f32_e32 v88, v5, v4
	ds_bpermute_b32 v4, v84, v86 offset:16
	v_accvgpr_read_b32 v5, a4
	v_mul_f32_e32 v5, v5, v8
	s_waitcnt lgkmcnt(0)
	v_fmac_f32_e32 v88, v5, v4
	ds_bpermute_b32 v4, v84, v86 offset:20
	v_accvgpr_read_b32 v5, a7
	v_mul_f32_e32 v5, v5, v9
	;; [unrolled: 5-line block ×13, first 2 shown]
	s_waitcnt lgkmcnt(0)
	v_fmac_f32_e32 v88, v5, v4
	ds_bpermute_b32 v4, v84, v86 offset:68
	v_mul_f32_e32 v5, v87, v21
	s_waitcnt lgkmcnt(0)
	v_fmac_f32_e32 v88, v5, v4
	ds_bpermute_b32 v4, v84, v86 offset:72
	v_accvgpr_read_b32 v5, a17
	v_mul_f32_e32 v5, v5, v22
	s_waitcnt lgkmcnt(0)
	v_fmac_f32_e32 v88, v5, v4
	ds_bpermute_b32 v4, v84, v86 offset:76
	ds_bpermute_b32 v5, v84, v86 offset:84
	s_waitcnt lgkmcnt(1)
	v_fmac_f32_e32 v88, v3, v4
	ds_bpermute_b32 v4, v84, v86 offset:80
	s_waitcnt lgkmcnt(0)
	v_pk_mul_f32 v[4:5], v[6:7], v[4:5]
	s_nop 0
	v_add_f32_e32 v3, v88, v4
	v_add_f32_e32 v3, v3, v5
	ds_bpermute_b32 v4, v84, v86 offset:88
	ds_bpermute_b32 v5, v84, v86 offset:92
	v_pk_mul_f32 v[6:7], v[74:75], v[26:27]
	s_waitcnt lgkmcnt(0)
	v_pk_mul_f32 v[4:5], v[6:7], v[4:5]
	s_nop 0
	v_add_f32_e32 v3, v3, v4
	v_add_f32_e32 v3, v3, v5
	ds_bpermute_b32 v4, v84, v86 offset:96
	ds_bpermute_b32 v5, v84, v86 offset:100
	v_pk_mul_f32 v[6:7], v[76:77], v[28:29]
	;; [unrolled: 8-line block ×5, first 2 shown]
	s_waitcnt lgkmcnt(0)
	v_pk_mul_f32 v[4:5], v[6:7], v[4:5]
	s_nop 0
	v_add_f32_e32 v3, v3, v4
	v_add_f32_e32 v3, v3, v5
.LBB189_220:                            ;   in Loop: Header=BB189_150 Depth=1
	s_and_b64 vcc, exec, s[18:19]
	s_cbranch_vccz .LBB189_226
; %bb.221:                              ;   in Loop: Header=BB189_150 Depth=1
	s_load_dword s3, s[22:23], 0x0
	v_accvgpr_read_b32 v4, a0
	v_accvgpr_read_b32 v5, a1
	s_waitcnt lgkmcnt(0)
	s_cmp_lt_u32 s2, s3
	s_cselect_b32 s3, 12, 18
	s_add_u32 s18, s22, s3
	s_addc_u32 s19, s23, 0
	global_load_ushort v3, v2, s[18:19]
	s_waitcnt vmcnt(0)
	v_mad_u32_u24 v3, v4, v3, v5
	v_and_b32_e32 v4, 63, v3
	v_cmp_gt_u32_e32 vcc, 32, v4
	v_mov_b32_e32 v3, 0
	s_and_saveexec_b64 s[18:19], vcc
	s_cbranch_execz .LBB189_225
; %bb.222:                              ;   in Loop: Header=BB189_150 Depth=1
	v_mov_b32_e32 v5, v2
	v_lshl_add_u64 v[4:5], v[70:71], 0, v[4:5]
	v_cmp_gt_i64_e32 vcc, s[12:13], v[4:5]
	v_mov_b32_e32 v3, 0
	s_and_saveexec_b64 s[28:29], vcc
	s_cbranch_execz .LBB189_224
; %bb.223:                              ;   in Loop: Header=BB189_150 Depth=1
	v_lshl_add_u64 v[4:5], v[4:5], 2, s[10:11]
	global_load_dword v3, v[4:5], off
.LBB189_224:                            ;   in Loop: Header=BB189_150 Depth=1
	s_or_b64 exec, exec, s[28:29]
.LBB189_225:                            ;   in Loop: Header=BB189_150 Depth=1
	s_or_b64 exec, exec, s[18:19]
	v_lshl_add_u64 v[4:5], v[164:165], 0, v[162:163]
	global_load_ushort v6, v[4:5], off
	v_lshl_add_u64 v[4:5], v[166:167], 0, v[162:163]
	global_load_ushort v7, v[4:5], off
	v_lshl_add_u64 v[4:5], v[90:91], 0, v[162:163]
	global_load_ushort v8, v[4:5], off
	v_lshl_add_u64 v[4:5], v[96:97], 0, v[162:163]
	global_load_ushort v9, v[4:5], off
	v_lshl_add_u64 v[4:5], v[92:93], 0, v[162:163]
	global_load_ushort v10, v[4:5], off
	v_lshl_add_u64 v[4:5], v[100:101], 0, v[162:163]
	global_load_ushort v11, v[4:5], off
	v_lshl_add_u64 v[4:5], v[94:95], 0, v[162:163]
	global_load_ushort v12, v[4:5], off
	v_lshl_add_u64 v[4:5], v[102:103], 0, v[162:163]
	global_load_ushort v13, v[4:5], off
	v_lshl_add_u64 v[4:5], v[98:99], 0, v[162:163]
	global_load_ushort v14, v[4:5], off
	v_lshl_add_u64 v[4:5], v[104:105], 0, v[162:163]
	global_load_ushort v15, v[4:5], off
	v_lshl_add_u64 v[4:5], v[106:107], 0, v[162:163]
	global_load_ushort v16, v[4:5], off
	v_lshl_add_u64 v[4:5], v[108:109], 0, v[162:163]
	global_load_ushort v17, v[4:5], off
	v_lshl_add_u64 v[4:5], v[110:111], 0, v[162:163]
	global_load_ushort v18, v[4:5], off
	v_lshl_add_u64 v[4:5], v[112:113], 0, v[162:163]
	global_load_ushort v19, v[4:5], off
	v_lshl_add_u64 v[4:5], v[114:115], 0, v[162:163]
	global_load_ushort v20, v[4:5], off
	v_lshl_add_u64 v[4:5], v[116:117], 0, v[162:163]
	global_load_ushort v21, v[4:5], off
	v_lshl_add_u64 v[4:5], v[118:119], 0, v[162:163]
	global_load_ushort v22, v[4:5], off
	v_lshl_add_u64 v[4:5], v[120:121], 0, v[162:163]
	global_load_ushort v23, v[4:5], off
	v_lshl_add_u64 v[4:5], v[122:123], 0, v[162:163]
	global_load_ushort v24, v[4:5], off
	v_lshl_add_u64 v[4:5], v[124:125], 0, v[162:163]
	global_load_ushort v25, v[4:5], off
	v_lshl_add_u64 v[4:5], v[126:127], 0, v[162:163]
	global_load_ushort v26, v[4:5], off
	v_accvgpr_read_b32 v4, a40
	v_accvgpr_read_b32 v5, a41
	v_lshl_add_u64 v[4:5], v[4:5], 0, v[162:163]
	global_load_ushort v27, v[4:5], off
	v_accvgpr_read_b32 v4, a42
	v_accvgpr_read_b32 v5, a43
	v_lshl_add_u64 v[4:5], v[4:5], 0, v[162:163]
	global_load_ushort v28, v[4:5], off
	;; [unrolled: 4-line block ×19, first 2 shown]
	v_accvgpr_write_b32 a2, v90
	v_accvgpr_write_b32 a4, v92
	;; [unrolled: 1-line block ×3, first 2 shown]
	s_waitcnt vmcnt(37)
	v_lshlrev_b32_e32 v90, 16, v8
	s_waitcnt vmcnt(36)
	v_lshlrev_b32_e32 v91, 16, v9
	v_accvgpr_write_b32 a5, v93
	s_waitcnt vmcnt(35)
	v_lshlrev_b32_e32 v92, 16, v10
	s_waitcnt vmcnt(34)
	v_lshlrev_b32_e32 v93, 16, v11
	v_accvgpr_write_b32 a38, v126
	v_accvgpr_read_b32 v8, a82
	v_accvgpr_read_b32 v10, a84
	v_lshlrev_b32_e32 v88, 16, v6
	v_lshlrev_b32_e32 v89, 16, v7
	v_accvgpr_write_b32 a39, v127
	v_accvgpr_read_b32 v6, a80
	v_accvgpr_read_b32 v9, a83
	;; [unrolled: 1-line block ×4, first 2 shown]
	v_lshl_add_u64 v[8:9], v[8:9], 0, v[162:163]
	v_lshl_add_u64 v[10:11], v[10:11], 0, v[162:163]
	;; [unrolled: 1-line block ×3, first 2 shown]
	v_accvgpr_write_b32 a6, v94
	v_accvgpr_write_b32 a8, v96
	;; [unrolled: 1-line block ×4, first 2 shown]
	s_waitcnt vmcnt(33)
	v_lshlrev_b32_e32 v94, 16, v12
	s_waitcnt vmcnt(32)
	v_lshlrev_b32_e32 v95, 16, v13
	v_accvgpr_write_b32 a9, v97
	s_waitcnt vmcnt(31)
	v_lshlrev_b32_e32 v96, 16, v14
	s_waitcnt vmcnt(30)
	v_lshlrev_b32_e32 v97, 16, v15
	v_accvgpr_write_b32 a11, v99
	;; [unrolled: 5-line block ×3, first 2 shown]
	v_accvgpr_read_b32 v12, a86
	v_accvgpr_read_b32 v14, a88
	;; [unrolled: 1-line block ×3, first 2 shown]
	v_accvgpr_write_b32 a13, v101
	s_waitcnt vmcnt(27)
	v_lshlrev_b32_e32 v100, 16, v18
	s_waitcnt vmcnt(26)
	v_lshlrev_b32_e32 v101, 16, v19
	v_accvgpr_read_b32 v13, a87
	v_accvgpr_read_b32 v15, a89
	;; [unrolled: 1-line block ×4, first 2 shown]
	v_lshl_add_u64 v[12:13], v[12:13], 0, v[162:163]
	v_lshl_add_u64 v[14:15], v[14:15], 0, v[162:163]
	;; [unrolled: 1-line block ×3, first 2 shown]
	v_accvgpr_read_b32 v19, a93
	v_lshl_add_u64 v[18:19], v[18:19], 0, v[162:163]
	v_accvgpr_write_b32 a14, v102
	v_accvgpr_write_b32 a15, v103
	s_waitcnt vmcnt(25)
	v_lshlrev_b32_e32 v102, 16, v20
	s_waitcnt vmcnt(24)
	v_lshlrev_b32_e32 v103, 16, v21
	v_accvgpr_write_b32 a18, v106
	v_accvgpr_read_b32 v20, a94
	v_accvgpr_write_b32 a16, v104
	v_accvgpr_write_b32 a19, v107
	s_waitcnt vmcnt(21)
	v_lshlrev_b32_e32 v106, 16, v24
	s_waitcnt vmcnt(20)
	v_lshlrev_b32_e32 v107, 16, v25
	v_accvgpr_write_b32 a20, v108
	v_accvgpr_read_b32 v21, a95
	v_lshl_add_u64 v[24:25], v[132:133], 0, v[162:163]
	v_accvgpr_write_b32 a17, v105
	v_lshlrev_b32_e32 v104, 16, v22
	v_lshlrev_b32_e32 v105, 16, v23
	v_accvgpr_write_b32 a21, v109
	s_waitcnt vmcnt(19)
	v_lshlrev_b32_e32 v108, 16, v26
	s_waitcnt vmcnt(18)
	v_lshlrev_b32_e32 v109, 16, v27
	v_lshl_add_u64 v[20:21], v[20:21], 0, v[162:163]
	v_lshl_add_u64 v[22:23], v[130:131], 0, v[162:163]
	;; [unrolled: 1-line block ×3, first 2 shown]
	v_accvgpr_write_b32 a26, v114
	v_accvgpr_write_b32 a22, v110
	v_accvgpr_write_b32 a24, v112
	v_accvgpr_write_b32 a27, v115
	s_waitcnt vmcnt(13)
	v_lshlrev_b32_e32 v114, 16, v32
	s_waitcnt vmcnt(12)
	v_lshlrev_b32_e32 v115, 16, v33
	v_accvgpr_write_b32 a28, v116
	v_lshl_add_u64 v[32:33], v[140:141], 0, v[162:163]
	s_waitcnt vmcnt(0)
	v_lshlrev_b32_e32 v127, 16, v4
	v_accvgpr_read_b32 v4, a78
	v_accvgpr_read_b32 v5, a79
	v_lshl_add_u64 v[4:5], v[4:5], 0, v[162:163]
	global_load_ushort v8, v[8:9], off
	s_nop 0
	global_load_ushort v9, v[4:5], off
	s_nop 0
	;; [unrolled: 2-line block ×8, first 2 shown]
	global_load_ushort v15, v[24:25], off
	global_load_ushort v17, v[20:21], off
	;; [unrolled: 1-line block ×4, first 2 shown]
	ds_bpermute_b32 v128, v84, v3
	v_accvgpr_write_b32 a23, v111
	v_lshlrev_b32_e32 v110, 16, v28
	v_lshlrev_b32_e32 v111, 16, v29
	v_accvgpr_write_b32 a25, v113
	v_lshlrev_b32_e32 v112, 16, v30
	v_lshlrev_b32_e32 v113, 16, v31
	v_accvgpr_write_b32 a29, v117
	v_lshlrev_b32_e32 v116, 16, v34
	v_lshlrev_b32_e32 v117, 16, v35
	v_lshl_add_u64 v[28:29], v[136:137], 0, v[162:163]
	v_lshl_add_u64 v[30:31], v[138:139], 0, v[162:163]
	;; [unrolled: 1-line block ×3, first 2 shown]
	global_load_ushort v20, v[32:33], off
	global_load_ushort v21, v[28:29], off
	;; [unrolled: 1-line block ×4, first 2 shown]
	v_mul_f32_e32 v88, v88, v89
	s_waitcnt lgkmcnt(0)
	v_fmac_f32_e32 v85, v88, v128
	ds_bpermute_b32 v88, v84, v3 offset:4
	v_accvgpr_write_b32 a34, v122
	v_mul_f32_e32 v89, v90, v91
	ds_bpermute_b32 v90, v84, v3 offset:8
	v_accvgpr_write_b32 a30, v118
	v_accvgpr_write_b32 a32, v120
	;; [unrolled: 1-line block ×3, first 2 shown]
	v_lshlrev_b32_e32 v122, 16, v74
	v_lshlrev_b32_e32 v123, 16, v75
	v_accvgpr_write_b32 a36, v124
	v_lshl_add_u64 v[74:75], v[148:149], 0, v[162:163]
	v_accvgpr_write_b32 a31, v119
	v_lshlrev_b32_e32 v118, 16, v70
	v_lshlrev_b32_e32 v119, 16, v71
	v_accvgpr_write_b32 a33, v121
	v_lshlrev_b32_e32 v120, 16, v72
	v_lshlrev_b32_e32 v121, 16, v73
	;; [unrolled: 3-line block ×3, first 2 shown]
	v_lshl_add_u64 v[70:71], v[144:145], 0, v[162:163]
	v_lshl_add_u64 v[72:73], v[146:147], 0, v[162:163]
	;; [unrolled: 1-line block ×3, first 2 shown]
	global_load_ushort v24, v[74:75], off
	global_load_ushort v25, v[70:71], off
	;; [unrolled: 1-line block ×4, first 2 shown]
	s_waitcnt lgkmcnt(1)
	v_fmac_f32_e32 v85, v89, v88
	v_mul_f32_e32 v4, v92, v93
	s_waitcnt lgkmcnt(0)
	v_fmac_f32_e32 v85, v4, v90
	ds_bpermute_b32 v4, v84, v3 offset:12
	ds_bpermute_b32 v6, v84, v3 offset:16
	v_lshl_add_u64 v[82:83], v[156:157], 0, v[162:163]
	v_lshlrev_b32_e32 v126, 16, v78
	v_lshl_add_u64 v[78:79], v[152:153], 0, v[162:163]
	v_lshl_add_u64 v[80:81], v[154:155], 0, v[162:163]
	;; [unrolled: 1-line block ×3, first 2 shown]
	v_mul_f32_e32 v5, v94, v95
	global_load_ushort v28, v[82:83], off
	global_load_ushort v29, v[78:79], off
	;; [unrolled: 1-line block ×4, first 2 shown]
	s_waitcnt lgkmcnt(1)
	v_fmac_f32_e32 v85, v5, v4
	v_mul_f32_e32 v4, v96, v97
	s_waitcnt lgkmcnt(0)
	v_fmac_f32_e32 v85, v4, v6
	ds_bpermute_b32 v4, v84, v3 offset:20
	ds_bpermute_b32 v6, v84, v3 offset:24
	v_mul_f32_e32 v5, v98, v99
	ds_bpermute_b32 v7, v84, v3 offset:76
	v_accvgpr_read_b32 v93, a5
	s_waitcnt lgkmcnt(2)
	v_fmac_f32_e32 v85, v5, v4
	v_mul_f32_e32 v4, v100, v101
	s_waitcnt lgkmcnt(1)
	v_fmac_f32_e32 v85, v4, v6
	ds_bpermute_b32 v4, v84, v3 offset:28
	ds_bpermute_b32 v6, v84, v3 offset:32
	v_mul_f32_e32 v5, v102, v103
	v_accvgpr_read_b32 v91, a3
	v_accvgpr_read_b32 v95, a7
	s_waitcnt lgkmcnt(1)
	v_fmac_f32_e32 v85, v5, v4
	v_mul_f32_e32 v4, v104, v105
	s_waitcnt lgkmcnt(0)
	v_fmac_f32_e32 v85, v4, v6
	ds_bpermute_b32 v4, v84, v3 offset:36
	ds_bpermute_b32 v6, v84, v3 offset:40
	v_mul_f32_e32 v5, v106, v107
	v_accvgpr_read_b32 v97, a9
	;; [unrolled: 10-line block ×3, first 2 shown]
	v_accvgpr_read_b32 v103, a15
	s_waitcnt lgkmcnt(1)
	v_fmac_f32_e32 v85, v5, v4
	ds_bpermute_b32 v4, v84, v3 offset:52
	v_mul_f32_e32 v5, v112, v113
	s_waitcnt lgkmcnt(1)
	v_fmac_f32_e32 v85, v5, v6
	ds_bpermute_b32 v5, v84, v3 offset:56
	v_mul_f32_e32 v6, v114, v115
	;; [unrolled: 4-line block ×4, first 2 shown]
	s_waitcnt lgkmcnt(1)
	v_fmac_f32_e32 v85, v6, v4
	v_mul_f32_e32 v4, v120, v121
	ds_bpermute_b32 v6, v84, v3 offset:68
	s_waitcnt lgkmcnt(1)
	v_fmac_f32_e32 v85, v4, v5
	ds_bpermute_b32 v4, v84, v3 offset:72
	v_mul_f32_e32 v5, v122, v123
	v_accvgpr_read_b32 v105, a17
	s_waitcnt lgkmcnt(1)
	v_fmac_f32_e32 v85, v5, v6
	v_mul_f32_e32 v5, v124, v125
	s_waitcnt lgkmcnt(0)
	v_fmac_f32_e32 v85, v5, v4
	v_mul_f32_e32 v4, v126, v127
	v_fmac_f32_e32 v85, v4, v7
	ds_bpermute_b32 v4, v84, v3 offset:80
	ds_bpermute_b32 v5, v84, v3 offset:84
	s_waitcnt vmcnt(23)
	v_lshlrev_b32_e32 v7, 16, v8
	s_waitcnt vmcnt(22)
	v_lshlrev_b32_e32 v6, 16, v9
	;; [unrolled: 2-line block ×4, first 2 shown]
	v_pk_mul_f32 v[6:7], v[6:7], v[8:9]
	s_waitcnt vmcnt(17)
	v_lshlrev_b32_e32 v9, 16, v13
	s_waitcnt lgkmcnt(0)
	v_pk_mul_f32 v[4:5], v[6:7], v[4:5]
	v_lshlrev_b32_e32 v7, 16, v16
	v_add_f32_e32 v4, v85, v4
	v_add_f32_e32 v10, v4, v5
	ds_bpermute_b32 v4, v84, v3 offset:88
	ds_bpermute_b32 v5, v84, v3 offset:92
	v_lshlrev_b32_e32 v6, 16, v12
	s_waitcnt vmcnt(16)
	v_lshlrev_b32_e32 v8, 16, v14
	v_pk_mul_f32 v[6:7], v[6:7], v[8:9]
	s_waitcnt vmcnt(13)
	v_lshlrev_b32_e32 v9, 16, v18
	s_waitcnt lgkmcnt(0)
	v_pk_mul_f32 v[4:5], v[6:7], v[4:5]
	v_lshlrev_b32_e32 v7, 16, v15
	v_add_f32_e32 v4, v10, v4
	v_add_f32_e32 v10, v4, v5
	ds_bpermute_b32 v4, v84, v3 offset:96
	ds_bpermute_b32 v5, v84, v3 offset:100
	v_lshlrev_b32_e32 v6, 16, v17
	s_waitcnt vmcnt(12)
	v_lshlrev_b32_e32 v8, 16, v19
	;; [unrolled: 13-line block ×5, first 2 shown]
	v_pk_mul_f32 v[6:7], v[6:7], v[8:9]
	v_accvgpr_read_b32 v107, a19
	s_waitcnt lgkmcnt(0)
	v_pk_mul_f32 v[4:5], v[6:7], v[4:5]
	v_accvgpr_read_b32 v109, a21
	v_accvgpr_read_b32 v111, a23
	;; [unrolled: 1-line block ×10, first 2 shown]
	v_add_f32_e32 v3, v10, v4
	v_accvgpr_read_b32 v92, a4
	v_accvgpr_read_b32 v90, a2
	v_accvgpr_read_b32 v94, a6
	v_accvgpr_read_b32 v96, a8
	v_accvgpr_read_b32 v98, a10
	v_accvgpr_read_b32 v100, a12
	v_accvgpr_read_b32 v102, a14
	v_accvgpr_read_b32 v104, a16
	v_accvgpr_read_b32 v106, a18
	v_accvgpr_read_b32 v108, a20
	v_accvgpr_read_b32 v110, a22
	v_accvgpr_read_b32 v112, a24
	v_accvgpr_read_b32 v114, a26
	v_accvgpr_read_b32 v116, a28
	v_accvgpr_read_b32 v118, a30
	v_accvgpr_read_b32 v120, a32
	v_accvgpr_read_b32 v122, a34
	v_accvgpr_read_b32 v124, a36
	v_accvgpr_read_b32 v126, a38
	v_add_f32_e32 v3, v3, v5
.LBB189_226:                            ;   in Loop: Header=BB189_150 Depth=1
	s_add_u32 s16, s16, s4
	s_addc_u32 s17, s17, 0
	v_mov_b64_e32 v[4:5], s[12:13]
	v_cmp_ge_i64_e32 vcc, s[16:17], v[4:5]
	v_accvgpr_read_b32 v4, a42
	v_accvgpr_read_b32 v5, a43
	v_lshl_add_u64 v[4:5], v[4:5], 0, s[24:25]
	v_accvgpr_write_b32 a43, v5
	v_accvgpr_write_b32 a42, v4
	v_accvgpr_read_b32 v4, a46
	v_accvgpr_read_b32 v5, a47
	v_lshl_add_u64 v[4:5], v[4:5], 0, s[24:25]
	v_accvgpr_write_b32 a47, v5
	v_accvgpr_write_b32 a46, v4
	;; [unrolled: 5-line block ×27, first 2 shown]
	v_accvgpr_read_b32 v4, a92
	v_accvgpr_read_b32 v5, a93
	s_add_u32 s26, s26, s4
	v_lshl_add_u64 v[164:165], v[164:165], 0, s[24:25]
	v_lshl_add_u64 v[166:167], v[166:167], 0, s[24:25]
	;; [unrolled: 1-line block ×100, first 2 shown]
	s_addc_u32 s27, 0, s27
	s_cbranch_vccnz .LBB189_228
; %bb.227:                              ;   in Loop: Header=BB189_150 Depth=1
	v_accvgpr_write_b32 a93, v5
	v_accvgpr_write_b32 a92, v4
	v_mov_b32_e32 v85, v3
	s_branch .LBB189_150
.LBB189_228:
	s_mov_b32 s3, 0
	s_lshl_b64 s[2:3], s[2:3], 6
	v_and_b32_e32 v0, 0x3ff, v129
	v_or_b32_e32 v0, s2, v0
	v_mov_b32_e32 v1, s3
	s_waitcnt lgkmcnt(0)
	s_cmp_lg_u64 s[6:7], 0
	v_cmp_gt_i64_e32 vcc, s[14:15], v[0:1]
	s_cselect_b64 s[2:3], -1, 0
	s_and_b64 s[2:3], vcc, s[2:3]
	s_and_saveexec_b64 s[4:5], s[2:3]
	s_cbranch_execz .LBB189_230
; %bb.229:
	s_load_dword s0, s[0:1], 0x4c
	v_bfe_u32 v4, v129, 10, 10
	v_mov_b32_e32 v5, 0
	v_mov_b32_e32 v2, s8
	v_cmp_o_f32_e32 vcc, v3, v3
	s_waitcnt lgkmcnt(0)
	s_lshr_b32 s0, s0, 16
	v_mad_u64_u32 v[4:5], s[0:1], s0, v2, v[4:5]
	v_bfe_u32 v2, v3, 16, 1
	s_movk_i32 s0, 0x7fff
	v_add3_u32 v2, v3, v2, s0
	v_mov_b32_e32 v3, 0x7fc0
	v_cndmask_b32_sdwa v6, v3, v2, vcc dst_sel:DWORD dst_unused:UNUSED_PAD src0_sel:DWORD src1_sel:WORD_1
	v_mul_lo_u32 v5, v5, s14
	v_mul_lo_u32 v7, v4, s15
	v_mad_u64_u32 v[2:3], s[0:1], v4, s14, 0
	v_add3_u32 v3, v3, v7, v5
	v_lshl_add_u64 v[2:3], v[2:3], 1, s[6:7]
	v_lshl_add_u64 v[0:1], v[0:1], 1, v[2:3]
	global_store_short v[0:1], v6, off
.LBB189_230:
	s_endpgm
	.section	.rodata,"a",@progbits
	.p2align	6, 0x0
	.amdhsa_kernel _ZN2at6native12_GLOBAL__N_135GammaBetaBackwardCUDAKernelTemplateIN3c108BFloat16EfLj64ELj1ELj32ELb1ELb0ELb1EEEvllPKT_S7_PKT0_SA_PS5_SB_
		.amdhsa_group_segment_fixed_size 0
		.amdhsa_private_segment_fixed_size 0
		.amdhsa_kernarg_size 320
		.amdhsa_user_sgpr_count 2
		.amdhsa_user_sgpr_dispatch_ptr 0
		.amdhsa_user_sgpr_queue_ptr 0
		.amdhsa_user_sgpr_kernarg_segment_ptr 1
		.amdhsa_user_sgpr_dispatch_id 0
		.amdhsa_user_sgpr_kernarg_preload_length 0
		.amdhsa_user_sgpr_kernarg_preload_offset 0
		.amdhsa_user_sgpr_private_segment_size 0
		.amdhsa_uses_dynamic_stack 0
		.amdhsa_enable_private_segment 0
		.amdhsa_system_sgpr_workgroup_id_x 1
		.amdhsa_system_sgpr_workgroup_id_y 1
		.amdhsa_system_sgpr_workgroup_id_z 0
		.amdhsa_system_sgpr_workgroup_info 0
		.amdhsa_system_vgpr_workitem_id 1
		.amdhsa_next_free_vgpr 352
		.amdhsa_next_free_sgpr 38
		.amdhsa_accum_offset 256
		.amdhsa_reserve_vcc 1
		.amdhsa_float_round_mode_32 0
		.amdhsa_float_round_mode_16_64 0
		.amdhsa_float_denorm_mode_32 3
		.amdhsa_float_denorm_mode_16_64 3
		.amdhsa_dx10_clamp 1
		.amdhsa_ieee_mode 1
		.amdhsa_fp16_overflow 0
		.amdhsa_tg_split 0
		.amdhsa_exception_fp_ieee_invalid_op 0
		.amdhsa_exception_fp_denorm_src 0
		.amdhsa_exception_fp_ieee_div_zero 0
		.amdhsa_exception_fp_ieee_overflow 0
		.amdhsa_exception_fp_ieee_underflow 0
		.amdhsa_exception_fp_ieee_inexact 0
		.amdhsa_exception_int_div_zero 0
	.end_amdhsa_kernel
	.section	.text._ZN2at6native12_GLOBAL__N_135GammaBetaBackwardCUDAKernelTemplateIN3c108BFloat16EfLj64ELj1ELj32ELb1ELb0ELb1EEEvllPKT_S7_PKT0_SA_PS5_SB_,"axG",@progbits,_ZN2at6native12_GLOBAL__N_135GammaBetaBackwardCUDAKernelTemplateIN3c108BFloat16EfLj64ELj1ELj32ELb1ELb0ELb1EEEvllPKT_S7_PKT0_SA_PS5_SB_,comdat
.Lfunc_end189:
	.size	_ZN2at6native12_GLOBAL__N_135GammaBetaBackwardCUDAKernelTemplateIN3c108BFloat16EfLj64ELj1ELj32ELb1ELb0ELb1EEEvllPKT_S7_PKT0_SA_PS5_SB_, .Lfunc_end189-_ZN2at6native12_GLOBAL__N_135GammaBetaBackwardCUDAKernelTemplateIN3c108BFloat16EfLj64ELj1ELj32ELb1ELb0ELb1EEEvllPKT_S7_PKT0_SA_PS5_SB_
                                        ; -- End function
	.set _ZN2at6native12_GLOBAL__N_135GammaBetaBackwardCUDAKernelTemplateIN3c108BFloat16EfLj64ELj1ELj32ELb1ELb0ELb1EEEvllPKT_S7_PKT0_SA_PS5_SB_.num_vgpr, 256
	.set _ZN2at6native12_GLOBAL__N_135GammaBetaBackwardCUDAKernelTemplateIN3c108BFloat16EfLj64ELj1ELj32ELb1ELb0ELb1EEEvllPKT_S7_PKT0_SA_PS5_SB_.num_agpr, 96
	.set _ZN2at6native12_GLOBAL__N_135GammaBetaBackwardCUDAKernelTemplateIN3c108BFloat16EfLj64ELj1ELj32ELb1ELb0ELb1EEEvllPKT_S7_PKT0_SA_PS5_SB_.numbered_sgpr, 38
	.set _ZN2at6native12_GLOBAL__N_135GammaBetaBackwardCUDAKernelTemplateIN3c108BFloat16EfLj64ELj1ELj32ELb1ELb0ELb1EEEvllPKT_S7_PKT0_SA_PS5_SB_.num_named_barrier, 0
	.set _ZN2at6native12_GLOBAL__N_135GammaBetaBackwardCUDAKernelTemplateIN3c108BFloat16EfLj64ELj1ELj32ELb1ELb0ELb1EEEvllPKT_S7_PKT0_SA_PS5_SB_.private_seg_size, 0
	.set _ZN2at6native12_GLOBAL__N_135GammaBetaBackwardCUDAKernelTemplateIN3c108BFloat16EfLj64ELj1ELj32ELb1ELb0ELb1EEEvllPKT_S7_PKT0_SA_PS5_SB_.uses_vcc, 1
	.set _ZN2at6native12_GLOBAL__N_135GammaBetaBackwardCUDAKernelTemplateIN3c108BFloat16EfLj64ELj1ELj32ELb1ELb0ELb1EEEvllPKT_S7_PKT0_SA_PS5_SB_.uses_flat_scratch, 0
	.set _ZN2at6native12_GLOBAL__N_135GammaBetaBackwardCUDAKernelTemplateIN3c108BFloat16EfLj64ELj1ELj32ELb1ELb0ELb1EEEvllPKT_S7_PKT0_SA_PS5_SB_.has_dyn_sized_stack, 0
	.set _ZN2at6native12_GLOBAL__N_135GammaBetaBackwardCUDAKernelTemplateIN3c108BFloat16EfLj64ELj1ELj32ELb1ELb0ELb1EEEvllPKT_S7_PKT0_SA_PS5_SB_.has_recursion, 0
	.set _ZN2at6native12_GLOBAL__N_135GammaBetaBackwardCUDAKernelTemplateIN3c108BFloat16EfLj64ELj1ELj32ELb1ELb0ELb1EEEvllPKT_S7_PKT0_SA_PS5_SB_.has_indirect_call, 0
	.section	.AMDGPU.csdata,"",@progbits
; Kernel info:
; codeLenInByte = 23584
; TotalNumSgprs: 44
; NumVgprs: 256
; NumAgprs: 96
; TotalNumVgprs: 352
; ScratchSize: 0
; MemoryBound: 0
; FloatMode: 240
; IeeeMode: 1
; LDSByteSize: 0 bytes/workgroup (compile time only)
; SGPRBlocks: 5
; VGPRBlocks: 43
; NumSGPRsForWavesPerEU: 44
; NumVGPRsForWavesPerEU: 352
; AccumOffset: 256
; Occupancy: 1
; WaveLimiterHint : 0
; COMPUTE_PGM_RSRC2:SCRATCH_EN: 0
; COMPUTE_PGM_RSRC2:USER_SGPR: 2
; COMPUTE_PGM_RSRC2:TRAP_HANDLER: 0
; COMPUTE_PGM_RSRC2:TGID_X_EN: 1
; COMPUTE_PGM_RSRC2:TGID_Y_EN: 1
; COMPUTE_PGM_RSRC2:TGID_Z_EN: 0
; COMPUTE_PGM_RSRC2:TIDIG_COMP_CNT: 1
; COMPUTE_PGM_RSRC3_GFX90A:ACCUM_OFFSET: 63
; COMPUTE_PGM_RSRC3_GFX90A:TG_SPLIT: 0
	.section	.text._ZN2at6native12_GLOBAL__N_135GammaBetaBackwardCUDAKernelTemplateIN3c108BFloat16EfLj64ELj1ELj8ELb1ELb1ELb1EEEvllPKT_S7_PKT0_SA_PS5_SB_,"axG",@progbits,_ZN2at6native12_GLOBAL__N_135GammaBetaBackwardCUDAKernelTemplateIN3c108BFloat16EfLj64ELj1ELj8ELb1ELb1ELb1EEEvllPKT_S7_PKT0_SA_PS5_SB_,comdat
	.globl	_ZN2at6native12_GLOBAL__N_135GammaBetaBackwardCUDAKernelTemplateIN3c108BFloat16EfLj64ELj1ELj8ELb1ELb1ELb1EEEvllPKT_S7_PKT0_SA_PS5_SB_ ; -- Begin function _ZN2at6native12_GLOBAL__N_135GammaBetaBackwardCUDAKernelTemplateIN3c108BFloat16EfLj64ELj1ELj8ELb1ELb1ELb1EEEvllPKT_S7_PKT0_SA_PS5_SB_
	.p2align	8
	.type	_ZN2at6native12_GLOBAL__N_135GammaBetaBackwardCUDAKernelTemplateIN3c108BFloat16EfLj64ELj1ELj8ELb1ELb1ELb1EEEvllPKT_S7_PKT0_SA_PS5_SB_,@function
_ZN2at6native12_GLOBAL__N_135GammaBetaBackwardCUDAKernelTemplateIN3c108BFloat16EfLj64ELj1ELj8ELb1ELb1ELb1EEEvllPKT_S7_PKT0_SA_PS5_SB_: ; @_ZN2at6native12_GLOBAL__N_135GammaBetaBackwardCUDAKernelTemplateIN3c108BFloat16EfLj64ELj1ELj8ELb1ELb1ELb1EEEvllPKT_S7_PKT0_SA_PS5_SB_
; %bb.0:
	s_load_dwordx4 s[8:11], s[0:1], 0x0
	s_load_dwordx2 s[16:17], s[0:1], 0x30
	s_lshl_b32 s18, s3, 3
	s_mov_b32 s19, 0
	v_mov_b64_e32 v[2:3], s[18:19]
	s_waitcnt lgkmcnt(0)
	v_cmp_le_i64_e32 vcc, s[8:9], v[2:3]
	s_mov_b32 s6, s3
	v_mov_b32_e32 v5, 0
	v_bfe_u32 v2, v0, 10, 10
	s_cbranch_vccnz .LBB190_7
; %bb.1:
	s_load_dword s3, s[0:1], 0x4c
	s_load_dword s7, s[0:1], 0x44
	s_load_dwordx4 s[12:15], s[0:1], 0x10
	s_load_dwordx2 s[22:23], s[0:1], 0x28
	v_and_b32_e32 v1, 0x3ff, v0
	s_waitcnt lgkmcnt(0)
	s_and_b32 s3, s3, 0xffff
	v_mad_u32_u24 v3, v2, s3, v1
	v_lshlrev_b32_e32 v4, 3, v2
	v_mov_b32_e32 v5, 0
	v_lshl_or_b32 v10, s2, 6, v1
	v_mbcnt_lo_u32_b32 v1, -1, 0
	v_and_b32_e32 v6, 63, v3
	v_mov_b32_e32 v7, v5
	v_mbcnt_hi_u32_b32 v1, -1, v1
	s_lshl_b32 s20, s7, 3
	v_lshl_add_u64 v[12:13], v[4:5], 0, s[18:19]
	v_cmp_gt_u32_e64 s[4:5], 8, v6
	v_mov_b32_e32 v11, v5
	v_lshlrev_b32_e32 v1, 2, v1
	v_lshl_add_u64 v[6:7], v[12:13], 0, v[6:7]
	v_mul_lo_u32 v4, s11, v12
	v_mul_lo_u32 v20, s10, v13
	v_mad_u64_u32 v[12:13], s[24:25], s10, v12, 0
	s_mul_i32 s3, s11, s20
	s_mul_hi_u32 s7, s10, s20
	v_and_b32_e32 v1, 0x100, v1
	s_mov_b32 s21, s19
	v_add3_u32 v13, v13, v20, v4
	v_lshlrev_b64 v[10:11], 1, v[10:11]
	s_add_i32 s25, s7, s3
	s_mul_i32 s24, s10, s20
	v_or_b32_e32 v3, 4, v1
	v_or_b32_e32 v14, 8, v1
	;; [unrolled: 1-line block ×7, first 2 shown]
	v_lshl_add_u64 v[8:9], v[6:7], 2, s[22:23]
	s_lshl_b64 s[22:23], s[20:21], 2
	v_lshl_add_u64 v[10:11], v[12:13], 1, v[10:11]
	s_lshl_b64 s[24:25], s[24:25], 1
	s_lshl_b64 s[26:27], s[10:11], 1
	v_mov_b64_e32 v[12:13], s[8:9]
	s_branch .LBB190_4
.LBB190_2:                              ;   in Loop: Header=BB190_4 Depth=1
	s_or_b64 exec, exec, s[30:31]
.LBB190_3:                              ;   in Loop: Header=BB190_4 Depth=1
	s_or_b64 exec, exec, s[28:29]
	v_lshl_add_u64 v[20:21], s[12:13], 0, v[10:11]
	v_lshl_add_u64 v[22:23], s[14:15], 0, v[10:11]
	;; [unrolled: 1-line block ×5, first 2 shown]
	global_load_ushort v32, v[20:21], off
	global_load_ushort v33, v[22:23], off
	;; [unrolled: 1-line block ×4, first 2 shown]
	v_lshl_add_u64 v[30:31], v[26:27], 0, s[26:27]
	v_lshl_add_u64 v[20:21], v[28:29], 0, s[26:27]
	global_load_ushort v36, v[28:29], off
	global_load_ushort v37, v[30:31], off
	v_lshl_add_u64 v[22:23], v[30:31], 0, s[26:27]
	global_load_ushort v38, v[20:21], off
	global_load_ushort v39, v[22:23], off
	v_lshl_add_u64 v[20:21], v[20:21], 0, s[26:27]
	v_lshl_add_u64 v[22:23], v[22:23], 0, s[26:27]
	global_load_ushort v40, v[20:21], off
	global_load_ushort v41, v[22:23], off
	v_lshl_add_u64 v[20:21], v[20:21], 0, s[26:27]
	;; [unrolled: 4-line block ×4, first 2 shown]
	v_lshl_add_u64 v[22:23], v[22:23], 0, s[26:27]
	global_load_ushort v46, v[20:21], off
	global_load_ushort v47, v[22:23], off
	s_waitcnt vmcnt(16)
	ds_bpermute_b32 v20, v1, v4
	ds_bpermute_b32 v21, v3, v4
	;; [unrolled: 1-line block ×8, first 2 shown]
	s_add_u32 s18, s18, s20
	s_addc_u32 s19, s19, 0
	v_cmp_lt_i64_e32 vcc, s[18:19], v[12:13]
	v_lshl_add_u64 v[8:9], v[8:9], 0, s[22:23]
	v_lshl_add_u64 v[6:7], v[6:7], 0, s[20:21]
	;; [unrolled: 1-line block ×3, first 2 shown]
	s_and_b64 vcc, exec, vcc
	s_waitcnt vmcnt(15)
	v_lshlrev_b32_e32 v28, 16, v32
	s_waitcnt vmcnt(14)
	v_lshlrev_b32_e32 v30, 16, v33
	;; [unrolled: 2-line block ×4, first 2 shown]
	v_pk_mul_f32 v[28:29], v[28:29], v[30:31]
	s_waitcnt vmcnt(11)
	v_lshlrev_b32_e32 v30, 16, v36
	s_waitcnt vmcnt(10)
	v_lshlrev_b32_e32 v32, 16, v37
	s_waitcnt lgkmcnt(6)
	v_pk_mul_f32 v[20:21], v[28:29], v[20:21]
	s_waitcnt vmcnt(9)
	v_lshlrev_b32_e32 v31, 16, v38
	s_waitcnt vmcnt(8)
	v_lshlrev_b32_e32 v33, 16, v39
	v_add_f32_e32 v29, v5, v20
	v_pk_mul_f32 v[4:5], v[30:31], v[32:33]
	s_waitcnt vmcnt(7)
	v_lshlrev_b32_e32 v20, 16, v40
	s_waitcnt vmcnt(6)
	v_lshlrev_b32_e32 v28, 16, v41
	v_add_f32_e32 v30, v29, v21
	s_waitcnt lgkmcnt(4)
	v_pk_mul_f32 v[4:5], v[4:5], v[22:23]
	s_waitcnt vmcnt(5)
	v_lshlrev_b32_e32 v21, 16, v42
	s_waitcnt vmcnt(4)
	v_lshlrev_b32_e32 v29, 16, v43
	v_add_f32_e32 v23, v30, v4
	v_pk_mul_f32 v[20:21], v[20:21], v[28:29]
	s_waitcnt vmcnt(3)
	v_lshlrev_b32_e32 v4, 16, v44
	s_waitcnt vmcnt(2)
	v_lshlrev_b32_e32 v22, 16, v45
	v_add_f32_e32 v28, v23, v5
	s_waitcnt lgkmcnt(2)
	v_pk_mul_f32 v[20:21], v[20:21], v[24:25]
	s_waitcnt vmcnt(1)
	v_lshlrev_b32_e32 v5, 16, v46
	s_waitcnt vmcnt(0)
	v_lshlrev_b32_e32 v23, 16, v47
	v_add_f32_e32 v20, v28, v20
	v_pk_mul_f32 v[4:5], v[4:5], v[22:23]
	v_add_f32_e32 v20, v20, v21
	s_waitcnt lgkmcnt(0)
	v_pk_mul_f32 v[4:5], v[4:5], v[26:27]
	s_nop 0
	v_add_f32_e32 v4, v20, v4
	v_add_f32_e32 v5, v4, v5
	s_cbranch_vccz .LBB190_7
.LBB190_4:                              ; =>This Inner Loop Header: Depth=1
	v_mov_b32_e32 v4, 0
	s_and_saveexec_b64 s[28:29], s[4:5]
	s_cbranch_execz .LBB190_3
; %bb.5:                                ;   in Loop: Header=BB190_4 Depth=1
	v_cmp_gt_i64_e32 vcc, s[8:9], v[6:7]
	v_mov_b32_e32 v4, 0
	s_and_saveexec_b64 s[30:31], vcc
	s_cbranch_execz .LBB190_2
; %bb.6:                                ;   in Loop: Header=BB190_4 Depth=1
	global_load_dword v4, v[8:9], off
	s_branch .LBB190_2
.LBB190_7:
	s_cmp_eq_u64 s[16:17], 0
	s_cbranch_scc1 .LBB190_9
; %bb.8:
	s_load_dword s0, s[0:1], 0x4c
	v_mov_b32_e32 v3, 0
	v_mov_b32_e32 v1, s6
	v_cmp_o_f32_e32 vcc, v5, v5
	s_mov_b32 s3, 0
	s_waitcnt lgkmcnt(0)
	s_lshr_b32 s0, s0, 16
	v_mad_u64_u32 v[6:7], s[0:1], s0, v1, v[2:3]
	v_bfe_u32 v1, v5, 16, 1
	s_movk_i32 s0, 0x7fff
	v_add3_u32 v1, v5, v1, s0
	v_lshrrev_b32_e32 v1, 16, v1
	v_mov_b32_e32 v2, 0x7fc0
	v_cndmask_b32_e32 v8, v2, v1, vcc
	v_mul_lo_u32 v1, v7, s10
	v_mul_lo_u32 v2, v6, s11
	v_mad_u64_u32 v[4:5], s[0:1], v6, s10, 0
	v_add3_u32 v5, v5, v2, v1
	v_lshl_add_u64 v[4:5], v[4:5], 1, s[16:17]
	s_lshl_b64 s[0:1], s[2:3], 7
	v_and_b32_e32 v0, 0x3ff, v0
	v_lshl_add_u64 v[4:5], v[4:5], 0, s[0:1]
	v_lshlrev_b32_e32 v2, 1, v0
	v_lshl_add_u64 v[0:1], v[4:5], 0, v[2:3]
	global_store_short v[0:1], v8, off
.LBB190_9:
	s_endpgm
	.section	.rodata,"a",@progbits
	.p2align	6, 0x0
	.amdhsa_kernel _ZN2at6native12_GLOBAL__N_135GammaBetaBackwardCUDAKernelTemplateIN3c108BFloat16EfLj64ELj1ELj8ELb1ELb1ELb1EEEvllPKT_S7_PKT0_SA_PS5_SB_
		.amdhsa_group_segment_fixed_size 0
		.amdhsa_private_segment_fixed_size 0
		.amdhsa_kernarg_size 320
		.amdhsa_user_sgpr_count 2
		.amdhsa_user_sgpr_dispatch_ptr 0
		.amdhsa_user_sgpr_queue_ptr 0
		.amdhsa_user_sgpr_kernarg_segment_ptr 1
		.amdhsa_user_sgpr_dispatch_id 0
		.amdhsa_user_sgpr_kernarg_preload_length 0
		.amdhsa_user_sgpr_kernarg_preload_offset 0
		.amdhsa_user_sgpr_private_segment_size 0
		.amdhsa_uses_dynamic_stack 0
		.amdhsa_enable_private_segment 0
		.amdhsa_system_sgpr_workgroup_id_x 1
		.amdhsa_system_sgpr_workgroup_id_y 1
		.amdhsa_system_sgpr_workgroup_id_z 0
		.amdhsa_system_sgpr_workgroup_info 0
		.amdhsa_system_vgpr_workitem_id 1
		.amdhsa_next_free_vgpr 48
		.amdhsa_next_free_sgpr 32
		.amdhsa_accum_offset 48
		.amdhsa_reserve_vcc 1
		.amdhsa_float_round_mode_32 0
		.amdhsa_float_round_mode_16_64 0
		.amdhsa_float_denorm_mode_32 3
		.amdhsa_float_denorm_mode_16_64 3
		.amdhsa_dx10_clamp 1
		.amdhsa_ieee_mode 1
		.amdhsa_fp16_overflow 0
		.amdhsa_tg_split 0
		.amdhsa_exception_fp_ieee_invalid_op 0
		.amdhsa_exception_fp_denorm_src 0
		.amdhsa_exception_fp_ieee_div_zero 0
		.amdhsa_exception_fp_ieee_overflow 0
		.amdhsa_exception_fp_ieee_underflow 0
		.amdhsa_exception_fp_ieee_inexact 0
		.amdhsa_exception_int_div_zero 0
	.end_amdhsa_kernel
	.section	.text._ZN2at6native12_GLOBAL__N_135GammaBetaBackwardCUDAKernelTemplateIN3c108BFloat16EfLj64ELj1ELj8ELb1ELb1ELb1EEEvllPKT_S7_PKT0_SA_PS5_SB_,"axG",@progbits,_ZN2at6native12_GLOBAL__N_135GammaBetaBackwardCUDAKernelTemplateIN3c108BFloat16EfLj64ELj1ELj8ELb1ELb1ELb1EEEvllPKT_S7_PKT0_SA_PS5_SB_,comdat
.Lfunc_end190:
	.size	_ZN2at6native12_GLOBAL__N_135GammaBetaBackwardCUDAKernelTemplateIN3c108BFloat16EfLj64ELj1ELj8ELb1ELb1ELb1EEEvllPKT_S7_PKT0_SA_PS5_SB_, .Lfunc_end190-_ZN2at6native12_GLOBAL__N_135GammaBetaBackwardCUDAKernelTemplateIN3c108BFloat16EfLj64ELj1ELj8ELb1ELb1ELb1EEEvllPKT_S7_PKT0_SA_PS5_SB_
                                        ; -- End function
	.set _ZN2at6native12_GLOBAL__N_135GammaBetaBackwardCUDAKernelTemplateIN3c108BFloat16EfLj64ELj1ELj8ELb1ELb1ELb1EEEvllPKT_S7_PKT0_SA_PS5_SB_.num_vgpr, 48
	.set _ZN2at6native12_GLOBAL__N_135GammaBetaBackwardCUDAKernelTemplateIN3c108BFloat16EfLj64ELj1ELj8ELb1ELb1ELb1EEEvllPKT_S7_PKT0_SA_PS5_SB_.num_agpr, 0
	.set _ZN2at6native12_GLOBAL__N_135GammaBetaBackwardCUDAKernelTemplateIN3c108BFloat16EfLj64ELj1ELj8ELb1ELb1ELb1EEEvllPKT_S7_PKT0_SA_PS5_SB_.numbered_sgpr, 32
	.set _ZN2at6native12_GLOBAL__N_135GammaBetaBackwardCUDAKernelTemplateIN3c108BFloat16EfLj64ELj1ELj8ELb1ELb1ELb1EEEvllPKT_S7_PKT0_SA_PS5_SB_.num_named_barrier, 0
	.set _ZN2at6native12_GLOBAL__N_135GammaBetaBackwardCUDAKernelTemplateIN3c108BFloat16EfLj64ELj1ELj8ELb1ELb1ELb1EEEvllPKT_S7_PKT0_SA_PS5_SB_.private_seg_size, 0
	.set _ZN2at6native12_GLOBAL__N_135GammaBetaBackwardCUDAKernelTemplateIN3c108BFloat16EfLj64ELj1ELj8ELb1ELb1ELb1EEEvllPKT_S7_PKT0_SA_PS5_SB_.uses_vcc, 1
	.set _ZN2at6native12_GLOBAL__N_135GammaBetaBackwardCUDAKernelTemplateIN3c108BFloat16EfLj64ELj1ELj8ELb1ELb1ELb1EEEvllPKT_S7_PKT0_SA_PS5_SB_.uses_flat_scratch, 0
	.set _ZN2at6native12_GLOBAL__N_135GammaBetaBackwardCUDAKernelTemplateIN3c108BFloat16EfLj64ELj1ELj8ELb1ELb1ELb1EEEvllPKT_S7_PKT0_SA_PS5_SB_.has_dyn_sized_stack, 0
	.set _ZN2at6native12_GLOBAL__N_135GammaBetaBackwardCUDAKernelTemplateIN3c108BFloat16EfLj64ELj1ELj8ELb1ELb1ELb1EEEvllPKT_S7_PKT0_SA_PS5_SB_.has_recursion, 0
	.set _ZN2at6native12_GLOBAL__N_135GammaBetaBackwardCUDAKernelTemplateIN3c108BFloat16EfLj64ELj1ELj8ELb1ELb1ELb1EEEvllPKT_S7_PKT0_SA_PS5_SB_.has_indirect_call, 0
	.section	.AMDGPU.csdata,"",@progbits
; Kernel info:
; codeLenInByte = 1152
; TotalNumSgprs: 38
; NumVgprs: 48
; NumAgprs: 0
; TotalNumVgprs: 48
; ScratchSize: 0
; MemoryBound: 0
; FloatMode: 240
; IeeeMode: 1
; LDSByteSize: 0 bytes/workgroup (compile time only)
; SGPRBlocks: 4
; VGPRBlocks: 5
; NumSGPRsForWavesPerEU: 38
; NumVGPRsForWavesPerEU: 48
; AccumOffset: 48
; Occupancy: 8
; WaveLimiterHint : 0
; COMPUTE_PGM_RSRC2:SCRATCH_EN: 0
; COMPUTE_PGM_RSRC2:USER_SGPR: 2
; COMPUTE_PGM_RSRC2:TRAP_HANDLER: 0
; COMPUTE_PGM_RSRC2:TGID_X_EN: 1
; COMPUTE_PGM_RSRC2:TGID_Y_EN: 1
; COMPUTE_PGM_RSRC2:TGID_Z_EN: 0
; COMPUTE_PGM_RSRC2:TIDIG_COMP_CNT: 1
; COMPUTE_PGM_RSRC3_GFX90A:ACCUM_OFFSET: 11
; COMPUTE_PGM_RSRC3_GFX90A:TG_SPLIT: 0
	.section	.text._ZN2at6native12_GLOBAL__N_135GammaBetaBackwardCUDAKernelTemplateIN3c108BFloat16EfLj64ELj1ELj8ELb1ELb0ELb1EEEvllPKT_S7_PKT0_SA_PS5_SB_,"axG",@progbits,_ZN2at6native12_GLOBAL__N_135GammaBetaBackwardCUDAKernelTemplateIN3c108BFloat16EfLj64ELj1ELj8ELb1ELb0ELb1EEEvllPKT_S7_PKT0_SA_PS5_SB_,comdat
	.globl	_ZN2at6native12_GLOBAL__N_135GammaBetaBackwardCUDAKernelTemplateIN3c108BFloat16EfLj64ELj1ELj8ELb1ELb0ELb1EEEvllPKT_S7_PKT0_SA_PS5_SB_ ; -- Begin function _ZN2at6native12_GLOBAL__N_135GammaBetaBackwardCUDAKernelTemplateIN3c108BFloat16EfLj64ELj1ELj8ELb1ELb0ELb1EEEvllPKT_S7_PKT0_SA_PS5_SB_
	.p2align	8
	.type	_ZN2at6native12_GLOBAL__N_135GammaBetaBackwardCUDAKernelTemplateIN3c108BFloat16EfLj64ELj1ELj8ELb1ELb0ELb1EEEvllPKT_S7_PKT0_SA_PS5_SB_,@function
_ZN2at6native12_GLOBAL__N_135GammaBetaBackwardCUDAKernelTemplateIN3c108BFloat16EfLj64ELj1ELj8ELb1ELb0ELb1EEEvllPKT_S7_PKT0_SA_PS5_SB_: ; @_ZN2at6native12_GLOBAL__N_135GammaBetaBackwardCUDAKernelTemplateIN3c108BFloat16EfLj64ELj1ELj8ELb1ELb0ELb1EEEvllPKT_S7_PKT0_SA_PS5_SB_
; %bb.0:
	s_load_dwordx8 s[12:19], s[0:1], 0x0
	s_load_dwordx2 s[10:11], s[0:1], 0x28
	s_mov_b32 s8, s3
	s_lshl_b32 s3, s2, 6
	s_mov_b32 s21, 0
	s_lshl_b32 s20, s8, 3
	s_or_b32 s4, s3, 63
	v_mov_b64_e32 v[4:5], s[20:21]
	v_mov_b32_e32 v2, s4
	v_mov_b32_e32 v3, 0
	s_waitcnt lgkmcnt(0)
	v_cmp_gt_i64_e64 s[4:5], s[12:13], v[4:5]
	v_cmp_le_i64_e32 vcc, s[14:15], v[2:3]
	s_nop 0
	v_cndmask_b32_e64 v1, 0, 1, s[4:5]
	v_cmp_ne_u32_e64 s[4:5], 1, v1
	s_cbranch_vccz .LBB191_49
; %bb.1:
	s_and_b64 vcc, exec, s[4:5]
	s_cbranch_vccnz .LBB191_50
; %bb.2:
	v_and_b32_e32 v1, 0x3ff, v0
	v_mov_b32_e32 v2, 0
	v_bfe_u32 v58, v0, 10, 10
	v_add_u32_e32 v4, s3, v1
	v_mov_b32_e32 v5, v2
	v_lshlrev_b32_e32 v20, 3, v58
	v_mov_b32_e32 v21, v2
	v_cmp_gt_i64_e64 s[6:7], s[14:15], v[4:5]
	v_lshlrev_b64 v[22:23], 1, v[4:5]
	v_lshl_add_u64 v[4:5], v[20:21], 0, s[20:21]
	v_mul_lo_u32 v3, s15, v4
	v_mul_lo_u32 v8, s14, v5
	v_mad_u64_u32 v[6:7], s[26:27], s14, v4, 0
	v_add3_u32 v7, v7, v8, v3
	v_lshlrev_b64 v[6:7], 1, v[6:7]
	v_lshl_add_u64 v[24:25], s[16:17], 0, v[6:7]
	v_lshl_add_u64 v[26:27], s[18:19], 0, v[6:7]
	v_lshl_add_u64 v[6:7], v[4:5], 0, 7
	v_mul_lo_u32 v9, s15, v6
	v_mul_lo_u32 v10, s14, v7
	v_mad_u64_u32 v[6:7], s[30:31], s14, v6, 0
	v_add3_u32 v7, v7, v10, v9
	v_lshlrev_b64 v[6:7], 1, v[6:7]
	v_lshl_add_u64 v[28:29], s[16:17], 0, v[6:7]
	v_lshl_add_u64 v[30:31], s[18:19], 0, v[6:7]
	v_lshl_add_u64 v[6:7], v[4:5], 0, 6
	v_mul_lo_u32 v9, s15, v6
	v_mul_lo_u32 v10, s14, v7
	v_mad_u64_u32 v[6:7], s[30:31], s14, v6, 0
	v_add3_u32 v7, v7, v10, v9
	v_lshlrev_b64 v[6:7], 1, v[6:7]
	v_lshl_add_u64 v[32:33], s[16:17], 0, v[6:7]
	v_lshl_add_u64 v[34:35], s[18:19], 0, v[6:7]
	v_lshl_add_u64 v[6:7], v[4:5], 0, 5
	v_mul_lo_u32 v9, s15, v6
	v_mul_lo_u32 v10, s14, v7
	v_mad_u64_u32 v[6:7], s[30:31], s14, v6, 0
	v_add3_u32 v7, v7, v10, v9
	v_lshlrev_b64 v[6:7], 1, v[6:7]
	v_lshl_add_u64 v[36:37], s[16:17], 0, v[6:7]
	v_lshl_add_u64 v[38:39], s[18:19], 0, v[6:7]
	v_lshl_add_u64 v[6:7], v[4:5], 0, 4
	v_mul_lo_u32 v9, s15, v6
	v_mul_lo_u32 v10, s14, v7
	v_mad_u64_u32 v[6:7], s[30:31], s14, v6, 0
	v_add3_u32 v7, v7, v10, v9
	v_lshlrev_b64 v[6:7], 1, v[6:7]
	v_lshl_add_u64 v[40:41], s[16:17], 0, v[6:7]
	v_lshl_add_u64 v[42:43], s[18:19], 0, v[6:7]
	v_lshl_add_u64 v[6:7], v[4:5], 0, 3
	v_mul_lo_u32 v9, s15, v6
	v_mul_lo_u32 v10, s14, v7
	v_mad_u64_u32 v[6:7], s[30:31], s14, v6, 0
	v_add3_u32 v7, v7, v10, v9
	v_lshlrev_b64 v[6:7], 1, v[6:7]
	v_lshl_add_u64 v[44:45], s[16:17], 0, v[6:7]
	v_lshl_add_u64 v[46:47], s[18:19], 0, v[6:7]
	v_lshl_add_u64 v[6:7], v[4:5], 0, 2
	s_load_dword s9, s[0:1], 0x44
	v_mul_lo_u32 v5, s15, v6
	v_mul_lo_u32 v9, s14, v7
	v_mad_u64_u32 v[6:7], s[30:31], s14, v6, 0
	v_add3_u32 v7, v7, v9, v5
	v_lshlrev_b64 v[6:7], 1, v[6:7]
	v_lshl_add_u64 v[48:49], s[16:17], 0, v[6:7]
	v_lshl_add_u64 v[50:51], s[18:19], 0, v[6:7]
	v_mov_b64_e32 v[6:7], s[14:15]
	s_add_u32 s24, s0, 64
	v_mad_u64_u32 v[4:5], s[30:31], s14, v4, v[6:7]
	s_addc_u32 s25, s1, 0
	s_waitcnt lgkmcnt(0)
	s_lshl_b32 s22, s9, 3
	v_add3_u32 v5, v3, v5, v8
	v_mbcnt_lo_u32_b32 v3, -1, 0
	s_mul_i32 s9, s15, s22
	s_mul_hi_u32 s26, s14, s22
	v_mbcnt_hi_u32_b32 v3, -1, v3
	s_add_i32 s27, s26, s9
	s_mul_i32 s26, s14, s22
	v_lshlrev_b64 v[4:5], 1, v[4:5]
	v_lshlrev_b32_e32 v3, 2, v3
	s_mov_b32 s23, 0
	s_lshl_b64 s[26:27], s[26:27], 1
	s_mov_b64 s[28:29], 7
	v_lshl_add_u64 v[52:53], s[16:17], 0, v[4:5]
	v_lshl_add_u64 v[54:55], s[18:19], 0, v[4:5]
	v_and_b32_e32 v59, 0x100, v3
	s_mov_b64 s[30:31], s[20:21]
	v_mov_b32_e32 v60, 0
.LBB191_3:                              ; =>This Inner Loop Header: Depth=1
	s_add_u32 s34, s20, s28
	s_addc_u32 s35, 0, s29
	v_mov_b64_e32 v[4:5], s[12:13]
	v_cmp_ge_i64_e32 vcc, s[34:35], v[4:5]
	v_lshl_add_u64 v[56:57], s[20:21], 0, v[20:21]
	s_mov_b64 s[34:35], -1
	s_and_b64 vcc, exec, vcc
                                        ; implicit-def: $vgpr4_vgpr5_vgpr6_vgpr7_vgpr8_vgpr9_vgpr10_vgpr11
                                        ; implicit-def: $vgpr3
                                        ; implicit-def: $vgpr12_vgpr13_vgpr14_vgpr15_vgpr16_vgpr17_vgpr18_vgpr19
                                        ; implicit-def: $vgpr4
	s_cbranch_vccz .LBB191_25
; %bb.4:                                ;   in Loop: Header=BB191_3 Depth=1
	s_load_dword s9, s[24:25], 0xc
	v_mov_b32_e32 v61, 0
	s_waitcnt lgkmcnt(0)
	s_and_b32 s9, s9, 0xffff
	v_mad_u32_u24 v3, v58, s9, v1
	v_and_b32_e32 v4, 63, v3
	v_cmp_gt_u32_e32 vcc, 8, v4
	s_and_saveexec_b64 s[34:35], vcc
	s_cbranch_execz .LBB191_8
; %bb.5:                                ;   in Loop: Header=BB191_3 Depth=1
	v_mov_b32_e32 v5, v2
	v_lshl_add_u64 v[4:5], v[56:57], 0, v[4:5]
	v_cmp_gt_i64_e32 vcc, s[12:13], v[4:5]
	v_mov_b32_e32 v61, 0
	s_and_saveexec_b64 s[36:37], vcc
	s_cbranch_execz .LBB191_7
; %bb.6:                                ;   in Loop: Header=BB191_3 Depth=1
	v_lshl_add_u64 v[4:5], v[4:5], 2, s[10:11]
	global_load_dword v61, v[4:5], off
.LBB191_7:                              ;   in Loop: Header=BB191_3 Depth=1
	s_or_b64 exec, exec, s[36:37]
.LBB191_8:                              ;   in Loop: Header=BB191_3 Depth=1
	s_or_b64 exec, exec, s[34:35]
	v_mov_b32_e32 v8, v2
	v_mov_b32_e32 v9, v2
	;; [unrolled: 1-line block ×7, first 2 shown]
	v_mov_b64_e32 v[18:19], v[8:9]
	v_cmp_gt_i64_e32 vcc, s[12:13], v[56:57]
	v_mov_b64_e32 v[16:17], v[6:7]
	v_mov_b64_e32 v[14:15], v[4:5]
	;; [unrolled: 1-line block ×4, first 2 shown]
	s_and_b64 s[36:37], s[6:7], vcc
	v_mov_b64_e32 v[8:9], v[6:7]
	v_mov_b64_e32 v[6:7], v[4:5]
	;; [unrolled: 1-line block ×3, first 2 shown]
	s_and_saveexec_b64 s[34:35], s[36:37]
	s_cbranch_execz .LBB191_10
; %bb.9:                                ;   in Loop: Header=BB191_3 Depth=1
	v_lshl_add_u64 v[4:5], v[24:25], 0, v[22:23]
	global_load_ushort v3, v[4:5], off
	v_lshl_add_u64 v[4:5], v[26:27], 0, v[22:23]
	global_load_ushort v12, v[4:5], off
	v_mov_b32_e32 v5, v2
	v_mov_b32_e32 v6, v2
	;; [unrolled: 1-line block ×14, first 2 shown]
	s_waitcnt vmcnt(1)
	v_lshlrev_b32_e32 v4, 16, v3
	s_waitcnt vmcnt(0)
	v_lshlrev_b32_e32 v12, 16, v12
.LBB191_10:                             ;   in Loop: Header=BB191_3 Depth=1
	s_or_b64 exec, exec, s[34:35]
	v_lshl_add_u64 v[62:63], v[56:57], 0, 1
	v_cmp_gt_i64_e32 vcc, s[12:13], v[62:63]
	s_and_b64 s[36:37], s[6:7], vcc
	s_and_saveexec_b64 s[34:35], s[36:37]
	s_cbranch_execz .LBB191_12
; %bb.11:                               ;   in Loop: Header=BB191_3 Depth=1
	v_lshl_add_u64 v[62:63], v[52:53], 0, v[22:23]
	global_load_ushort v3, v[62:63], off
	v_lshl_add_u64 v[62:63], v[54:55], 0, v[22:23]
	global_load_ushort v13, v[62:63], off
	s_waitcnt vmcnt(1)
	v_lshlrev_b32_e32 v5, 16, v3
	s_waitcnt vmcnt(0)
	v_lshlrev_b32_e32 v13, 16, v13
.LBB191_12:                             ;   in Loop: Header=BB191_3 Depth=1
	s_or_b64 exec, exec, s[34:35]
	v_lshl_add_u64 v[62:63], v[56:57], 0, 2
	v_cmp_gt_i64_e32 vcc, s[12:13], v[62:63]
	s_and_b64 s[36:37], s[6:7], vcc
	s_and_saveexec_b64 s[34:35], s[36:37]
	s_cbranch_execz .LBB191_14
; %bb.13:                               ;   in Loop: Header=BB191_3 Depth=1
	v_lshl_add_u64 v[62:63], v[48:49], 0, v[22:23]
	global_load_ushort v3, v[62:63], off
	v_lshl_add_u64 v[62:63], v[50:51], 0, v[22:23]
	global_load_ushort v14, v[62:63], off
	s_waitcnt vmcnt(1)
	v_lshlrev_b32_e32 v6, 16, v3
	s_waitcnt vmcnt(0)
	v_lshlrev_b32_e32 v14, 16, v14
.LBB191_14:                             ;   in Loop: Header=BB191_3 Depth=1
	;; [unrolled: 16-line block ×7, first 2 shown]
	s_or_b64 exec, exec, s[34:35]
	s_waitcnt vmcnt(0)
	ds_bpermute_b32 v3, v59, v61
	ds_bpermute_b32 v62, v59, v61 offset:4
	ds_bpermute_b32 v63, v59, v61 offset:8
	v_mul_f32_e32 v4, v12, v4
	v_pk_mul_f32 v[8:9], v[16:17], v[8:9]
	s_waitcnt lgkmcnt(2)
	v_fma_f32 v16, v4, v3, v60
	v_pk_mul_f32 v[6:7], v[14:15], v[6:7]
	v_mul_f32_e32 v3, v13, v5
	ds_bpermute_b32 v14, v59, v61 offset:12
	ds_bpermute_b32 v15, v59, v61 offset:16
	v_pk_mov_b32 v[12:13], v[2:3], v[6:7] op_sel:[1,0]
	v_pk_mov_b32 v[6:7], v[6:7], v[8:9] op_sel:[1,0]
	s_waitcnt lgkmcnt(2)
	v_pk_mul_f32 v[12:13], v[12:13], v[62:63]
	v_mul_f32_e32 v4, v18, v10
	v_add_f32_e32 v3, v16, v12
	v_add_f32_e32 v3, v3, v13
	ds_bpermute_b32 v12, v59, v61 offset:20
	ds_bpermute_b32 v13, v59, v61 offset:24
	s_waitcnt lgkmcnt(2)
	v_pk_mul_f32 v[6:7], v[6:7], v[14:15]
	s_mov_b64 s[34:35], 0
	v_add_f32_e32 v3, v3, v6
	v_add_f32_e32 v3, v3, v7
	v_pk_mov_b32 v[6:7], v[8:9], v[4:5] op_sel:[1,0]
	ds_bpermute_b32 v4, v59, v61 offset:28
	s_waitcnt lgkmcnt(1)
	v_pk_mul_f32 v[6:7], v[6:7], v[12:13]
	s_nop 0
	v_add_f32_e32 v3, v3, v6
	v_add_f32_e32 v3, v3, v7
.LBB191_25:                             ;   in Loop: Header=BB191_3 Depth=1
	s_and_b64 vcc, exec, s[34:35]
	s_cbranch_vccz .LBB191_40
; %bb.26:                               ;   in Loop: Header=BB191_3 Depth=1
	s_load_dword s9, s[24:25], 0x0
	v_mov_b32_e32 v61, 0
	s_waitcnt lgkmcnt(0)
	s_cmp_lt_u32 s2, s9
	s_cselect_b32 s9, 12, 18
	s_add_u32 s34, s24, s9
	s_addc_u32 s35, s25, 0
	global_load_ushort v3, v2, s[34:35]
	s_waitcnt vmcnt(0)
	v_mad_u32_u24 v3, v58, v3, v1
	v_and_b32_e32 v4, 63, v3
	v_cmp_gt_u32_e32 vcc, 8, v4
	s_and_saveexec_b64 s[34:35], vcc
	s_cbranch_execz .LBB191_30
; %bb.27:                               ;   in Loop: Header=BB191_3 Depth=1
	v_mov_b32_e32 v5, v2
	v_lshl_add_u64 v[4:5], v[56:57], 0, v[4:5]
	v_cmp_gt_i64_e32 vcc, s[12:13], v[4:5]
	v_mov_b32_e32 v61, 0
	s_and_saveexec_b64 s[36:37], vcc
	s_cbranch_execz .LBB191_29
; %bb.28:                               ;   in Loop: Header=BB191_3 Depth=1
	v_lshl_add_u64 v[4:5], v[4:5], 2, s[10:11]
	global_load_dword v61, v[4:5], off
.LBB191_29:                             ;   in Loop: Header=BB191_3 Depth=1
	s_or_b64 exec, exec, s[36:37]
.LBB191_30:                             ;   in Loop: Header=BB191_3 Depth=1
	s_or_b64 exec, exec, s[34:35]
	v_mov_b32_e32 v8, v2
	v_mov_b32_e32 v9, v2
	;; [unrolled: 1-line block ×7, first 2 shown]
	v_mov_b64_e32 v[18:19], v[8:9]
	v_mov_b64_e32 v[16:17], v[6:7]
	;; [unrolled: 1-line block ×8, first 2 shown]
	s_and_saveexec_b64 s[34:35], s[6:7]
	s_cbranch_execnz .LBB191_42
; %bb.31:                               ;   in Loop: Header=BB191_3 Depth=1
	s_or_b64 exec, exec, s[34:35]
	s_and_saveexec_b64 s[34:35], s[6:7]
	s_cbranch_execnz .LBB191_43
.LBB191_32:                             ;   in Loop: Header=BB191_3 Depth=1
	s_or_b64 exec, exec, s[34:35]
	s_and_saveexec_b64 s[34:35], s[6:7]
	s_cbranch_execnz .LBB191_44
.LBB191_33:                             ;   in Loop: Header=BB191_3 Depth=1
	s_or_b64 exec, exec, s[34:35]
	s_and_saveexec_b64 s[34:35], s[6:7]
	s_cbranch_execnz .LBB191_45
.LBB191_34:                             ;   in Loop: Header=BB191_3 Depth=1
	s_or_b64 exec, exec, s[34:35]
	s_and_saveexec_b64 s[34:35], s[6:7]
	s_cbranch_execnz .LBB191_46
.LBB191_35:                             ;   in Loop: Header=BB191_3 Depth=1
	s_or_b64 exec, exec, s[34:35]
	s_and_saveexec_b64 s[34:35], s[6:7]
	s_cbranch_execnz .LBB191_47
.LBB191_36:                             ;   in Loop: Header=BB191_3 Depth=1
	s_or_b64 exec, exec, s[34:35]
	s_and_saveexec_b64 s[34:35], s[6:7]
	s_cbranch_execnz .LBB191_48
.LBB191_37:                             ;   in Loop: Header=BB191_3 Depth=1
	s_or_b64 exec, exec, s[34:35]
	s_and_saveexec_b64 s[34:35], s[6:7]
	s_cbranch_execz .LBB191_39
.LBB191_38:                             ;   in Loop: Header=BB191_3 Depth=1
	v_lshl_add_u64 v[56:57], v[28:29], 0, v[22:23]
	global_load_ushort v3, v[56:57], off
	v_lshl_add_u64 v[56:57], v[30:31], 0, v[22:23]
	global_load_ushort v19, v[56:57], off
	s_waitcnt vmcnt(1)
	v_lshlrev_b32_e32 v11, 16, v3
	s_waitcnt vmcnt(0)
	v_lshlrev_b32_e32 v19, 16, v19
.LBB191_39:                             ;   in Loop: Header=BB191_3 Depth=1
	s_or_b64 exec, exec, s[34:35]
	s_waitcnt vmcnt(0)
	ds_bpermute_b32 v3, v59, v61
	ds_bpermute_b32 v56, v59, v61 offset:4
	ds_bpermute_b32 v57, v59, v61 offset:8
	v_mul_f32_e32 v4, v12, v4
	v_pk_mul_f32 v[6:7], v[14:15], v[6:7]
	s_waitcnt lgkmcnt(2)
	v_fmac_f32_e32 v60, v4, v3
	v_mul_f32_e32 v3, v13, v5
	v_pk_mov_b32 v[4:5], v[2:3], v[6:7] op_sel:[1,0]
	ds_bpermute_b32 v12, v59, v61 offset:12
	ds_bpermute_b32 v13, v59, v61 offset:16
	s_waitcnt lgkmcnt(2)
	v_pk_mul_f32 v[4:5], v[4:5], v[56:57]
	v_pk_mul_f32 v[8:9], v[16:17], v[8:9]
	v_add_f32_e32 v3, v60, v4
	v_add_f32_e32 v3, v3, v5
	v_pk_mov_b32 v[4:5], v[6:7], v[8:9] op_sel:[1,0]
	ds_bpermute_b32 v6, v59, v61 offset:20
	ds_bpermute_b32 v7, v59, v61 offset:24
	s_waitcnt lgkmcnt(2)
	v_pk_mul_f32 v[4:5], v[4:5], v[12:13]
	v_mul_f32_e32 v10, v18, v10
	v_add_f32_e32 v3, v3, v4
	ds_bpermute_b32 v4, v59, v61 offset:28
	v_pk_mov_b32 v[8:9], v[8:9], v[10:11] op_sel:[1,0]
	v_add_f32_e32 v3, v3, v5
	s_waitcnt lgkmcnt(1)
	v_pk_mul_f32 v[6:7], v[8:9], v[6:7]
	s_nop 0
	v_add_f32_e32 v3, v3, v6
	v_add_f32_e32 v3, v3, v7
.LBB191_40:                             ;   in Loop: Header=BB191_3 Depth=1
	v_mul_f32_e32 v5, v11, v19
	s_add_u32 s30, s30, s22
	s_waitcnt lgkmcnt(0)
	v_fmac_f32_e32 v3, v5, v4
	s_addc_u32 s31, s31, 0
	v_mov_b64_e32 v[4:5], s[12:13]
	s_add_u32 s28, s28, s22
	v_cmp_lt_i64_e32 vcc, s[30:31], v[4:5]
	v_lshl_add_u64 v[24:25], v[24:25], 0, s[26:27]
	v_lshl_add_u64 v[26:27], v[26:27], 0, s[26:27]
	;; [unrolled: 1-line block ×17, first 2 shown]
	s_addc_u32 s29, 0, s29
	s_cbranch_vccz .LBB191_50
; %bb.41:                               ;   in Loop: Header=BB191_3 Depth=1
	v_mov_b32_e32 v60, v3
	s_branch .LBB191_3
.LBB191_42:                             ;   in Loop: Header=BB191_3 Depth=1
	v_lshl_add_u64 v[4:5], v[24:25], 0, v[22:23]
	global_load_ushort v3, v[4:5], off
	v_lshl_add_u64 v[4:5], v[26:27], 0, v[22:23]
	global_load_ushort v12, v[4:5], off
	v_mov_b32_e32 v5, v2
	v_mov_b32_e32 v6, v2
	;; [unrolled: 1-line block ×14, first 2 shown]
	s_waitcnt vmcnt(1)
	v_lshlrev_b32_e32 v4, 16, v3
	s_waitcnt vmcnt(0)
	v_lshlrev_b32_e32 v12, 16, v12
	s_or_b64 exec, exec, s[34:35]
	s_and_saveexec_b64 s[34:35], s[6:7]
	s_cbranch_execz .LBB191_32
.LBB191_43:                             ;   in Loop: Header=BB191_3 Depth=1
	v_lshl_add_u64 v[56:57], v[52:53], 0, v[22:23]
	global_load_ushort v3, v[56:57], off
	v_lshl_add_u64 v[56:57], v[54:55], 0, v[22:23]
	global_load_ushort v13, v[56:57], off
	s_waitcnt vmcnt(1)
	v_lshlrev_b32_e32 v5, 16, v3
	s_waitcnt vmcnt(0)
	v_lshlrev_b32_e32 v13, 16, v13
	s_or_b64 exec, exec, s[34:35]
	s_and_saveexec_b64 s[34:35], s[6:7]
	s_cbranch_execz .LBB191_33
.LBB191_44:                             ;   in Loop: Header=BB191_3 Depth=1
	v_lshl_add_u64 v[56:57], v[48:49], 0, v[22:23]
	global_load_ushort v3, v[56:57], off
	v_lshl_add_u64 v[56:57], v[50:51], 0, v[22:23]
	global_load_ushort v14, v[56:57], off
	s_waitcnt vmcnt(1)
	v_lshlrev_b32_e32 v6, 16, v3
	s_waitcnt vmcnt(0)
	v_lshlrev_b32_e32 v14, 16, v14
	s_or_b64 exec, exec, s[34:35]
	s_and_saveexec_b64 s[34:35], s[6:7]
	s_cbranch_execz .LBB191_34
.LBB191_45:                             ;   in Loop: Header=BB191_3 Depth=1
	v_lshl_add_u64 v[56:57], v[44:45], 0, v[22:23]
	global_load_ushort v3, v[56:57], off
	v_lshl_add_u64 v[56:57], v[46:47], 0, v[22:23]
	global_load_ushort v15, v[56:57], off
	s_waitcnt vmcnt(1)
	v_lshlrev_b32_e32 v7, 16, v3
	s_waitcnt vmcnt(0)
	v_lshlrev_b32_e32 v15, 16, v15
	s_or_b64 exec, exec, s[34:35]
	s_and_saveexec_b64 s[34:35], s[6:7]
	s_cbranch_execz .LBB191_35
.LBB191_46:                             ;   in Loop: Header=BB191_3 Depth=1
	v_lshl_add_u64 v[56:57], v[40:41], 0, v[22:23]
	global_load_ushort v3, v[56:57], off
	v_lshl_add_u64 v[56:57], v[42:43], 0, v[22:23]
	global_load_ushort v16, v[56:57], off
	s_waitcnt vmcnt(1)
	v_lshlrev_b32_e32 v8, 16, v3
	s_waitcnt vmcnt(0)
	v_lshlrev_b32_e32 v16, 16, v16
	s_or_b64 exec, exec, s[34:35]
	s_and_saveexec_b64 s[34:35], s[6:7]
	s_cbranch_execz .LBB191_36
.LBB191_47:                             ;   in Loop: Header=BB191_3 Depth=1
	v_lshl_add_u64 v[56:57], v[36:37], 0, v[22:23]
	global_load_ushort v3, v[56:57], off
	v_lshl_add_u64 v[56:57], v[38:39], 0, v[22:23]
	global_load_ushort v17, v[56:57], off
	s_waitcnt vmcnt(1)
	v_lshlrev_b32_e32 v9, 16, v3
	s_waitcnt vmcnt(0)
	v_lshlrev_b32_e32 v17, 16, v17
	s_or_b64 exec, exec, s[34:35]
	s_and_saveexec_b64 s[34:35], s[6:7]
	s_cbranch_execz .LBB191_37
.LBB191_48:                             ;   in Loop: Header=BB191_3 Depth=1
	v_lshl_add_u64 v[56:57], v[32:33], 0, v[22:23]
	global_load_ushort v3, v[56:57], off
	v_lshl_add_u64 v[56:57], v[34:35], 0, v[22:23]
	global_load_ushort v18, v[56:57], off
	s_waitcnt vmcnt(1)
	v_lshlrev_b32_e32 v10, 16, v3
	s_waitcnt vmcnt(0)
	v_lshlrev_b32_e32 v18, 16, v18
	s_or_b64 exec, exec, s[34:35]
	s_and_saveexec_b64 s[34:35], s[6:7]
	s_cbranch_execnz .LBB191_38
	s_branch .LBB191_39
.LBB191_49:
                                        ; implicit-def: $vgpr3
	s_load_dwordx2 s[6:7], s[0:1], 0x30
	s_branch .LBB191_51
.LBB191_50:
	s_load_dwordx2 s[6:7], s[0:1], 0x30
	s_cbranch_execnz .LBB191_83
.LBB191_51:
	s_and_b64 vcc, exec, s[4:5]
	v_mov_b32_e32 v3, 0
	s_cbranch_vccnz .LBB191_83
; %bb.52:
	v_mov_b32_e32 v2, 0
	v_bfe_u32 v86, v0, 10, 10
	v_lshlrev_b32_e32 v6, 4, v86
	v_mov_b32_e32 v7, v2
	v_lshl_add_u64 v[6:7], s[20:21], 1, v[6:7]
	v_lshl_add_u64 v[8:9], v[6:7], 0, 2
	v_mov_b64_e32 v[10:11], s[16:17]
	v_lshl_add_u64 v[12:13], v[6:7], 0, 4
	v_lshl_add_u64 v[14:15], v[6:7], 0, 6
	;; [unrolled: 1-line block ×6, first 2 shown]
	v_mad_u64_u32 v[22:23], s[4:5], s14, v8, v[10:11]
	v_mad_u64_u32 v[24:25], s[4:5], s14, v12, v[10:11]
	;; [unrolled: 1-line block ×7, first 2 shown]
	v_mov_b64_e32 v[10:11], s[18:19]
	v_mul_lo_u32 v9, s14, v9
	v_mul_lo_u32 v38, s15, v8
	v_mad_u64_u32 v[36:37], s[4:5], s14, v8, v[10:11]
	v_add3_u32 v23, v38, v23, v9
	v_mul_lo_u32 v13, s14, v13
	v_mul_lo_u32 v40, s15, v12
	v_add3_u32 v37, v38, v37, v9
	v_mad_u64_u32 v[38:39], s[4:5], s14, v12, v[10:11]
	v_add3_u32 v25, v40, v25, v13
	v_mul_lo_u32 v15, s14, v15
	v_mul_lo_u32 v42, s15, v14
	v_add3_u32 v39, v40, v39, v13
	;; [unrolled: 5-line block ×3, first 2 shown]
	v_mad_u64_u32 v[42:43], s[4:5], s14, v16, v[10:11]
	v_lshlrev_b32_e32 v20, 3, v86
	v_mov_b32_e32 v21, v2
	v_add3_u32 v29, v44, v29, v17
	v_mul_lo_u32 v19, s14, v19
	v_mul_lo_u32 v48, s15, v18
	;; [unrolled: 1-line block ×4, first 2 shown]
	v_add3_u32 v43, v44, v43, v17
	v_mad_u64_u32 v[44:45], s[4:5], s14, v18, v[10:11]
	v_mad_u64_u32 v[46:47], s[4:5], s14, v46, v[10:11]
	v_lshl_add_u64 v[4:5], v[20:21], 0, s[20:21]
	v_add3_u32 v31, v48, v31, v19
	v_add3_u32 v33, v51, v33, v49
	v_mul_lo_u32 v7, s14, v7
	v_mul_lo_u32 v8, s15, v6
	v_add3_u32 v45, v48, v45, v19
	v_add3_u32 v47, v51, v47, v49
	v_mad_u64_u32 v[48:49], s[4:5], s14, v6, v[10:11]
	v_add3_u32 v35, v8, v35, v7
	v_add3_u32 v49, v8, v49, v7
	v_lshl_add_u64 v[6:7], v[4:5], 0, 7
	v_mul_lo_u32 v8, s15, v6
	v_mul_lo_u32 v9, s14, v7
	v_mad_u64_u32 v[6:7], s[4:5], s14, v6, 0
	v_add3_u32 v7, v7, v9, v8
	v_lshl_add_u64 v[8:9], v[4:5], 0, 6
	v_mul_lo_u32 v10, s15, v8
	v_mul_lo_u32 v11, s14, v9
	v_mad_u64_u32 v[8:9], s[4:5], s14, v8, 0
	;; [unrolled: 5-line block ×5, first 2 shown]
	v_add3_u32 v15, v15, v17, v16
	v_lshl_add_u64 v[16:17], v[4:5], 0, 2
	v_mul_lo_u32 v50, s14, v5
	v_mul_lo_u32 v5, s15, v16
	;; [unrolled: 1-line block ×3, first 2 shown]
	v_mad_u64_u32 v[16:17], s[4:5], s14, v16, 0
	v_add3_u32 v17, v17, v18, v5
	v_mov_b64_e32 v[18:19], s[14:15]
	v_mul_lo_u32 v3, s15, v4
	v_mad_u64_u32 v[18:19], s[4:5], s14, v4, v[18:19]
	v_mad_u64_u32 v[4:5], s[4:5], s14, v4, 0
	v_and_b32_e32 v1, 0x3ff, v0
	v_add3_u32 v5, v5, v50, v3
	v_add3_u32 v19, v3, v19, v50
	v_add_u32_e32 v50, s3, v1
	s_load_dword s3, s[0:1], 0x44
	v_lshlrev_b64 v[4:5], 1, v[4:5]
	v_lshl_add_u64 v[52:53], s[16:17], 0, v[4:5]
	v_lshl_add_u64 v[54:55], s[18:19], 0, v[4:5]
	v_lshlrev_b64 v[4:5], 1, v[6:7]
	v_lshl_add_u64 v[56:57], s[16:17], 0, v[4:5]
	v_lshl_add_u64 v[58:59], s[18:19], 0, v[4:5]
	;; [unrolled: 3-line block ×3, first 2 shown]
	v_lshlrev_b64 v[4:5], 1, v[10:11]
	s_add_u32 s22, s0, 64
	v_lshl_add_u64 v[64:65], s[16:17], 0, v[4:5]
	v_lshl_add_u64 v[66:67], s[18:19], 0, v[4:5]
	v_lshlrev_b64 v[4:5], 1, v[12:13]
	s_addc_u32 s23, s1, 0
	s_waitcnt lgkmcnt(0)
	s_lshl_b32 s4, s3, 3
	v_lshl_add_u64 v[68:69], s[16:17], 0, v[4:5]
	v_lshl_add_u64 v[70:71], s[18:19], 0, v[4:5]
	v_lshlrev_b64 v[4:5], 1, v[14:15]
	v_mbcnt_lo_u32_b32 v3, -1, 0
	s_mul_i32 s3, s15, s4
	s_mul_hi_u32 s9, s14, s4
	v_lshl_add_u64 v[72:73], s[16:17], 0, v[4:5]
	v_lshl_add_u64 v[74:75], s[18:19], 0, v[4:5]
	v_lshlrev_b64 v[4:5], 1, v[16:17]
	v_mbcnt_hi_u32_b32 v3, -1, v3
	v_mov_b32_e32 v51, v2
	s_add_i32 s25, s9, s3
	s_mul_i32 s24, s14, s4
	v_lshl_add_u64 v[76:77], s[16:17], 0, v[4:5]
	v_lshl_add_u64 v[78:79], s[18:19], 0, v[4:5]
	v_lshlrev_b64 v[4:5], 1, v[18:19]
	v_lshlrev_b32_e32 v3, 2, v3
	s_mov_b32 s5, 0
	v_lshlrev_b64 v[50:51], 1, v[50:51]
	s_lshl_b64 s[24:25], s[24:25], 1
	s_mov_b64 s[26:27], 7
	v_lshl_add_u64 v[80:81], s[16:17], 0, v[4:5]
	v_lshl_add_u64 v[82:83], s[18:19], 0, v[4:5]
	v_and_b32_e32 v87, 0x100, v3
	s_mov_b64 s[16:17], s[20:21]
	v_mov_b32_e32 v88, 0
.LBB191_53:                             ; =>This Inner Loop Header: Depth=1
	s_add_u32 s18, s20, s26
	s_addc_u32 s19, 0, s27
	v_mov_b64_e32 v[4:5], s[12:13]
	v_cmp_ge_i64_e32 vcc, s[18:19], v[4:5]
	v_lshl_add_u64 v[84:85], s[20:21], 0, v[20:21]
	s_mov_b64 s[18:19], -1
                                        ; implicit-def: $vgpr3
	s_cbranch_vccz .LBB191_75
; %bb.54:                               ;   in Loop: Header=BB191_53 Depth=1
	s_load_dword s3, s[22:23], 0xc
	v_mov_b32_e32 v89, 0
	s_waitcnt lgkmcnt(0)
	s_and_b32 s3, s3, 0xffff
	v_mad_u32_u24 v3, v86, s3, v1
	v_and_b32_e32 v4, 63, v3
	v_cmp_gt_u32_e32 vcc, 8, v4
	s_and_saveexec_b64 s[18:19], vcc
	s_cbranch_execz .LBB191_58
; %bb.55:                               ;   in Loop: Header=BB191_53 Depth=1
	v_mov_b32_e32 v5, v2
	v_lshl_add_u64 v[4:5], v[84:85], 0, v[4:5]
	v_cmp_gt_i64_e32 vcc, s[12:13], v[4:5]
	v_mov_b32_e32 v89, 0
	s_and_saveexec_b64 s[28:29], vcc
	s_cbranch_execz .LBB191_57
; %bb.56:                               ;   in Loop: Header=BB191_53 Depth=1
	v_lshl_add_u64 v[4:5], v[4:5], 2, s[10:11]
	global_load_dword v89, v[4:5], off
.LBB191_57:                             ;   in Loop: Header=BB191_53 Depth=1
	s_or_b64 exec, exec, s[28:29]
.LBB191_58:                             ;   in Loop: Header=BB191_53 Depth=1
	s_or_b64 exec, exec, s[18:19]
	v_mov_b32_e32 v8, v2
	v_mov_b32_e32 v9, v2
	;; [unrolled: 1-line block ×7, first 2 shown]
	v_mov_b64_e32 v[18:19], v[8:9]
	v_mov_b64_e32 v[16:17], v[6:7]
	;; [unrolled: 1-line block ×5, first 2 shown]
	v_cmp_gt_i64_e32 vcc, s[12:13], v[84:85]
	v_mov_b64_e32 v[8:9], v[6:7]
	v_mov_b64_e32 v[6:7], v[4:5]
	;; [unrolled: 1-line block ×3, first 2 shown]
	s_and_saveexec_b64 s[18:19], vcc
	s_cbranch_execz .LBB191_60
; %bb.59:                               ;   in Loop: Header=BB191_53 Depth=1
	v_lshl_add_u64 v[4:5], v[52:53], 0, v[50:51]
	global_load_ushort v3, v[4:5], off
	v_lshl_add_u64 v[4:5], v[54:55], 0, v[50:51]
	global_load_ushort v12, v[4:5], off
	v_mov_b32_e32 v5, v2
	v_mov_b32_e32 v6, v2
	;; [unrolled: 1-line block ×14, first 2 shown]
	s_waitcnt vmcnt(1)
	v_lshlrev_b32_e32 v4, 16, v3
	s_waitcnt vmcnt(0)
	v_lshlrev_b32_e32 v12, 16, v12
.LBB191_60:                             ;   in Loop: Header=BB191_53 Depth=1
	s_or_b64 exec, exec, s[18:19]
	v_lshl_add_u64 v[90:91], v[84:85], 0, 1
	v_cmp_gt_i64_e32 vcc, s[12:13], v[90:91]
	s_and_saveexec_b64 s[18:19], vcc
	s_cbranch_execz .LBB191_62
; %bb.61:                               ;   in Loop: Header=BB191_53 Depth=1
	v_lshl_add_u64 v[90:91], v[80:81], 0, v[50:51]
	global_load_ushort v3, v[90:91], off
	v_lshl_add_u64 v[90:91], v[82:83], 0, v[50:51]
	global_load_ushort v13, v[90:91], off
	s_waitcnt vmcnt(1)
	v_lshlrev_b32_e32 v5, 16, v3
	s_waitcnt vmcnt(0)
	v_lshlrev_b32_e32 v13, 16, v13
.LBB191_62:                             ;   in Loop: Header=BB191_53 Depth=1
	s_or_b64 exec, exec, s[18:19]
	v_lshl_add_u64 v[90:91], v[84:85], 0, 2
	v_cmp_gt_i64_e32 vcc, s[12:13], v[90:91]
	s_and_saveexec_b64 s[18:19], vcc
	s_cbranch_execz .LBB191_64
; %bb.63:                               ;   in Loop: Header=BB191_53 Depth=1
	v_lshl_add_u64 v[90:91], v[76:77], 0, v[50:51]
	global_load_ushort v3, v[90:91], off
	v_lshl_add_u64 v[90:91], v[78:79], 0, v[50:51]
	global_load_ushort v14, v[90:91], off
	s_waitcnt vmcnt(1)
	v_lshlrev_b32_e32 v6, 16, v3
	s_waitcnt vmcnt(0)
	v_lshlrev_b32_e32 v14, 16, v14
.LBB191_64:                             ;   in Loop: Header=BB191_53 Depth=1
	;; [unrolled: 15-line block ×7, first 2 shown]
	s_or_b64 exec, exec, s[18:19]
	s_waitcnt vmcnt(0)
	ds_bpermute_b32 v90, v87, v89
	ds_bpermute_b32 v91, v87, v89 offset:4
	v_pk_mul_f32 v[6:7], v[14:15], v[6:7]
	ds_bpermute_b32 v14, v87, v89 offset:8
	ds_bpermute_b32 v15, v87, v89 offset:12
	v_pk_mul_f32 v[4:5], v[12:13], v[4:5]
	ds_bpermute_b32 v12, v87, v89 offset:24
	s_waitcnt lgkmcnt(3)
	v_pk_mul_f32 v[4:5], v[4:5], v[90:91]
	ds_bpermute_b32 v13, v87, v89 offset:28
	v_add_f32_e32 v3, v88, v4
	v_add_f32_e32 v3, v3, v5
	s_waitcnt lgkmcnt(2)
	v_pk_mul_f32 v[4:5], v[6:7], v[14:15]
	ds_bpermute_b32 v6, v87, v89 offset:16
	ds_bpermute_b32 v7, v87, v89 offset:20
	v_pk_mul_f32 v[8:9], v[16:17], v[8:9]
	v_add_f32_e32 v3, v3, v4
	v_add_f32_e32 v3, v3, v5
	v_pk_mul_f32 v[10:11], v[18:19], v[10:11]
	s_waitcnt lgkmcnt(0)
	v_pk_mul_f32 v[4:5], v[8:9], v[6:7]
	s_mov_b64 s[18:19], 0
	v_add_f32_e32 v3, v3, v4
	v_add_f32_e32 v3, v3, v5
	v_pk_mul_f32 v[4:5], v[10:11], v[12:13]
	s_nop 0
	v_add_f32_e32 v3, v3, v4
	v_add_f32_e32 v3, v3, v5
.LBB191_75:                             ;   in Loop: Header=BB191_53 Depth=1
	s_and_b64 vcc, exec, s[18:19]
	s_cbranch_vccz .LBB191_81
; %bb.76:                               ;   in Loop: Header=BB191_53 Depth=1
	s_load_dword s3, s[22:23], 0x0
	s_waitcnt lgkmcnt(0)
	s_cmp_lt_u32 s2, s3
	s_cselect_b32 s3, 12, 18
	s_add_u32 s18, s22, s3
	s_addc_u32 s19, s23, 0
	global_load_ushort v3, v2, s[18:19]
	s_waitcnt vmcnt(0)
	v_mad_u32_u24 v3, v86, v3, v1
	v_and_b32_e32 v4, 63, v3
	v_cmp_gt_u32_e32 vcc, 8, v4
	v_mov_b32_e32 v3, 0
	s_and_saveexec_b64 s[18:19], vcc
	s_cbranch_execz .LBB191_80
; %bb.77:                               ;   in Loop: Header=BB191_53 Depth=1
	v_mov_b32_e32 v5, v2
	v_lshl_add_u64 v[4:5], v[84:85], 0, v[4:5]
	v_cmp_gt_i64_e32 vcc, s[12:13], v[4:5]
	v_mov_b32_e32 v3, 0
	s_and_saveexec_b64 s[28:29], vcc
	s_cbranch_execz .LBB191_79
; %bb.78:                               ;   in Loop: Header=BB191_53 Depth=1
	v_lshl_add_u64 v[4:5], v[4:5], 2, s[10:11]
	global_load_dword v3, v[4:5], off
.LBB191_79:                             ;   in Loop: Header=BB191_53 Depth=1
	s_or_b64 exec, exec, s[28:29]
.LBB191_80:                             ;   in Loop: Header=BB191_53 Depth=1
	s_or_b64 exec, exec, s[18:19]
	v_lshl_add_u64 v[8:9], v[22:23], 0, v[50:51]
	v_lshl_add_u64 v[94:95], v[44:45], 0, v[50:51]
	;; [unrolled: 1-line block ×16, first 2 shown]
	global_load_ushort v89, v[8:9], off
	global_load_ushort v104, v[4:5], off
	;; [unrolled: 1-line block ×15, first 2 shown]
                                        ; kill: killed $vgpr96_vgpr97
                                        ; kill: killed $vgpr14_vgpr15
                                        ; kill: killed $vgpr92_vgpr93
                                        ; kill: killed $vgpr10_vgpr11
                                        ; kill: killed $vgpr102_vgpr103
                                        ; kill: killed $vgpr84_vgpr85
                                        ; kill: killed $vgpr6_vgpr7
                                        ; kill: killed $vgpr16_vgpr17
                                        ; kill: killed $vgpr94_vgpr95
                                        ; kill: killed $vgpr12_vgpr13
                                        ; kill: killed $vgpr90_vgpr91
                                        ; kill: killed $vgpr8_vgpr9
                                        ; kill: killed $vgpr100_vgpr101
                                        ; kill: killed $vgpr18_vgpr19
                                        ; kill: killed $vgpr4_vgpr5
	s_nop 0
	global_load_ushort v94, v[98:99], off
	s_waitcnt vmcnt(16)
	ds_bpermute_b32 v4, v87, v3
	ds_bpermute_b32 v5, v87, v3 offset:4
	ds_bpermute_b32 v6, v87, v3 offset:8
	;; [unrolled: 1-line block ×7, first 2 shown]
	s_waitcnt vmcnt(15)
	v_lshlrev_b32_e32 v13, 16, v89
	s_waitcnt vmcnt(14)
	v_lshlrev_b32_e32 v12, 16, v104
	;; [unrolled: 2-line block ×4, first 2 shown]
	v_pk_mul_f32 v[12:13], v[12:13], v[14:15]
	s_waitcnt vmcnt(11)
	v_lshlrev_b32_e32 v17, 16, v107
	s_waitcnt vmcnt(10)
	v_lshlrev_b32_e32 v16, 16, v108
	;; [unrolled: 2-line block ×4, first 2 shown]
	s_waitcnt lgkmcnt(6)
	v_pk_mul_f32 v[4:5], v[12:13], v[4:5]
	v_pk_mul_f32 v[14:15], v[16:17], v[18:19]
	v_add_f32_e32 v3, v88, v4
	s_waitcnt vmcnt(7)
	v_lshlrev_b32_e32 v85, 16, v111
	s_waitcnt vmcnt(6)
	v_lshlrev_b32_e32 v84, 16, v112
	;; [unrolled: 2-line block ×4, first 2 shown]
	s_waitcnt lgkmcnt(4)
	v_pk_mul_f32 v[6:7], v[14:15], v[6:7]
	v_add_f32_e32 v3, v3, v5
	v_pk_mul_f32 v[16:17], v[84:85], v[90:91]
	v_add_f32_e32 v3, v3, v6
	s_waitcnt vmcnt(3)
	v_lshlrev_b32_e32 v93, 16, v115
	s_waitcnt vmcnt(2)
	v_lshlrev_b32_e32 v92, 16, v116
	;; [unrolled: 2-line block ×3, first 2 shown]
	s_waitcnt lgkmcnt(2)
	v_pk_mul_f32 v[8:9], v[16:17], v[8:9]
	v_add_f32_e32 v3, v3, v7
	v_add_f32_e32 v3, v3, v8
	;; [unrolled: 1-line block ×3, first 2 shown]
	s_waitcnt vmcnt(0)
	v_lshlrev_b32_e32 v94, 16, v94
	v_pk_mul_f32 v[18:19], v[92:93], v[94:95]
	s_waitcnt lgkmcnt(0)
	v_pk_mul_f32 v[4:5], v[18:19], v[10:11]
	s_nop 0
	v_add_f32_e32 v3, v3, v4
	v_add_f32_e32 v3, v3, v5
.LBB191_81:                             ;   in Loop: Header=BB191_53 Depth=1
	s_add_u32 s16, s16, s4
	s_addc_u32 s17, s17, 0
	v_mov_b64_e32 v[4:5], s[12:13]
	s_add_u32 s26, s26, s4
	v_cmp_ge_i64_e32 vcc, s[16:17], v[4:5]
	v_lshl_add_u64 v[52:53], v[52:53], 0, s[24:25]
	v_lshl_add_u64 v[54:55], v[54:55], 0, s[24:25]
	;; [unrolled: 1-line block ×31, first 2 shown]
	s_addc_u32 s27, 0, s27
	s_cbranch_vccnz .LBB191_83
; %bb.82:                               ;   in Loop: Header=BB191_53 Depth=1
	v_mov_b32_e32 v88, v3
	s_branch .LBB191_53
.LBB191_83:
	s_mov_b32 s3, 0
	s_lshl_b64 s[2:3], s[2:3], 6
	v_and_b32_e32 v1, 0x3ff, v0
	v_or_b32_e32 v4, s2, v1
	v_mov_b32_e32 v5, s3
	s_waitcnt lgkmcnt(0)
	s_cmp_lg_u64 s[6:7], 0
	v_cmp_gt_i64_e32 vcc, s[14:15], v[4:5]
	s_cselect_b64 s[2:3], -1, 0
	s_and_b64 s[2:3], vcc, s[2:3]
	s_and_saveexec_b64 s[4:5], s[2:3]
	s_cbranch_execz .LBB191_85
; %bb.84:
	s_load_dword s0, s[0:1], 0x4c
	v_bfe_u32 v0, v0, 10, 10
	v_mov_b32_e32 v1, 0
	v_mov_b32_e32 v2, s8
	v_cmp_o_f32_e32 vcc, v3, v3
	s_waitcnt lgkmcnt(0)
	s_lshr_b32 s0, s0, 16
	v_mad_u64_u32 v[0:1], s[0:1], s0, v2, v[0:1]
	v_bfe_u32 v2, v3, 16, 1
	s_movk_i32 s0, 0x7fff
	v_add3_u32 v2, v3, v2, s0
	v_mov_b32_e32 v3, 0x7fc0
	v_cndmask_b32_sdwa v2, v3, v2, vcc dst_sel:DWORD dst_unused:UNUSED_PAD src0_sel:DWORD src1_sel:WORD_1
	v_mul_lo_u32 v3, v1, s14
	v_mul_lo_u32 v6, v0, s15
	v_mad_u64_u32 v[0:1], s[0:1], v0, s14, 0
	v_add3_u32 v1, v1, v6, v3
	v_lshl_add_u64 v[0:1], v[0:1], 1, s[6:7]
	v_lshl_add_u64 v[0:1], v[4:5], 1, v[0:1]
	global_store_short v[0:1], v2, off
.LBB191_85:
	s_endpgm
	.section	.rodata,"a",@progbits
	.p2align	6, 0x0
	.amdhsa_kernel _ZN2at6native12_GLOBAL__N_135GammaBetaBackwardCUDAKernelTemplateIN3c108BFloat16EfLj64ELj1ELj8ELb1ELb0ELb1EEEvllPKT_S7_PKT0_SA_PS5_SB_
		.amdhsa_group_segment_fixed_size 0
		.amdhsa_private_segment_fixed_size 0
		.amdhsa_kernarg_size 320
		.amdhsa_user_sgpr_count 2
		.amdhsa_user_sgpr_dispatch_ptr 0
		.amdhsa_user_sgpr_queue_ptr 0
		.amdhsa_user_sgpr_kernarg_segment_ptr 1
		.amdhsa_user_sgpr_dispatch_id 0
		.amdhsa_user_sgpr_kernarg_preload_length 0
		.amdhsa_user_sgpr_kernarg_preload_offset 0
		.amdhsa_user_sgpr_private_segment_size 0
		.amdhsa_uses_dynamic_stack 0
		.amdhsa_enable_private_segment 0
		.amdhsa_system_sgpr_workgroup_id_x 1
		.amdhsa_system_sgpr_workgroup_id_y 1
		.amdhsa_system_sgpr_workgroup_id_z 0
		.amdhsa_system_sgpr_workgroup_info 0
		.amdhsa_system_vgpr_workitem_id 1
		.amdhsa_next_free_vgpr 118
		.amdhsa_next_free_sgpr 38
		.amdhsa_accum_offset 120
		.amdhsa_reserve_vcc 1
		.amdhsa_float_round_mode_32 0
		.amdhsa_float_round_mode_16_64 0
		.amdhsa_float_denorm_mode_32 3
		.amdhsa_float_denorm_mode_16_64 3
		.amdhsa_dx10_clamp 1
		.amdhsa_ieee_mode 1
		.amdhsa_fp16_overflow 0
		.amdhsa_tg_split 0
		.amdhsa_exception_fp_ieee_invalid_op 0
		.amdhsa_exception_fp_denorm_src 0
		.amdhsa_exception_fp_ieee_div_zero 0
		.amdhsa_exception_fp_ieee_overflow 0
		.amdhsa_exception_fp_ieee_underflow 0
		.amdhsa_exception_fp_ieee_inexact 0
		.amdhsa_exception_int_div_zero 0
	.end_amdhsa_kernel
	.section	.text._ZN2at6native12_GLOBAL__N_135GammaBetaBackwardCUDAKernelTemplateIN3c108BFloat16EfLj64ELj1ELj8ELb1ELb0ELb1EEEvllPKT_S7_PKT0_SA_PS5_SB_,"axG",@progbits,_ZN2at6native12_GLOBAL__N_135GammaBetaBackwardCUDAKernelTemplateIN3c108BFloat16EfLj64ELj1ELj8ELb1ELb0ELb1EEEvllPKT_S7_PKT0_SA_PS5_SB_,comdat
.Lfunc_end191:
	.size	_ZN2at6native12_GLOBAL__N_135GammaBetaBackwardCUDAKernelTemplateIN3c108BFloat16EfLj64ELj1ELj8ELb1ELb0ELb1EEEvllPKT_S7_PKT0_SA_PS5_SB_, .Lfunc_end191-_ZN2at6native12_GLOBAL__N_135GammaBetaBackwardCUDAKernelTemplateIN3c108BFloat16EfLj64ELj1ELj8ELb1ELb0ELb1EEEvllPKT_S7_PKT0_SA_PS5_SB_
                                        ; -- End function
	.set _ZN2at6native12_GLOBAL__N_135GammaBetaBackwardCUDAKernelTemplateIN3c108BFloat16EfLj64ELj1ELj8ELb1ELb0ELb1EEEvllPKT_S7_PKT0_SA_PS5_SB_.num_vgpr, 118
	.set _ZN2at6native12_GLOBAL__N_135GammaBetaBackwardCUDAKernelTemplateIN3c108BFloat16EfLj64ELj1ELj8ELb1ELb0ELb1EEEvllPKT_S7_PKT0_SA_PS5_SB_.num_agpr, 0
	.set _ZN2at6native12_GLOBAL__N_135GammaBetaBackwardCUDAKernelTemplateIN3c108BFloat16EfLj64ELj1ELj8ELb1ELb0ELb1EEEvllPKT_S7_PKT0_SA_PS5_SB_.numbered_sgpr, 38
	.set _ZN2at6native12_GLOBAL__N_135GammaBetaBackwardCUDAKernelTemplateIN3c108BFloat16EfLj64ELj1ELj8ELb1ELb0ELb1EEEvllPKT_S7_PKT0_SA_PS5_SB_.num_named_barrier, 0
	.set _ZN2at6native12_GLOBAL__N_135GammaBetaBackwardCUDAKernelTemplateIN3c108BFloat16EfLj64ELj1ELj8ELb1ELb0ELb1EEEvllPKT_S7_PKT0_SA_PS5_SB_.private_seg_size, 0
	.set _ZN2at6native12_GLOBAL__N_135GammaBetaBackwardCUDAKernelTemplateIN3c108BFloat16EfLj64ELj1ELj8ELb1ELb0ELb1EEEvllPKT_S7_PKT0_SA_PS5_SB_.uses_vcc, 1
	.set _ZN2at6native12_GLOBAL__N_135GammaBetaBackwardCUDAKernelTemplateIN3c108BFloat16EfLj64ELj1ELj8ELb1ELb0ELb1EEEvllPKT_S7_PKT0_SA_PS5_SB_.uses_flat_scratch, 0
	.set _ZN2at6native12_GLOBAL__N_135GammaBetaBackwardCUDAKernelTemplateIN3c108BFloat16EfLj64ELj1ELj8ELb1ELb0ELb1EEEvllPKT_S7_PKT0_SA_PS5_SB_.has_dyn_sized_stack, 0
	.set _ZN2at6native12_GLOBAL__N_135GammaBetaBackwardCUDAKernelTemplateIN3c108BFloat16EfLj64ELj1ELj8ELb1ELb0ELb1EEEvllPKT_S7_PKT0_SA_PS5_SB_.has_recursion, 0
	.set _ZN2at6native12_GLOBAL__N_135GammaBetaBackwardCUDAKernelTemplateIN3c108BFloat16EfLj64ELj1ELj8ELb1ELb0ELb1EEEvllPKT_S7_PKT0_SA_PS5_SB_.has_indirect_call, 0
	.section	.AMDGPU.csdata,"",@progbits
; Kernel info:
; codeLenInByte = 6220
; TotalNumSgprs: 44
; NumVgprs: 118
; NumAgprs: 0
; TotalNumVgprs: 118
; ScratchSize: 0
; MemoryBound: 0
; FloatMode: 240
; IeeeMode: 1
; LDSByteSize: 0 bytes/workgroup (compile time only)
; SGPRBlocks: 5
; VGPRBlocks: 14
; NumSGPRsForWavesPerEU: 44
; NumVGPRsForWavesPerEU: 118
; AccumOffset: 120
; Occupancy: 4
; WaveLimiterHint : 0
; COMPUTE_PGM_RSRC2:SCRATCH_EN: 0
; COMPUTE_PGM_RSRC2:USER_SGPR: 2
; COMPUTE_PGM_RSRC2:TRAP_HANDLER: 0
; COMPUTE_PGM_RSRC2:TGID_X_EN: 1
; COMPUTE_PGM_RSRC2:TGID_Y_EN: 1
; COMPUTE_PGM_RSRC2:TGID_Z_EN: 0
; COMPUTE_PGM_RSRC2:TIDIG_COMP_CNT: 1
; COMPUTE_PGM_RSRC3_GFX90A:ACCUM_OFFSET: 29
; COMPUTE_PGM_RSRC3_GFX90A:TG_SPLIT: 0
	.section	.text._ZN2at6native12_GLOBAL__N_135GammaBetaBackwardCUDAKernelTemplateIN3c108BFloat16EfLj64ELj8ELj64ELb0ELb1ELb1EEEvllPKT_S7_PKT0_SA_PS5_SB_,"axG",@progbits,_ZN2at6native12_GLOBAL__N_135GammaBetaBackwardCUDAKernelTemplateIN3c108BFloat16EfLj64ELj8ELj64ELb0ELb1ELb1EEEvllPKT_S7_PKT0_SA_PS5_SB_,comdat
	.globl	_ZN2at6native12_GLOBAL__N_135GammaBetaBackwardCUDAKernelTemplateIN3c108BFloat16EfLj64ELj8ELj64ELb0ELb1ELb1EEEvllPKT_S7_PKT0_SA_PS5_SB_ ; -- Begin function _ZN2at6native12_GLOBAL__N_135GammaBetaBackwardCUDAKernelTemplateIN3c108BFloat16EfLj64ELj8ELj64ELb0ELb1ELb1EEEvllPKT_S7_PKT0_SA_PS5_SB_
	.p2align	8
	.type	_ZN2at6native12_GLOBAL__N_135GammaBetaBackwardCUDAKernelTemplateIN3c108BFloat16EfLj64ELj8ELj64ELb0ELb1ELb1EEEvllPKT_S7_PKT0_SA_PS5_SB_,@function
_ZN2at6native12_GLOBAL__N_135GammaBetaBackwardCUDAKernelTemplateIN3c108BFloat16EfLj64ELj8ELj64ELb0ELb1ELb1EEEvllPKT_S7_PKT0_SA_PS5_SB_: ; @_ZN2at6native12_GLOBAL__N_135GammaBetaBackwardCUDAKernelTemplateIN3c108BFloat16EfLj64ELj8ELj64ELb0ELb1ELb1EEEvllPKT_S7_PKT0_SA_PS5_SB_
; %bb.0:
	s_load_dwordx4 s[4:7], s[0:1], 0x0
	s_lshl_b32 s14, s3, 6
	s_mov_b32 s15, 0
	v_mov_b64_e32 v[2:3], s[14:15]
	v_bfe_u32 v12, v0, 10, 10
	s_waitcnt lgkmcnt(0)
	v_cmp_gt_i64_e32 vcc, s[4:5], v[2:3]
	s_cbranch_vccnz .LBB192_2
; %bb.1:
	s_mov_b64 s[8:9], 0
	v_bfe_u32 v2, v0, 10, 10
	s_branch .LBB192_3
.LBB192_2:
	s_mov_b64 s[8:9], -1
                                        ; implicit-def: $vgpr2
.LBB192_3:
	s_load_dwordx2 s[12:13], s[0:1], 0x30
	v_and_b32_e32 v10, 0x3ff, v0
	v_mov_b32_e32 v1, 0
	s_andn2_b64 vcc, exec, s[8:9]
	v_mbcnt_lo_u32_b32 v11, -1, 0
	s_cbranch_vccnz .LBB192_11
; %bb.4:
	s_load_dword s3, s[0:1], 0x4c
	s_load_dword s16, s[0:1], 0x44
	s_load_dwordx2 s[18:19], s[0:1], 0x28
	s_load_dwordx4 s[8:11], s[0:1], 0x10
	v_lshlrev_b32_e32 v0, 3, v12
	s_waitcnt lgkmcnt(0)
	s_and_b32 s0, s3, 0xffff
	v_mad_u32_u24 v1, v12, s0, v10
	v_and_b32_e32 v2, 63, v1
	v_mov_b32_e32 v1, 0
	v_mov_b32_e32 v3, v1
	v_lshl_add_u64 v[8:9], v[0:1], 0, s[14:15]
	v_cmp_gt_u32_e64 s[0:1], 8, v2
	v_mbcnt_hi_u32_b32 v4, -1, v11
	s_lshl_b32 s16, s16, 6
	v_lshl_add_u64 v[2:3], v[8:9], 0, v[2:3]
	v_mul_lo_u32 v0, s7, v8
	v_mul_lo_u32 v21, s6, v9
	v_mad_u64_u32 v[8:9], s[20:21], s6, v8, 0
	v_lshl_add_u32 v6, s2, 6, v10
	v_mov_b32_e32 v7, v1
	v_lshlrev_b32_e32 v4, 2, v4
	s_mul_i32 s3, s7, s16
	s_mul_hi_u32 s20, s6, s16
	s_mov_b32 s17, 0
	v_and_b32_e32 v13, 0x100, v4
	v_add3_u32 v9, v9, v21, v0
	v_lshlrev_b64 v[6:7], 1, v[6:7]
	s_add_i32 s21, s20, s3
	s_mul_i32 s20, s6, s16
	v_or_b32_e32 v14, 4, v13
	v_or_b32_e32 v15, 8, v13
	;; [unrolled: 1-line block ×7, first 2 shown]
	v_lshl_add_u64 v[4:5], v[2:3], 2, s[18:19]
	s_lshl_b64 s[18:19], s[16:17], 2
	v_lshl_add_u64 v[6:7], v[8:9], 1, v[6:7]
	s_lshl_b64 s[20:21], s[20:21], 1
	s_lshl_b64 s[6:7], s[6:7], 1
	v_mov_b64_e32 v[8:9], s[4:5]
	s_branch .LBB192_7
.LBB192_5:                              ;   in Loop: Header=BB192_7 Depth=1
	s_or_b64 exec, exec, s[24:25]
.LBB192_6:                              ;   in Loop: Header=BB192_7 Depth=1
	s_or_b64 exec, exec, s[22:23]
	v_lshl_add_u64 v[22:23], s[8:9], 0, v[6:7]
	v_lshl_add_u64 v[24:25], s[10:11], 0, v[6:7]
	;; [unrolled: 1-line block ×5, first 2 shown]
	global_load_ushort v21, v[22:23], off
	global_load_ushort v34, v[24:25], off
	;; [unrolled: 1-line block ×4, first 2 shown]
	v_lshl_add_u64 v[32:33], v[28:29], 0, s[6:7]
	v_lshl_add_u64 v[22:23], v[30:31], 0, s[6:7]
	global_load_ushort v37, v[30:31], off
	global_load_ushort v38, v[32:33], off
	v_lshl_add_u64 v[24:25], v[32:33], 0, s[6:7]
	global_load_ushort v39, v[22:23], off
	global_load_ushort v40, v[24:25], off
	v_lshl_add_u64 v[22:23], v[22:23], 0, s[6:7]
	v_lshl_add_u64 v[24:25], v[24:25], 0, s[6:7]
	global_load_ushort v41, v[22:23], off
	global_load_ushort v42, v[24:25], off
	v_lshl_add_u64 v[22:23], v[22:23], 0, s[6:7]
	;; [unrolled: 4-line block ×4, first 2 shown]
	v_lshl_add_u64 v[24:25], v[24:25], 0, s[6:7]
	global_load_ushort v47, v[22:23], off
	global_load_ushort v48, v[24:25], off
	s_waitcnt vmcnt(16)
	ds_bpermute_b32 v22, v13, v0
	ds_bpermute_b32 v23, v14, v0
	;; [unrolled: 1-line block ×8, first 2 shown]
	s_add_u32 s14, s14, s16
	s_addc_u32 s15, s15, 0
	v_cmp_lt_i64_e32 vcc, s[14:15], v[8:9]
	v_lshl_add_u64 v[4:5], v[4:5], 0, s[18:19]
	v_lshl_add_u64 v[2:3], v[2:3], 0, s[16:17]
	;; [unrolled: 1-line block ×3, first 2 shown]
	s_and_b64 vcc, exec, vcc
	s_waitcnt vmcnt(15)
	v_lshlrev_b32_e32 v30, 16, v21
	s_waitcnt vmcnt(14)
	v_lshlrev_b32_e32 v32, 16, v34
	;; [unrolled: 2-line block ×4, first 2 shown]
	v_pk_mul_f32 v[30:31], v[30:31], v[32:33]
	s_waitcnt vmcnt(11)
	v_lshlrev_b32_e32 v32, 16, v37
	s_waitcnt vmcnt(10)
	v_lshlrev_b32_e32 v34, 16, v38
	s_waitcnt lgkmcnt(6)
	v_pk_mul_f32 v[22:23], v[30:31], v[22:23]
	s_waitcnt vmcnt(9)
	v_lshlrev_b32_e32 v33, 16, v39
	s_waitcnt vmcnt(8)
	v_lshlrev_b32_e32 v35, 16, v40
	v_add_f32_e32 v21, v1, v22
	v_pk_mul_f32 v[0:1], v[32:33], v[34:35]
	s_waitcnt vmcnt(7)
	v_lshlrev_b32_e32 v22, 16, v41
	s_waitcnt vmcnt(6)
	v_lshlrev_b32_e32 v30, 16, v42
	v_add_f32_e32 v21, v21, v23
	s_waitcnt lgkmcnt(4)
	v_pk_mul_f32 v[0:1], v[0:1], v[24:25]
	s_waitcnt vmcnt(5)
	v_lshlrev_b32_e32 v23, 16, v43
	s_waitcnt vmcnt(4)
	v_lshlrev_b32_e32 v31, 16, v44
	v_add_f32_e32 v21, v21, v0
	v_pk_mul_f32 v[22:23], v[22:23], v[30:31]
	s_waitcnt vmcnt(3)
	v_lshlrev_b32_e32 v0, 16, v45
	s_waitcnt vmcnt(2)
	v_lshlrev_b32_e32 v24, 16, v46
	v_add_f32_e32 v21, v21, v1
	s_waitcnt lgkmcnt(2)
	v_pk_mul_f32 v[22:23], v[22:23], v[26:27]
	s_waitcnt vmcnt(1)
	v_lshlrev_b32_e32 v1, 16, v47
	s_waitcnt vmcnt(0)
	v_lshlrev_b32_e32 v25, 16, v48
	v_add_f32_e32 v21, v21, v22
	v_pk_mul_f32 v[0:1], v[0:1], v[24:25]
	v_add_f32_e32 v21, v21, v23
	s_waitcnt lgkmcnt(0)
	v_pk_mul_f32 v[0:1], v[0:1], v[28:29]
	s_nop 0
	v_add_f32_e32 v0, v21, v0
	v_add_f32_e32 v1, v0, v1
	s_cbranch_vccz .LBB192_10
.LBB192_7:                              ; =>This Inner Loop Header: Depth=1
	v_mov_b32_e32 v0, 0
	s_and_saveexec_b64 s[22:23], s[0:1]
	s_cbranch_execz .LBB192_6
; %bb.8:                                ;   in Loop: Header=BB192_7 Depth=1
	v_cmp_gt_i64_e32 vcc, s[4:5], v[2:3]
	v_mov_b32_e32 v0, 0
	s_and_saveexec_b64 s[24:25], vcc
	s_cbranch_execz .LBB192_5
; %bb.9:                                ;   in Loop: Header=BB192_7 Depth=1
	global_load_dword v0, v[4:5], off
	s_branch .LBB192_5
.LBB192_10:
	v_mov_b32_e32 v2, v12
.LBB192_11:
	s_movk_i32 s0, 0x41
	v_mad_u32_u24 v0, v2, s0, v10
	v_lshl_add_u32 v0, v0, 2, 0
	ds_write_b32 v0, v1
	v_mov_b32_e32 v1, 0
	ds_write_b32 v0, v1 offset:2080
	v_lshrrev_b32_e32 v0, 6, v10
	v_add_u32_e32 v0, v0, v2
	v_cmp_gt_u32_e32 vcc, 64, v0
	s_waitcnt lgkmcnt(0)
	s_barrier
	s_and_saveexec_b64 s[0:1], vcc
	s_cbranch_execz .LBB192_51
; %bb.12:
	v_and_b32_e32 v1, 63, v10
	v_cmp_gt_u32_e64 s[0:1], 8, v1
	v_mul_u32_u24_e32 v2, 0x41, v1
                                        ; implicit-def: $vgpr1
	s_and_saveexec_b64 s[4:5], s[0:1]
; %bb.13:
	v_lshlrev_b32_e32 v1, 2, v0
	v_lshlrev_b32_e32 v3, 2, v2
	v_add3_u32 v1, 0, v1, v3
	ds_read_b32 v1, v1
; %bb.14:
	s_or_b64 exec, exec, s[4:5]
	v_mbcnt_hi_u32_b32 v5, -1, v11
	v_and_b32_e32 v3, 64, v5
	v_add_u32_e32 v6, 64, v3
	v_xor_b32_e32 v3, 4, v5
	v_cmp_lt_i32_e32 vcc, v3, v6
	v_xor_b32_e32 v7, 2, v5
	s_cmp_lg_u64 s[12:13], 0
	v_cndmask_b32_e32 v3, v5, v3, vcc
	v_lshlrev_b32_e32 v3, 2, v3
	s_waitcnt lgkmcnt(0)
	ds_bpermute_b32 v4, v3, v1
	v_cmp_lt_i32_e32 vcc, v7, v6
	s_mov_b32 s3, 0
	s_cselect_b64 s[6:7], -1, 0
	s_lshl_b64 s[2:3], s[2:3], 7
	s_waitcnt lgkmcnt(0)
	v_add_f32_e32 v1, v1, v4
	v_cndmask_b32_e32 v4, v5, v7, vcc
	v_lshlrev_b32_e32 v4, 2, v4
	ds_bpermute_b32 v7, v4, v1
	v_cmp_eq_u32_e32 vcc, 0, v10
	s_waitcnt lgkmcnt(0)
	v_add_f32_e32 v1, v1, v7
	v_xor_b32_e32 v7, 1, v5
	v_cmp_lt_i32_e64 s[4:5], v7, v6
	s_nop 1
	v_cndmask_b32_e64 v5, v5, v7, s[4:5]
	v_lshlrev_b32_e32 v5, 2, v5
	ds_bpermute_b32 v6, v5, v1
	s_and_b64 s[4:5], vcc, s[6:7]
	s_add_u32 s2, s12, s2
	s_addc_u32 s3, s13, s3
	s_waitcnt lgkmcnt(0)
	v_add_f32_e32 v6, v1, v6
	s_and_saveexec_b64 s[6:7], s[4:5]
	s_cbranch_execz .LBB192_16
; %bb.15:
	v_bfe_u32 v7, v6, 16, 1
	s_movk_i32 s8, 0x7fff
	v_mov_b32_e32 v1, 0
	v_add3_u32 v7, v6, v7, s8
	v_cmp_o_f32_e32 vcc, v6, v6
	v_mov_b32_e32 v8, 0x7fc0
	s_nop 0
	v_cndmask_b32_sdwa v7, v8, v7, vcc dst_sel:DWORD dst_unused:UNUSED_PAD src0_sel:DWORD src1_sel:WORD_1
	v_lshl_add_u64 v[8:9], v[0:1], 1, s[2:3]
	global_store_short v[8:9], v7, off
.LBB192_16:
	s_or_b64 exec, exec, s[6:7]
	v_cmp_gt_u32_e32 vcc, 56, v0
	s_and_b64 exec, exec, vcc
	s_cbranch_execz .LBB192_51
; %bb.17:
	s_and_saveexec_b64 s[6:7], s[0:1]
; %bb.18:
	v_lshlrev_b32_e32 v1, 2, v0
	v_lshlrev_b32_e32 v6, 2, v2
	v_add3_u32 v1, 0, v1, v6
	ds_read_b32 v6, v1 offset:32
; %bb.19:
	s_or_b64 exec, exec, s[6:7]
	s_waitcnt lgkmcnt(0)
	ds_bpermute_b32 v1, v3, v6
	s_waitcnt lgkmcnt(0)
	v_add_f32_e32 v1, v6, v1
	ds_bpermute_b32 v6, v4, v1
	s_waitcnt lgkmcnt(0)
	v_add_f32_e32 v1, v1, v6
	ds_bpermute_b32 v6, v5, v1
	s_waitcnt lgkmcnt(0)
	v_add_f32_e32 v6, v1, v6
	s_and_saveexec_b64 s[6:7], s[4:5]
	s_cbranch_execz .LBB192_21
; %bb.20:
	v_bfe_u32 v1, v6, 16, 1
	s_movk_i32 s8, 0x7fff
	v_add3_u32 v1, v6, v1, s8
	v_cmp_o_f32_e32 vcc, v6, v6
	v_mov_b32_e32 v7, 0x7fc0
	s_nop 0
	v_cndmask_b32_sdwa v7, v7, v1, vcc dst_sel:DWORD dst_unused:UNUSED_PAD src0_sel:DWORD src1_sel:WORD_1
	v_mov_b32_e32 v1, 0
	v_lshl_add_u64 v[8:9], v[0:1], 1, s[2:3]
	global_store_short v[8:9], v7, off offset:16
.LBB192_21:
	s_or_b64 exec, exec, s[6:7]
	v_cmp_gt_u32_e32 vcc, 48, v0
	s_and_b64 exec, exec, vcc
	s_cbranch_execz .LBB192_51
; %bb.22:
	s_and_saveexec_b64 s[6:7], s[0:1]
; %bb.23:
	v_lshlrev_b32_e32 v1, 2, v0
	v_lshlrev_b32_e32 v6, 2, v2
	v_add3_u32 v1, 0, v1, v6
	ds_read_b32 v6, v1 offset:64
; %bb.24:
	s_or_b64 exec, exec, s[6:7]
	s_waitcnt lgkmcnt(0)
	ds_bpermute_b32 v1, v3, v6
	s_waitcnt lgkmcnt(0)
	v_add_f32_e32 v1, v6, v1
	ds_bpermute_b32 v6, v4, v1
	s_waitcnt lgkmcnt(0)
	v_add_f32_e32 v1, v1, v6
	ds_bpermute_b32 v6, v5, v1
	s_waitcnt lgkmcnt(0)
	v_add_f32_e32 v6, v1, v6
	s_and_saveexec_b64 s[6:7], s[4:5]
	s_cbranch_execz .LBB192_26
; %bb.25:
	v_bfe_u32 v1, v6, 16, 1
	s_movk_i32 s8, 0x7fff
	v_add3_u32 v1, v6, v1, s8
	v_cmp_o_f32_e32 vcc, v6, v6
	v_mov_b32_e32 v7, 0x7fc0
	s_nop 0
	v_cndmask_b32_sdwa v7, v7, v1, vcc dst_sel:DWORD dst_unused:UNUSED_PAD src0_sel:DWORD src1_sel:WORD_1
	v_mov_b32_e32 v1, 0
	v_lshl_add_u64 v[8:9], v[0:1], 1, s[2:3]
	global_store_short v[8:9], v7, off offset:32
.LBB192_26:
	;; [unrolled: 37-line block ×6, first 2 shown]
	s_or_b64 exec, exec, s[6:7]
	v_cmp_gt_u32_e32 vcc, 8, v0
	s_and_b64 exec, exec, vcc
	s_cbranch_execz .LBB192_51
; %bb.47:
	s_and_saveexec_b64 s[6:7], s[0:1]
; %bb.48:
	v_lshlrev_b32_e32 v1, 2, v0
	v_lshlrev_b32_e32 v2, 2, v2
	v_add3_u32 v1, 0, v1, v2
	ds_read_b32 v6, v1 offset:224
; %bb.49:
	s_or_b64 exec, exec, s[6:7]
	s_waitcnt lgkmcnt(0)
	ds_bpermute_b32 v1, v3, v6
	s_waitcnt lgkmcnt(0)
	v_add_f32_e32 v1, v6, v1
	ds_bpermute_b32 v2, v4, v1
	s_waitcnt lgkmcnt(0)
	v_add_f32_e32 v1, v1, v2
	ds_bpermute_b32 v2, v5, v1
	s_and_saveexec_b64 s[0:1], s[4:5]
	s_xor_b64 s[0:1], exec, s[0:1]
	s_cbranch_execz .LBB192_51
; %bb.50:
	s_waitcnt lgkmcnt(0)
	v_add_f32_e32 v1, v1, v2
	v_bfe_u32 v2, v1, 16, 1
	s_movk_i32 s0, 0x7fff
	v_add3_u32 v2, v1, v2, s0
	v_cmp_o_f32_e32 vcc, v1, v1
	v_mov_b32_e32 v1, 0x7fc0
	s_nop 0
	v_cndmask_b32_sdwa v2, v1, v2, vcc dst_sel:DWORD dst_unused:UNUSED_PAD src0_sel:DWORD src1_sel:WORD_1
	v_mov_b32_e32 v1, 0
	v_lshl_add_u64 v[0:1], v[0:1], 1, s[2:3]
	global_store_short v[0:1], v2, off offset:112
.LBB192_51:
	s_endpgm
	.section	.rodata,"a",@progbits
	.p2align	6, 0x0
	.amdhsa_kernel _ZN2at6native12_GLOBAL__N_135GammaBetaBackwardCUDAKernelTemplateIN3c108BFloat16EfLj64ELj8ELj64ELb0ELb1ELb1EEEvllPKT_S7_PKT0_SA_PS5_SB_
		.amdhsa_group_segment_fixed_size 0
		.amdhsa_private_segment_fixed_size 0
		.amdhsa_kernarg_size 320
		.amdhsa_user_sgpr_count 2
		.amdhsa_user_sgpr_dispatch_ptr 0
		.amdhsa_user_sgpr_queue_ptr 0
		.amdhsa_user_sgpr_kernarg_segment_ptr 1
		.amdhsa_user_sgpr_dispatch_id 0
		.amdhsa_user_sgpr_kernarg_preload_length 0
		.amdhsa_user_sgpr_kernarg_preload_offset 0
		.amdhsa_user_sgpr_private_segment_size 0
		.amdhsa_uses_dynamic_stack 0
		.amdhsa_enable_private_segment 0
		.amdhsa_system_sgpr_workgroup_id_x 1
		.amdhsa_system_sgpr_workgroup_id_y 1
		.amdhsa_system_sgpr_workgroup_id_z 0
		.amdhsa_system_sgpr_workgroup_info 0
		.amdhsa_system_vgpr_workitem_id 1
		.amdhsa_next_free_vgpr 49
		.amdhsa_next_free_sgpr 26
		.amdhsa_accum_offset 52
		.amdhsa_reserve_vcc 1
		.amdhsa_float_round_mode_32 0
		.amdhsa_float_round_mode_16_64 0
		.amdhsa_float_denorm_mode_32 3
		.amdhsa_float_denorm_mode_16_64 3
		.amdhsa_dx10_clamp 1
		.amdhsa_ieee_mode 1
		.amdhsa_fp16_overflow 0
		.amdhsa_tg_split 0
		.amdhsa_exception_fp_ieee_invalid_op 0
		.amdhsa_exception_fp_denorm_src 0
		.amdhsa_exception_fp_ieee_div_zero 0
		.amdhsa_exception_fp_ieee_overflow 0
		.amdhsa_exception_fp_ieee_underflow 0
		.amdhsa_exception_fp_ieee_inexact 0
		.amdhsa_exception_int_div_zero 0
	.end_amdhsa_kernel
	.section	.text._ZN2at6native12_GLOBAL__N_135GammaBetaBackwardCUDAKernelTemplateIN3c108BFloat16EfLj64ELj8ELj64ELb0ELb1ELb1EEEvllPKT_S7_PKT0_SA_PS5_SB_,"axG",@progbits,_ZN2at6native12_GLOBAL__N_135GammaBetaBackwardCUDAKernelTemplateIN3c108BFloat16EfLj64ELj8ELj64ELb0ELb1ELb1EEEvllPKT_S7_PKT0_SA_PS5_SB_,comdat
.Lfunc_end192:
	.size	_ZN2at6native12_GLOBAL__N_135GammaBetaBackwardCUDAKernelTemplateIN3c108BFloat16EfLj64ELj8ELj64ELb0ELb1ELb1EEEvllPKT_S7_PKT0_SA_PS5_SB_, .Lfunc_end192-_ZN2at6native12_GLOBAL__N_135GammaBetaBackwardCUDAKernelTemplateIN3c108BFloat16EfLj64ELj8ELj64ELb0ELb1ELb1EEEvllPKT_S7_PKT0_SA_PS5_SB_
                                        ; -- End function
	.set _ZN2at6native12_GLOBAL__N_135GammaBetaBackwardCUDAKernelTemplateIN3c108BFloat16EfLj64ELj8ELj64ELb0ELb1ELb1EEEvllPKT_S7_PKT0_SA_PS5_SB_.num_vgpr, 49
	.set _ZN2at6native12_GLOBAL__N_135GammaBetaBackwardCUDAKernelTemplateIN3c108BFloat16EfLj64ELj8ELj64ELb0ELb1ELb1EEEvllPKT_S7_PKT0_SA_PS5_SB_.num_agpr, 0
	.set _ZN2at6native12_GLOBAL__N_135GammaBetaBackwardCUDAKernelTemplateIN3c108BFloat16EfLj64ELj8ELj64ELb0ELb1ELb1EEEvllPKT_S7_PKT0_SA_PS5_SB_.numbered_sgpr, 26
	.set _ZN2at6native12_GLOBAL__N_135GammaBetaBackwardCUDAKernelTemplateIN3c108BFloat16EfLj64ELj8ELj64ELb0ELb1ELb1EEEvllPKT_S7_PKT0_SA_PS5_SB_.num_named_barrier, 0
	.set _ZN2at6native12_GLOBAL__N_135GammaBetaBackwardCUDAKernelTemplateIN3c108BFloat16EfLj64ELj8ELj64ELb0ELb1ELb1EEEvllPKT_S7_PKT0_SA_PS5_SB_.private_seg_size, 0
	.set _ZN2at6native12_GLOBAL__N_135GammaBetaBackwardCUDAKernelTemplateIN3c108BFloat16EfLj64ELj8ELj64ELb0ELb1ELb1EEEvllPKT_S7_PKT0_SA_PS5_SB_.uses_vcc, 1
	.set _ZN2at6native12_GLOBAL__N_135GammaBetaBackwardCUDAKernelTemplateIN3c108BFloat16EfLj64ELj8ELj64ELb0ELb1ELb1EEEvllPKT_S7_PKT0_SA_PS5_SB_.uses_flat_scratch, 0
	.set _ZN2at6native12_GLOBAL__N_135GammaBetaBackwardCUDAKernelTemplateIN3c108BFloat16EfLj64ELj8ELj64ELb0ELb1ELb1EEEvllPKT_S7_PKT0_SA_PS5_SB_.has_dyn_sized_stack, 0
	.set _ZN2at6native12_GLOBAL__N_135GammaBetaBackwardCUDAKernelTemplateIN3c108BFloat16EfLj64ELj8ELj64ELb0ELb1ELb1EEEvllPKT_S7_PKT0_SA_PS5_SB_.has_recursion, 0
	.set _ZN2at6native12_GLOBAL__N_135GammaBetaBackwardCUDAKernelTemplateIN3c108BFloat16EfLj64ELj8ELj64ELb0ELb1ELb1EEEvllPKT_S7_PKT0_SA_PS5_SB_.has_indirect_call, 0
	.section	.AMDGPU.csdata,"",@progbits
; Kernel info:
; codeLenInByte = 2576
; TotalNumSgprs: 32
; NumVgprs: 49
; NumAgprs: 0
; TotalNumVgprs: 49
; ScratchSize: 0
; MemoryBound: 0
; FloatMode: 240
; IeeeMode: 1
; LDSByteSize: 0 bytes/workgroup (compile time only)
; SGPRBlocks: 3
; VGPRBlocks: 6
; NumSGPRsForWavesPerEU: 32
; NumVGPRsForWavesPerEU: 49
; AccumOffset: 52
; Occupancy: 8
; WaveLimiterHint : 0
; COMPUTE_PGM_RSRC2:SCRATCH_EN: 0
; COMPUTE_PGM_RSRC2:USER_SGPR: 2
; COMPUTE_PGM_RSRC2:TRAP_HANDLER: 0
; COMPUTE_PGM_RSRC2:TGID_X_EN: 1
; COMPUTE_PGM_RSRC2:TGID_Y_EN: 1
; COMPUTE_PGM_RSRC2:TGID_Z_EN: 0
; COMPUTE_PGM_RSRC2:TIDIG_COMP_CNT: 1
; COMPUTE_PGM_RSRC3_GFX90A:ACCUM_OFFSET: 12
; COMPUTE_PGM_RSRC3_GFX90A:TG_SPLIT: 0
	.section	.text._ZN2at6native12_GLOBAL__N_135GammaBetaBackwardCUDAKernelTemplateIN3c108BFloat16EfLj64ELj8ELj64ELb0ELb0ELb1EEEvllPKT_S7_PKT0_SA_PS5_SB_,"axG",@progbits,_ZN2at6native12_GLOBAL__N_135GammaBetaBackwardCUDAKernelTemplateIN3c108BFloat16EfLj64ELj8ELj64ELb0ELb0ELb1EEEvllPKT_S7_PKT0_SA_PS5_SB_,comdat
	.globl	_ZN2at6native12_GLOBAL__N_135GammaBetaBackwardCUDAKernelTemplateIN3c108BFloat16EfLj64ELj8ELj64ELb0ELb0ELb1EEEvllPKT_S7_PKT0_SA_PS5_SB_ ; -- Begin function _ZN2at6native12_GLOBAL__N_135GammaBetaBackwardCUDAKernelTemplateIN3c108BFloat16EfLj64ELj8ELj64ELb0ELb0ELb1EEEvllPKT_S7_PKT0_SA_PS5_SB_
	.p2align	8
	.type	_ZN2at6native12_GLOBAL__N_135GammaBetaBackwardCUDAKernelTemplateIN3c108BFloat16EfLj64ELj8ELj64ELb0ELb0ELb1EEEvllPKT_S7_PKT0_SA_PS5_SB_,@function
_ZN2at6native12_GLOBAL__N_135GammaBetaBackwardCUDAKernelTemplateIN3c108BFloat16EfLj64ELj8ELj64ELb0ELb0ELb1EEEvllPKT_S7_PKT0_SA_PS5_SB_: ; @_ZN2at6native12_GLOBAL__N_135GammaBetaBackwardCUDAKernelTemplateIN3c108BFloat16EfLj64ELj8ELj64ELb0ELb0ELb1EEEvllPKT_S7_PKT0_SA_PS5_SB_
; %bb.0:
	s_load_dwordx8 s[8:15], s[0:1], 0x0
	s_load_dwordx2 s[16:17], s[0:1], 0x28
	s_lshl_b32 s33, s2, 6
	s_mov_b32 s19, 0
	s_lshl_b32 s18, s3, 6
	s_or_b32 s4, s33, 63
	v_mov_b64_e32 v[4:5], s[18:19]
	v_mov_b32_e32 v2, s4
	v_mov_b32_e32 v3, 0
	s_waitcnt lgkmcnt(0)
	v_cmp_gt_i64_e64 s[4:5], s[8:9], v[4:5]
	v_cmp_le_i64_e32 vcc, s[10:11], v[2:3]
	s_nop 0
	v_cndmask_b32_e64 v1, 0, 1, s[4:5]
	v_cmp_ne_u32_e64 s[4:5], 1, v1
	s_cbranch_vccz .LBB193_49
; %bb.1:
	s_and_b64 vcc, exec, s[4:5]
	s_cbranch_vccnz .LBB193_50
; %bb.2:
	v_and_b32_e32 v1, 0x3ff, v0
	v_mov_b32_e32 v2, 0
	v_bfe_u32 v58, v0, 10, 10
	v_add_u32_e32 v4, s33, v1
	v_mov_b32_e32 v5, v2
	v_lshlrev_b32_e32 v20, 3, v58
	v_mov_b32_e32 v21, v2
	v_cmp_gt_i64_e64 s[6:7], s[10:11], v[4:5]
	v_lshlrev_b64 v[22:23], 1, v[4:5]
	v_lshl_add_u64 v[4:5], v[20:21], 0, s[18:19]
	v_mul_lo_u32 v3, s11, v4
	v_mul_lo_u32 v8, s10, v5
	v_mad_u64_u32 v[6:7], s[22:23], s10, v4, 0
	v_add3_u32 v7, v7, v8, v3
	v_lshlrev_b64 v[6:7], 1, v[6:7]
	v_lshl_add_u64 v[24:25], s[12:13], 0, v[6:7]
	v_lshl_add_u64 v[26:27], s[14:15], 0, v[6:7]
	v_lshl_add_u64 v[6:7], v[4:5], 0, 7
	v_mul_lo_u32 v9, s11, v6
	v_mul_lo_u32 v10, s10, v7
	v_mad_u64_u32 v[6:7], s[24:25], s10, v6, 0
	v_add3_u32 v7, v7, v10, v9
	v_lshlrev_b64 v[6:7], 1, v[6:7]
	v_lshl_add_u64 v[28:29], s[12:13], 0, v[6:7]
	v_lshl_add_u64 v[30:31], s[14:15], 0, v[6:7]
	;; [unrolled: 8-line block ×5, first 2 shown]
	v_lshl_add_u64 v[6:7], v[4:5], 0, 3
	v_mul_lo_u32 v9, s11, v6
	v_mul_lo_u32 v10, s10, v7
	v_mad_u64_u32 v[6:7], s[24:25], s10, v6, 0
	v_add3_u32 v7, v7, v10, v9
	s_load_dword s3, s[0:1], 0x44
	v_lshlrev_b64 v[6:7], 1, v[6:7]
	v_lshl_add_u64 v[44:45], s[12:13], 0, v[6:7]
	v_lshl_add_u64 v[46:47], s[14:15], 0, v[6:7]
	;; [unrolled: 1-line block ×3, first 2 shown]
	v_mul_lo_u32 v5, s11, v6
	v_mul_lo_u32 v9, s10, v7
	v_mad_u64_u32 v[6:7], s[24:25], s10, v6, 0
	v_add3_u32 v7, v7, v9, v5
	s_add_u32 s20, s0, 64
	v_lshlrev_b64 v[6:7], 1, v[6:7]
	s_addc_u32 s21, s1, 0
	s_waitcnt lgkmcnt(0)
	s_lshl_b32 s3, s3, 6
	v_lshl_add_u64 v[48:49], s[12:13], 0, v[6:7]
	v_lshl_add_u64 v[50:51], s[14:15], 0, v[6:7]
	v_mov_b64_e32 v[6:7], s[10:11]
	s_mul_i32 s22, s11, s3
	s_mul_hi_u32 s23, s10, s3
	v_mad_u64_u32 v[4:5], s[24:25], s10, v4, v[6:7]
	s_add_i32 s23, s23, s22
	s_mul_i32 s22, s10, s3
	v_add3_u32 v5, v3, v5, v8
	v_mbcnt_lo_u32_b32 v3, -1, 0
	s_lshl_b64 s[22:23], s[22:23], 1
	v_mbcnt_hi_u32_b32 v3, -1, v3
	v_lshlrev_b64 v[4:5], 1, v[4:5]
	s_add_u32 s24, s18, 63
	s_movk_i32 s26, 0xffc1
	s_movk_i32 s28, 0xffc2
	;; [unrolled: 1-line block ×8, first 2 shown]
	v_lshlrev_b32_e32 v3, 2, v3
	v_lshl_add_u64 v[52:53], s[12:13], 0, v[4:5]
	v_lshl_add_u64 v[54:55], s[14:15], 0, v[4:5]
	s_addc_u32 s25, 0, 0
	s_mov_b32 s27, -1
	s_mov_b32 s29, -1
	;; [unrolled: 1-line block ×8, first 2 shown]
	v_and_b32_e32 v59, 0x100, v3
	s_mov_b64 s[44:45], s[18:19]
	v_mov_b32_e32 v60, 0
.LBB193_3:                              ; =>This Inner Loop Header: Depth=1
	v_mov_b64_e32 v[4:5], s[8:9]
	v_cmp_ge_i64_e32 vcc, s[24:25], v[4:5]
	v_lshl_add_u64 v[56:57], v[20:21], 0, s[24:25]
	s_mov_b64 s[46:47], -1
	s_and_b64 vcc, exec, vcc
                                        ; implicit-def: $vgpr4_vgpr5_vgpr6_vgpr7_vgpr8_vgpr9_vgpr10_vgpr11
                                        ; implicit-def: $vgpr3
                                        ; implicit-def: $vgpr12_vgpr13_vgpr14_vgpr15_vgpr16_vgpr17_vgpr18_vgpr19
                                        ; implicit-def: $vgpr4
	s_cbranch_vccz .LBB193_25
; %bb.4:                                ;   in Loop: Header=BB193_3 Depth=1
	s_load_dword s46, s[20:21], 0xc
	v_mov_b32_e32 v61, 0
	s_waitcnt lgkmcnt(0)
	s_and_b32 s46, s46, 0xffff
	v_mad_u32_u24 v3, v58, s46, v1
	v_and_b32_e32 v4, 63, v3
	v_cmp_gt_u32_e32 vcc, 8, v4
	s_and_saveexec_b64 s[46:47], vcc
	s_cbranch_execz .LBB193_8
; %bb.5:                                ;   in Loop: Header=BB193_3 Depth=1
	v_mov_b32_e32 v5, v2
	v_lshl_add_u64 v[4:5], v[56:57], 0, v[4:5]
	v_lshl_add_u64 v[4:5], v[4:5], 0, s[26:27]
	v_cmp_gt_i64_e32 vcc, s[8:9], v[4:5]
	v_mov_b32_e32 v61, 0
	s_and_saveexec_b64 s[48:49], vcc
	s_cbranch_execz .LBB193_7
; %bb.6:                                ;   in Loop: Header=BB193_3 Depth=1
	v_lshl_add_u64 v[4:5], v[4:5], 2, s[16:17]
	global_load_dword v61, v[4:5], off
.LBB193_7:                              ;   in Loop: Header=BB193_3 Depth=1
	s_or_b64 exec, exec, s[48:49]
.LBB193_8:                              ;   in Loop: Header=BB193_3 Depth=1
	s_or_b64 exec, exec, s[46:47]
	v_lshl_add_u64 v[4:5], v[56:57], 0, s[26:27]
	v_mov_b32_e32 v8, v2
	v_mov_b32_e32 v9, v2
	v_cmp_gt_i64_e32 vcc, s[8:9], v[4:5]
	v_mov_b32_e32 v3, v2
	v_mov_b32_e32 v4, v2
	;; [unrolled: 1-line block ×5, first 2 shown]
	v_mov_b64_e32 v[18:19], v[8:9]
	v_mov_b64_e32 v[16:17], v[6:7]
	;; [unrolled: 1-line block ×5, first 2 shown]
	s_and_b64 s[48:49], s[6:7], vcc
	v_mov_b64_e32 v[8:9], v[6:7]
	v_mov_b64_e32 v[6:7], v[4:5]
	;; [unrolled: 1-line block ×3, first 2 shown]
	s_and_saveexec_b64 s[46:47], s[48:49]
	s_cbranch_execz .LBB193_10
; %bb.9:                                ;   in Loop: Header=BB193_3 Depth=1
	v_lshl_add_u64 v[4:5], v[24:25], 0, v[22:23]
	global_load_ushort v3, v[4:5], off
	v_lshl_add_u64 v[4:5], v[26:27], 0, v[22:23]
	global_load_ushort v12, v[4:5], off
	v_mov_b32_e32 v5, v2
	v_mov_b32_e32 v6, v2
	;; [unrolled: 1-line block ×14, first 2 shown]
	s_waitcnt vmcnt(1)
	v_lshlrev_b32_e32 v4, 16, v3
	s_waitcnt vmcnt(0)
	v_lshlrev_b32_e32 v12, 16, v12
.LBB193_10:                             ;   in Loop: Header=BB193_3 Depth=1
	s_or_b64 exec, exec, s[46:47]
	v_lshl_add_u64 v[62:63], v[56:57], 0, s[28:29]
	v_cmp_gt_i64_e32 vcc, s[8:9], v[62:63]
	s_and_b64 s[48:49], s[6:7], vcc
	s_and_saveexec_b64 s[46:47], s[48:49]
	s_cbranch_execz .LBB193_12
; %bb.11:                               ;   in Loop: Header=BB193_3 Depth=1
	v_lshl_add_u64 v[62:63], v[52:53], 0, v[22:23]
	global_load_ushort v3, v[62:63], off
	v_lshl_add_u64 v[62:63], v[54:55], 0, v[22:23]
	global_load_ushort v13, v[62:63], off
	s_waitcnt vmcnt(1)
	v_lshlrev_b32_e32 v5, 16, v3
	s_waitcnt vmcnt(0)
	v_lshlrev_b32_e32 v13, 16, v13
.LBB193_12:                             ;   in Loop: Header=BB193_3 Depth=1
	s_or_b64 exec, exec, s[46:47]
	v_lshl_add_u64 v[62:63], v[56:57], 0, s[30:31]
	v_cmp_gt_i64_e32 vcc, s[8:9], v[62:63]
	s_and_b64 s[48:49], s[6:7], vcc
	s_and_saveexec_b64 s[46:47], s[48:49]
	s_cbranch_execz .LBB193_14
; %bb.13:                               ;   in Loop: Header=BB193_3 Depth=1
	v_lshl_add_u64 v[62:63], v[48:49], 0, v[22:23]
	global_load_ushort v3, v[62:63], off
	v_lshl_add_u64 v[62:63], v[50:51], 0, v[22:23]
	global_load_ushort v14, v[62:63], off
	s_waitcnt vmcnt(1)
	v_lshlrev_b32_e32 v6, 16, v3
	s_waitcnt vmcnt(0)
	v_lshlrev_b32_e32 v14, 16, v14
.LBB193_14:                             ;   in Loop: Header=BB193_3 Depth=1
	;; [unrolled: 16-line block ×7, first 2 shown]
	s_or_b64 exec, exec, s[46:47]
	s_waitcnt vmcnt(0)
	ds_bpermute_b32 v3, v59, v61
	ds_bpermute_b32 v62, v59, v61 offset:4
	ds_bpermute_b32 v63, v59, v61 offset:8
	v_mul_f32_e32 v4, v12, v4
	v_pk_mul_f32 v[8:9], v[16:17], v[8:9]
	s_waitcnt lgkmcnt(2)
	v_fma_f32 v16, v4, v3, v60
	v_pk_mul_f32 v[6:7], v[14:15], v[6:7]
	v_mul_f32_e32 v3, v13, v5
	ds_bpermute_b32 v14, v59, v61 offset:12
	ds_bpermute_b32 v15, v59, v61 offset:16
	v_pk_mov_b32 v[12:13], v[2:3], v[6:7] op_sel:[1,0]
	v_pk_mov_b32 v[6:7], v[6:7], v[8:9] op_sel:[1,0]
	s_waitcnt lgkmcnt(2)
	v_pk_mul_f32 v[12:13], v[12:13], v[62:63]
	v_mul_f32_e32 v4, v18, v10
	v_add_f32_e32 v3, v16, v12
	v_add_f32_e32 v3, v3, v13
	ds_bpermute_b32 v12, v59, v61 offset:20
	ds_bpermute_b32 v13, v59, v61 offset:24
	s_waitcnt lgkmcnt(2)
	v_pk_mul_f32 v[6:7], v[6:7], v[14:15]
	s_mov_b64 s[46:47], 0
	v_add_f32_e32 v3, v3, v6
	v_add_f32_e32 v3, v3, v7
	v_pk_mov_b32 v[6:7], v[8:9], v[4:5] op_sel:[1,0]
	ds_bpermute_b32 v4, v59, v61 offset:28
	s_waitcnt lgkmcnt(1)
	v_pk_mul_f32 v[6:7], v[6:7], v[12:13]
	s_nop 0
	v_add_f32_e32 v3, v3, v6
	v_add_f32_e32 v3, v3, v7
.LBB193_25:                             ;   in Loop: Header=BB193_3 Depth=1
	s_and_b64 vcc, exec, s[46:47]
	s_cbranch_vccz .LBB193_40
; %bb.26:                               ;   in Loop: Header=BB193_3 Depth=1
	s_load_dword s46, s[20:21], 0x0
	v_mov_b32_e32 v61, 0
	s_waitcnt lgkmcnt(0)
	s_cmp_lt_u32 s2, s46
	s_cselect_b32 s46, 12, 18
	s_add_u32 s46, s20, s46
	s_addc_u32 s47, s21, 0
	global_load_ushort v3, v2, s[46:47]
	s_waitcnt vmcnt(0)
	v_mad_u32_u24 v3, v58, v3, v1
	v_and_b32_e32 v4, 63, v3
	v_cmp_gt_u32_e32 vcc, 8, v4
	s_and_saveexec_b64 s[46:47], vcc
	s_cbranch_execz .LBB193_30
; %bb.27:                               ;   in Loop: Header=BB193_3 Depth=1
	v_mov_b32_e32 v5, v2
	v_lshl_add_u64 v[4:5], v[56:57], 0, v[4:5]
	v_lshl_add_u64 v[4:5], v[4:5], 0, s[26:27]
	v_cmp_gt_i64_e32 vcc, s[8:9], v[4:5]
	v_mov_b32_e32 v61, 0
	s_and_saveexec_b64 s[48:49], vcc
	s_cbranch_execz .LBB193_29
; %bb.28:                               ;   in Loop: Header=BB193_3 Depth=1
	v_lshl_add_u64 v[4:5], v[4:5], 2, s[16:17]
	global_load_dword v61, v[4:5], off
.LBB193_29:                             ;   in Loop: Header=BB193_3 Depth=1
	s_or_b64 exec, exec, s[48:49]
.LBB193_30:                             ;   in Loop: Header=BB193_3 Depth=1
	s_or_b64 exec, exec, s[46:47]
	v_mov_b32_e32 v8, v2
	v_mov_b32_e32 v9, v2
	;; [unrolled: 1-line block ×7, first 2 shown]
	v_mov_b64_e32 v[18:19], v[8:9]
	v_mov_b64_e32 v[16:17], v[6:7]
	;; [unrolled: 1-line block ×8, first 2 shown]
	s_and_saveexec_b64 s[46:47], s[6:7]
	s_cbranch_execnz .LBB193_42
; %bb.31:                               ;   in Loop: Header=BB193_3 Depth=1
	s_or_b64 exec, exec, s[46:47]
	s_and_saveexec_b64 s[46:47], s[6:7]
	s_cbranch_execnz .LBB193_43
.LBB193_32:                             ;   in Loop: Header=BB193_3 Depth=1
	s_or_b64 exec, exec, s[46:47]
	s_and_saveexec_b64 s[46:47], s[6:7]
	s_cbranch_execnz .LBB193_44
.LBB193_33:                             ;   in Loop: Header=BB193_3 Depth=1
	s_or_b64 exec, exec, s[46:47]
	s_and_saveexec_b64 s[46:47], s[6:7]
	s_cbranch_execnz .LBB193_45
.LBB193_34:                             ;   in Loop: Header=BB193_3 Depth=1
	s_or_b64 exec, exec, s[46:47]
	s_and_saveexec_b64 s[46:47], s[6:7]
	s_cbranch_execnz .LBB193_46
.LBB193_35:                             ;   in Loop: Header=BB193_3 Depth=1
	s_or_b64 exec, exec, s[46:47]
	s_and_saveexec_b64 s[46:47], s[6:7]
	s_cbranch_execnz .LBB193_47
.LBB193_36:                             ;   in Loop: Header=BB193_3 Depth=1
	s_or_b64 exec, exec, s[46:47]
	s_and_saveexec_b64 s[46:47], s[6:7]
	s_cbranch_execnz .LBB193_48
.LBB193_37:                             ;   in Loop: Header=BB193_3 Depth=1
	s_or_b64 exec, exec, s[46:47]
	s_and_saveexec_b64 s[46:47], s[6:7]
	s_cbranch_execz .LBB193_39
.LBB193_38:                             ;   in Loop: Header=BB193_3 Depth=1
	v_lshl_add_u64 v[56:57], v[28:29], 0, v[22:23]
	global_load_ushort v3, v[56:57], off
	v_lshl_add_u64 v[56:57], v[30:31], 0, v[22:23]
	global_load_ushort v19, v[56:57], off
	s_waitcnt vmcnt(1)
	v_lshlrev_b32_e32 v11, 16, v3
	s_waitcnt vmcnt(0)
	v_lshlrev_b32_e32 v19, 16, v19
.LBB193_39:                             ;   in Loop: Header=BB193_3 Depth=1
	s_or_b64 exec, exec, s[46:47]
	s_waitcnt vmcnt(0)
	ds_bpermute_b32 v3, v59, v61
	ds_bpermute_b32 v56, v59, v61 offset:4
	ds_bpermute_b32 v57, v59, v61 offset:8
	v_mul_f32_e32 v4, v12, v4
	v_pk_mul_f32 v[6:7], v[14:15], v[6:7]
	s_waitcnt lgkmcnt(2)
	v_fmac_f32_e32 v60, v4, v3
	v_mul_f32_e32 v3, v13, v5
	v_pk_mov_b32 v[4:5], v[2:3], v[6:7] op_sel:[1,0]
	ds_bpermute_b32 v12, v59, v61 offset:12
	ds_bpermute_b32 v13, v59, v61 offset:16
	s_waitcnt lgkmcnt(2)
	v_pk_mul_f32 v[4:5], v[4:5], v[56:57]
	v_pk_mul_f32 v[8:9], v[16:17], v[8:9]
	v_add_f32_e32 v3, v60, v4
	v_add_f32_e32 v3, v3, v5
	v_pk_mov_b32 v[4:5], v[6:7], v[8:9] op_sel:[1,0]
	ds_bpermute_b32 v6, v59, v61 offset:20
	ds_bpermute_b32 v7, v59, v61 offset:24
	s_waitcnt lgkmcnt(2)
	v_pk_mul_f32 v[4:5], v[4:5], v[12:13]
	v_mul_f32_e32 v10, v18, v10
	v_add_f32_e32 v3, v3, v4
	ds_bpermute_b32 v4, v59, v61 offset:28
	v_pk_mov_b32 v[8:9], v[8:9], v[10:11] op_sel:[1,0]
	v_add_f32_e32 v3, v3, v5
	s_waitcnt lgkmcnt(1)
	v_pk_mul_f32 v[6:7], v[8:9], v[6:7]
	s_nop 0
	v_add_f32_e32 v3, v3, v6
	v_add_f32_e32 v3, v3, v7
.LBB193_40:                             ;   in Loop: Header=BB193_3 Depth=1
	v_mul_f32_e32 v5, v11, v19
	s_add_u32 s44, s44, s3
	s_waitcnt lgkmcnt(0)
	v_fmac_f32_e32 v3, v5, v4
	s_addc_u32 s45, s45, 0
	v_mov_b64_e32 v[4:5], s[8:9]
	s_add_u32 s24, s24, s3
	v_cmp_lt_i64_e32 vcc, s[44:45], v[4:5]
	v_lshl_add_u64 v[24:25], v[24:25], 0, s[22:23]
	v_lshl_add_u64 v[26:27], v[26:27], 0, s[22:23]
	;; [unrolled: 1-line block ×16, first 2 shown]
	s_addc_u32 s25, s25, 0
	s_cbranch_vccz .LBB193_50
; %bb.41:                               ;   in Loop: Header=BB193_3 Depth=1
	v_mov_b32_e32 v60, v3
	s_branch .LBB193_3
.LBB193_42:                             ;   in Loop: Header=BB193_3 Depth=1
	v_lshl_add_u64 v[4:5], v[24:25], 0, v[22:23]
	global_load_ushort v3, v[4:5], off
	v_lshl_add_u64 v[4:5], v[26:27], 0, v[22:23]
	global_load_ushort v12, v[4:5], off
	v_mov_b32_e32 v5, v2
	v_mov_b32_e32 v6, v2
	;; [unrolled: 1-line block ×14, first 2 shown]
	s_waitcnt vmcnt(1)
	v_lshlrev_b32_e32 v4, 16, v3
	s_waitcnt vmcnt(0)
	v_lshlrev_b32_e32 v12, 16, v12
	s_or_b64 exec, exec, s[46:47]
	s_and_saveexec_b64 s[46:47], s[6:7]
	s_cbranch_execz .LBB193_32
.LBB193_43:                             ;   in Loop: Header=BB193_3 Depth=1
	v_lshl_add_u64 v[56:57], v[52:53], 0, v[22:23]
	global_load_ushort v3, v[56:57], off
	v_lshl_add_u64 v[56:57], v[54:55], 0, v[22:23]
	global_load_ushort v13, v[56:57], off
	s_waitcnt vmcnt(1)
	v_lshlrev_b32_e32 v5, 16, v3
	s_waitcnt vmcnt(0)
	v_lshlrev_b32_e32 v13, 16, v13
	s_or_b64 exec, exec, s[46:47]
	s_and_saveexec_b64 s[46:47], s[6:7]
	s_cbranch_execz .LBB193_33
.LBB193_44:                             ;   in Loop: Header=BB193_3 Depth=1
	v_lshl_add_u64 v[56:57], v[48:49], 0, v[22:23]
	global_load_ushort v3, v[56:57], off
	v_lshl_add_u64 v[56:57], v[50:51], 0, v[22:23]
	global_load_ushort v14, v[56:57], off
	s_waitcnt vmcnt(1)
	v_lshlrev_b32_e32 v6, 16, v3
	s_waitcnt vmcnt(0)
	v_lshlrev_b32_e32 v14, 16, v14
	s_or_b64 exec, exec, s[46:47]
	s_and_saveexec_b64 s[46:47], s[6:7]
	s_cbranch_execz .LBB193_34
.LBB193_45:                             ;   in Loop: Header=BB193_3 Depth=1
	v_lshl_add_u64 v[56:57], v[44:45], 0, v[22:23]
	global_load_ushort v3, v[56:57], off
	v_lshl_add_u64 v[56:57], v[46:47], 0, v[22:23]
	global_load_ushort v15, v[56:57], off
	s_waitcnt vmcnt(1)
	v_lshlrev_b32_e32 v7, 16, v3
	s_waitcnt vmcnt(0)
	v_lshlrev_b32_e32 v15, 16, v15
	s_or_b64 exec, exec, s[46:47]
	s_and_saveexec_b64 s[46:47], s[6:7]
	s_cbranch_execz .LBB193_35
.LBB193_46:                             ;   in Loop: Header=BB193_3 Depth=1
	v_lshl_add_u64 v[56:57], v[40:41], 0, v[22:23]
	global_load_ushort v3, v[56:57], off
	v_lshl_add_u64 v[56:57], v[42:43], 0, v[22:23]
	global_load_ushort v16, v[56:57], off
	s_waitcnt vmcnt(1)
	v_lshlrev_b32_e32 v8, 16, v3
	s_waitcnt vmcnt(0)
	v_lshlrev_b32_e32 v16, 16, v16
	s_or_b64 exec, exec, s[46:47]
	s_and_saveexec_b64 s[46:47], s[6:7]
	s_cbranch_execz .LBB193_36
.LBB193_47:                             ;   in Loop: Header=BB193_3 Depth=1
	v_lshl_add_u64 v[56:57], v[36:37], 0, v[22:23]
	global_load_ushort v3, v[56:57], off
	v_lshl_add_u64 v[56:57], v[38:39], 0, v[22:23]
	global_load_ushort v17, v[56:57], off
	s_waitcnt vmcnt(1)
	v_lshlrev_b32_e32 v9, 16, v3
	s_waitcnt vmcnt(0)
	v_lshlrev_b32_e32 v17, 16, v17
	s_or_b64 exec, exec, s[46:47]
	s_and_saveexec_b64 s[46:47], s[6:7]
	s_cbranch_execz .LBB193_37
.LBB193_48:                             ;   in Loop: Header=BB193_3 Depth=1
	v_lshl_add_u64 v[56:57], v[32:33], 0, v[22:23]
	global_load_ushort v3, v[56:57], off
	v_lshl_add_u64 v[56:57], v[34:35], 0, v[22:23]
	global_load_ushort v18, v[56:57], off
	s_waitcnt vmcnt(1)
	v_lshlrev_b32_e32 v10, 16, v3
	s_waitcnt vmcnt(0)
	v_lshlrev_b32_e32 v18, 16, v18
	s_or_b64 exec, exec, s[46:47]
	s_and_saveexec_b64 s[46:47], s[6:7]
	s_cbranch_execnz .LBB193_38
	s_branch .LBB193_39
.LBB193_49:
                                        ; implicit-def: $vgpr3
	s_branch .LBB193_51
.LBB193_50:
	s_cbranch_execnz .LBB193_83
.LBB193_51:
	s_and_b64 vcc, exec, s[4:5]
	v_mov_b32_e32 v3, 0
	s_cbranch_vccnz .LBB193_83
; %bb.52:
	v_mov_b32_e32 v2, 0
	v_bfe_u32 v86, v0, 10, 10
	v_lshlrev_b32_e32 v6, 4, v86
	v_mov_b32_e32 v7, v2
	v_lshl_add_u64 v[6:7], s[18:19], 1, v[6:7]
	v_lshl_add_u64 v[8:9], v[6:7], 0, 2
	v_mov_b64_e32 v[10:11], s[12:13]
	v_lshl_add_u64 v[12:13], v[6:7], 0, 4
	v_lshl_add_u64 v[14:15], v[6:7], 0, 6
	;; [unrolled: 1-line block ×6, first 2 shown]
	v_mad_u64_u32 v[22:23], s[4:5], s10, v8, v[10:11]
	v_mad_u64_u32 v[24:25], s[4:5], s10, v12, v[10:11]
	;; [unrolled: 1-line block ×7, first 2 shown]
	v_mov_b64_e32 v[10:11], s[14:15]
	v_mul_lo_u32 v9, s10, v9
	v_mul_lo_u32 v38, s11, v8
	v_mad_u64_u32 v[36:37], s[4:5], s10, v8, v[10:11]
	v_add3_u32 v23, v38, v23, v9
	v_mul_lo_u32 v13, s10, v13
	v_mul_lo_u32 v40, s11, v12
	v_add3_u32 v37, v38, v37, v9
	v_mad_u64_u32 v[38:39], s[4:5], s10, v12, v[10:11]
	v_add3_u32 v25, v40, v25, v13
	v_mul_lo_u32 v15, s10, v15
	v_mul_lo_u32 v42, s11, v14
	v_add3_u32 v39, v40, v39, v13
	;; [unrolled: 5-line block ×3, first 2 shown]
	v_mad_u64_u32 v[42:43], s[4:5], s10, v16, v[10:11]
	v_lshlrev_b32_e32 v20, 3, v86
	v_mov_b32_e32 v21, v2
	v_add3_u32 v29, v44, v29, v17
	v_mul_lo_u32 v19, s10, v19
	v_mul_lo_u32 v48, s11, v18
	;; [unrolled: 1-line block ×4, first 2 shown]
	v_add3_u32 v43, v44, v43, v17
	v_mad_u64_u32 v[44:45], s[4:5], s10, v18, v[10:11]
	v_mad_u64_u32 v[46:47], s[4:5], s10, v46, v[10:11]
	v_lshl_add_u64 v[4:5], v[20:21], 0, s[18:19]
	v_add3_u32 v31, v48, v31, v19
	v_add3_u32 v33, v51, v33, v49
	v_mul_lo_u32 v7, s10, v7
	v_mul_lo_u32 v8, s11, v6
	v_add3_u32 v45, v48, v45, v19
	v_add3_u32 v47, v51, v47, v49
	v_mad_u64_u32 v[48:49], s[4:5], s10, v6, v[10:11]
	v_add3_u32 v35, v8, v35, v7
	v_add3_u32 v49, v8, v49, v7
	v_lshl_add_u64 v[6:7], v[4:5], 0, 7
	v_mul_lo_u32 v8, s11, v6
	v_mul_lo_u32 v9, s10, v7
	v_mad_u64_u32 v[6:7], s[4:5], s10, v6, 0
	v_add3_u32 v7, v7, v9, v8
	v_lshl_add_u64 v[8:9], v[4:5], 0, 6
	v_mul_lo_u32 v10, s11, v8
	v_mul_lo_u32 v11, s10, v9
	v_mad_u64_u32 v[8:9], s[4:5], s10, v8, 0
	;; [unrolled: 5-line block ×5, first 2 shown]
	v_add3_u32 v15, v15, v17, v16
	v_lshl_add_u64 v[16:17], v[4:5], 0, 2
	v_mul_lo_u32 v50, s10, v5
	v_mul_lo_u32 v5, s11, v16
	;; [unrolled: 1-line block ×3, first 2 shown]
	v_mad_u64_u32 v[16:17], s[4:5], s10, v16, 0
	v_add3_u32 v17, v17, v18, v5
	v_mov_b64_e32 v[18:19], s[10:11]
	v_mul_lo_u32 v3, s11, v4
	v_mad_u64_u32 v[18:19], s[4:5], s10, v4, v[18:19]
	v_mad_u64_u32 v[4:5], s[4:5], s10, v4, 0
	s_load_dword s3, s[0:1], 0x44
	v_add3_u32 v5, v5, v50, v3
	v_lshlrev_b64 v[4:5], 1, v[4:5]
	v_lshl_add_u64 v[52:53], s[12:13], 0, v[4:5]
	v_lshl_add_u64 v[54:55], s[14:15], 0, v[4:5]
	v_lshlrev_b64 v[4:5], 1, v[6:7]
	v_lshl_add_u64 v[56:57], s[12:13], 0, v[4:5]
	v_lshl_add_u64 v[58:59], s[14:15], 0, v[4:5]
	v_lshlrev_b64 v[4:5], 1, v[8:9]
	s_add_u32 s4, s0, 64
	v_lshl_add_u64 v[60:61], s[12:13], 0, v[4:5]
	v_lshl_add_u64 v[62:63], s[14:15], 0, v[4:5]
	v_lshlrev_b64 v[4:5], 1, v[10:11]
	s_addc_u32 s5, s1, 0
	s_waitcnt lgkmcnt(0)
	s_lshl_b32 s3, s3, 6
	v_lshl_add_u64 v[64:65], s[12:13], 0, v[4:5]
	v_lshl_add_u64 v[66:67], s[14:15], 0, v[4:5]
	v_lshlrev_b64 v[4:5], 1, v[12:13]
	s_mul_i32 s6, s11, s3
	s_mul_hi_u32 s7, s10, s3
	v_lshl_add_u64 v[68:69], s[12:13], 0, v[4:5]
	v_lshl_add_u64 v[70:71], s[14:15], 0, v[4:5]
	v_lshlrev_b64 v[4:5], 1, v[14:15]
	v_add3_u32 v19, v3, v19, v50
	s_add_i32 s7, s7, s6
	s_mul_i32 s6, s10, s3
	v_lshl_add_u64 v[72:73], s[12:13], 0, v[4:5]
	v_lshl_add_u64 v[74:75], s[14:15], 0, v[4:5]
	v_lshlrev_b64 v[4:5], 1, v[16:17]
	v_mbcnt_lo_u32_b32 v3, -1, 0
	v_and_b32_e32 v1, 0x3ff, v0
	s_lshl_b64 s[6:7], s[6:7], 1
	v_lshl_add_u64 v[76:77], s[12:13], 0, v[4:5]
	v_lshl_add_u64 v[78:79], s[14:15], 0, v[4:5]
	v_lshlrev_b64 v[4:5], 1, v[18:19]
	v_mbcnt_hi_u32_b32 v3, -1, v3
	v_add_u32_e32 v50, s33, v1
	v_mov_b32_e32 v51, v2
	s_add_u32 s20, s18, 63
	v_lshl_add_u64 v[80:81], s[12:13], 0, v[4:5]
	v_lshl_add_u64 v[82:83], s[14:15], 0, v[4:5]
	s_movk_i32 s12, 0xffc1
	s_movk_i32 s14, 0xffc2
	;; [unrolled: 1-line block ×8, first 2 shown]
	v_lshlrev_b32_e32 v3, 2, v3
	v_lshlrev_b64 v[50:51], 1, v[50:51]
	s_addc_u32 s21, 0, 0
	s_mov_b32 s13, -1
	s_mov_b32 s15, -1
	;; [unrolled: 1-line block ×8, first 2 shown]
	v_and_b32_e32 v87, 0x100, v3
	v_mov_b32_e32 v88, 0
.LBB193_53:                             ; =>This Inner Loop Header: Depth=1
	v_mov_b64_e32 v[4:5], s[8:9]
	v_cmp_ge_i64_e32 vcc, s[20:21], v[4:5]
	v_lshl_add_u64 v[84:85], v[20:21], 0, s[20:21]
	s_mov_b64 s[36:37], -1
                                        ; implicit-def: $vgpr3
	s_cbranch_vccz .LBB193_75
; %bb.54:                               ;   in Loop: Header=BB193_53 Depth=1
	s_load_dword s33, s[4:5], 0xc
	v_mov_b32_e32 v89, 0
	s_waitcnt lgkmcnt(0)
	s_and_b32 s33, s33, 0xffff
	v_mad_u32_u24 v3, v86, s33, v1
	v_and_b32_e32 v4, 63, v3
	v_cmp_gt_u32_e32 vcc, 8, v4
	s_and_saveexec_b64 s[36:37], vcc
	s_cbranch_execz .LBB193_58
; %bb.55:                               ;   in Loop: Header=BB193_53 Depth=1
	v_mov_b32_e32 v5, v2
	v_lshl_add_u64 v[4:5], v[84:85], 0, v[4:5]
	v_lshl_add_u64 v[4:5], v[4:5], 0, s[12:13]
	v_cmp_gt_i64_e32 vcc, s[8:9], v[4:5]
	v_mov_b32_e32 v89, 0
	s_and_saveexec_b64 s[38:39], vcc
	s_cbranch_execz .LBB193_57
; %bb.56:                               ;   in Loop: Header=BB193_53 Depth=1
	v_lshl_add_u64 v[4:5], v[4:5], 2, s[16:17]
	global_load_dword v89, v[4:5], off
.LBB193_57:                             ;   in Loop: Header=BB193_53 Depth=1
	s_or_b64 exec, exec, s[38:39]
.LBB193_58:                             ;   in Loop: Header=BB193_53 Depth=1
	s_or_b64 exec, exec, s[36:37]
	v_lshl_add_u64 v[4:5], v[84:85], 0, s[12:13]
	v_mov_b32_e32 v8, v2
	v_mov_b32_e32 v9, v2
	v_cmp_gt_i64_e32 vcc, s[8:9], v[4:5]
	v_mov_b32_e32 v3, v2
	v_mov_b32_e32 v4, v2
	;; [unrolled: 1-line block ×5, first 2 shown]
	v_mov_b64_e32 v[18:19], v[8:9]
	v_mov_b64_e32 v[16:17], v[6:7]
	;; [unrolled: 1-line block ×8, first 2 shown]
	s_and_saveexec_b64 s[36:37], vcc
	s_cbranch_execz .LBB193_60
; %bb.59:                               ;   in Loop: Header=BB193_53 Depth=1
	v_lshl_add_u64 v[4:5], v[52:53], 0, v[50:51]
	global_load_ushort v3, v[4:5], off
	v_lshl_add_u64 v[4:5], v[54:55], 0, v[50:51]
	global_load_ushort v12, v[4:5], off
	v_mov_b32_e32 v5, v2
	v_mov_b32_e32 v6, v2
	;; [unrolled: 1-line block ×14, first 2 shown]
	s_waitcnt vmcnt(1)
	v_lshlrev_b32_e32 v4, 16, v3
	s_waitcnt vmcnt(0)
	v_lshlrev_b32_e32 v12, 16, v12
.LBB193_60:                             ;   in Loop: Header=BB193_53 Depth=1
	s_or_b64 exec, exec, s[36:37]
	v_lshl_add_u64 v[90:91], v[84:85], 0, s[14:15]
	v_cmp_gt_i64_e32 vcc, s[8:9], v[90:91]
	s_and_saveexec_b64 s[36:37], vcc
	s_cbranch_execz .LBB193_62
; %bb.61:                               ;   in Loop: Header=BB193_53 Depth=1
	v_lshl_add_u64 v[90:91], v[80:81], 0, v[50:51]
	global_load_ushort v3, v[90:91], off
	v_lshl_add_u64 v[90:91], v[82:83], 0, v[50:51]
	global_load_ushort v13, v[90:91], off
	s_waitcnt vmcnt(1)
	v_lshlrev_b32_e32 v5, 16, v3
	s_waitcnt vmcnt(0)
	v_lshlrev_b32_e32 v13, 16, v13
.LBB193_62:                             ;   in Loop: Header=BB193_53 Depth=1
	s_or_b64 exec, exec, s[36:37]
	v_lshl_add_u64 v[90:91], v[84:85], 0, s[22:23]
	v_cmp_gt_i64_e32 vcc, s[8:9], v[90:91]
	s_and_saveexec_b64 s[36:37], vcc
	s_cbranch_execz .LBB193_64
; %bb.63:                               ;   in Loop: Header=BB193_53 Depth=1
	v_lshl_add_u64 v[90:91], v[76:77], 0, v[50:51]
	global_load_ushort v3, v[90:91], off
	v_lshl_add_u64 v[90:91], v[78:79], 0, v[50:51]
	global_load_ushort v14, v[90:91], off
	s_waitcnt vmcnt(1)
	v_lshlrev_b32_e32 v6, 16, v3
	s_waitcnt vmcnt(0)
	v_lshlrev_b32_e32 v14, 16, v14
.LBB193_64:                             ;   in Loop: Header=BB193_53 Depth=1
	;; [unrolled: 15-line block ×7, first 2 shown]
	s_or_b64 exec, exec, s[36:37]
	s_waitcnt vmcnt(0)
	ds_bpermute_b32 v90, v87, v89
	ds_bpermute_b32 v91, v87, v89 offset:4
	v_pk_mul_f32 v[6:7], v[14:15], v[6:7]
	ds_bpermute_b32 v14, v87, v89 offset:8
	ds_bpermute_b32 v15, v87, v89 offset:12
	v_pk_mul_f32 v[4:5], v[12:13], v[4:5]
	ds_bpermute_b32 v12, v87, v89 offset:24
	s_waitcnt lgkmcnt(3)
	v_pk_mul_f32 v[4:5], v[4:5], v[90:91]
	ds_bpermute_b32 v13, v87, v89 offset:28
	v_add_f32_e32 v3, v88, v4
	v_add_f32_e32 v3, v3, v5
	s_waitcnt lgkmcnt(2)
	v_pk_mul_f32 v[4:5], v[6:7], v[14:15]
	ds_bpermute_b32 v6, v87, v89 offset:16
	ds_bpermute_b32 v7, v87, v89 offset:20
	v_pk_mul_f32 v[8:9], v[16:17], v[8:9]
	v_add_f32_e32 v3, v3, v4
	v_add_f32_e32 v3, v3, v5
	v_pk_mul_f32 v[10:11], v[18:19], v[10:11]
	s_waitcnt lgkmcnt(0)
	v_pk_mul_f32 v[4:5], v[8:9], v[6:7]
	s_mov_b64 s[36:37], 0
	v_add_f32_e32 v3, v3, v4
	v_add_f32_e32 v3, v3, v5
	v_pk_mul_f32 v[4:5], v[10:11], v[12:13]
	s_nop 0
	v_add_f32_e32 v3, v3, v4
	v_add_f32_e32 v3, v3, v5
.LBB193_75:                             ;   in Loop: Header=BB193_53 Depth=1
	s_and_b64 vcc, exec, s[36:37]
	s_cbranch_vccz .LBB193_81
; %bb.76:                               ;   in Loop: Header=BB193_53 Depth=1
	s_load_dword s33, s[4:5], 0x0
	s_waitcnt lgkmcnt(0)
	s_cmp_lt_u32 s2, s33
	s_cselect_b32 s33, 12, 18
	s_add_u32 s36, s4, s33
	s_addc_u32 s37, s5, 0
	global_load_ushort v3, v2, s[36:37]
	s_waitcnt vmcnt(0)
	v_mad_u32_u24 v3, v86, v3, v1
	v_and_b32_e32 v4, 63, v3
	v_cmp_gt_u32_e32 vcc, 8, v4
	v_mov_b32_e32 v3, 0
	s_and_saveexec_b64 s[36:37], vcc
	s_cbranch_execz .LBB193_80
; %bb.77:                               ;   in Loop: Header=BB193_53 Depth=1
	v_mov_b32_e32 v5, v2
	v_lshl_add_u64 v[4:5], v[84:85], 0, v[4:5]
	v_lshl_add_u64 v[4:5], v[4:5], 0, s[12:13]
	v_cmp_gt_i64_e32 vcc, s[8:9], v[4:5]
	v_mov_b32_e32 v3, 0
	s_and_saveexec_b64 s[38:39], vcc
	s_cbranch_execz .LBB193_79
; %bb.78:                               ;   in Loop: Header=BB193_53 Depth=1
	v_lshl_add_u64 v[4:5], v[4:5], 2, s[16:17]
	global_load_dword v3, v[4:5], off
.LBB193_79:                             ;   in Loop: Header=BB193_53 Depth=1
	s_or_b64 exec, exec, s[38:39]
.LBB193_80:                             ;   in Loop: Header=BB193_53 Depth=1
	s_or_b64 exec, exec, s[36:37]
	v_lshl_add_u64 v[8:9], v[22:23], 0, v[50:51]
	v_lshl_add_u64 v[94:95], v[44:45], 0, v[50:51]
	;; [unrolled: 1-line block ×16, first 2 shown]
	global_load_ushort v89, v[8:9], off
	global_load_ushort v104, v[4:5], off
	;; [unrolled: 1-line block ×15, first 2 shown]
                                        ; kill: killed $vgpr18_vgpr19
                                        ; kill: killed $vgpr4_vgpr5
                                        ; kill: killed $vgpr96_vgpr97
                                        ; kill: killed $vgpr14_vgpr15
                                        ; kill: killed $vgpr92_vgpr93
                                        ; kill: killed $vgpr10_vgpr11
                                        ; kill: killed $vgpr102_vgpr103
                                        ; kill: killed $vgpr84_vgpr85
                                        ; kill: killed $vgpr6_vgpr7
                                        ; kill: killed $vgpr16_vgpr17
                                        ; kill: killed $vgpr94_vgpr95
                                        ; kill: killed $vgpr12_vgpr13
                                        ; kill: killed $vgpr90_vgpr91
                                        ; kill: killed $vgpr8_vgpr9
                                        ; kill: killed $vgpr100_vgpr101
	s_nop 0
	global_load_ushort v94, v[98:99], off
	s_waitcnt vmcnt(16)
	ds_bpermute_b32 v4, v87, v3
	ds_bpermute_b32 v5, v87, v3 offset:4
	ds_bpermute_b32 v6, v87, v3 offset:8
	;; [unrolled: 1-line block ×7, first 2 shown]
	s_waitcnt vmcnt(15)
	v_lshlrev_b32_e32 v13, 16, v89
	s_waitcnt vmcnt(14)
	v_lshlrev_b32_e32 v12, 16, v104
	;; [unrolled: 2-line block ×4, first 2 shown]
	v_pk_mul_f32 v[12:13], v[12:13], v[14:15]
	s_waitcnt vmcnt(11)
	v_lshlrev_b32_e32 v17, 16, v107
	s_waitcnt vmcnt(10)
	v_lshlrev_b32_e32 v16, 16, v108
	;; [unrolled: 2-line block ×4, first 2 shown]
	s_waitcnt lgkmcnt(6)
	v_pk_mul_f32 v[4:5], v[12:13], v[4:5]
	v_pk_mul_f32 v[14:15], v[16:17], v[18:19]
	v_add_f32_e32 v3, v88, v4
	s_waitcnt vmcnt(7)
	v_lshlrev_b32_e32 v85, 16, v111
	s_waitcnt vmcnt(6)
	v_lshlrev_b32_e32 v84, 16, v112
	;; [unrolled: 2-line block ×4, first 2 shown]
	s_waitcnt lgkmcnt(4)
	v_pk_mul_f32 v[6:7], v[14:15], v[6:7]
	v_add_f32_e32 v3, v3, v5
	v_pk_mul_f32 v[16:17], v[84:85], v[90:91]
	v_add_f32_e32 v3, v3, v6
	s_waitcnt vmcnt(3)
	v_lshlrev_b32_e32 v93, 16, v115
	s_waitcnt vmcnt(2)
	v_lshlrev_b32_e32 v92, 16, v116
	;; [unrolled: 2-line block ×3, first 2 shown]
	s_waitcnt lgkmcnt(2)
	v_pk_mul_f32 v[8:9], v[16:17], v[8:9]
	v_add_f32_e32 v3, v3, v7
	v_add_f32_e32 v3, v3, v8
	;; [unrolled: 1-line block ×3, first 2 shown]
	s_waitcnt vmcnt(0)
	v_lshlrev_b32_e32 v94, 16, v94
	v_pk_mul_f32 v[18:19], v[92:93], v[94:95]
	s_waitcnt lgkmcnt(0)
	v_pk_mul_f32 v[4:5], v[18:19], v[10:11]
	s_nop 0
	v_add_f32_e32 v3, v3, v4
	v_add_f32_e32 v3, v3, v5
.LBB193_81:                             ;   in Loop: Header=BB193_53 Depth=1
	s_add_u32 s18, s18, s3
	s_addc_u32 s19, s19, 0
	v_mov_b64_e32 v[4:5], s[8:9]
	s_add_u32 s20, s20, s3
	v_cmp_ge_i64_e32 vcc, s[18:19], v[4:5]
	v_lshl_add_u64 v[52:53], v[52:53], 0, s[6:7]
	v_lshl_add_u64 v[54:55], v[54:55], 0, s[6:7]
	s_addc_u32 s21, s21, 0
	v_lshl_add_u64 v[22:23], v[22:23], 0, s[6:7]
	v_lshl_add_u64 v[24:25], v[24:25], 0, s[6:7]
	;; [unrolled: 1-line block ×28, first 2 shown]
	s_cbranch_vccnz .LBB193_83
; %bb.82:                               ;   in Loop: Header=BB193_53 Depth=1
	v_mov_b32_e32 v88, v3
	s_branch .LBB193_53
.LBB193_83:
	v_and_b32_e32 v1, 0x3ff, v0
	v_bfe_u32 v2, v0, 10, 10
	s_movk_i32 s3, 0x41
	v_mad_u32_u24 v4, v2, s3, v1
	v_bfe_u32 v0, v0, 6, 4
	v_lshl_add_u32 v4, v4, 2, 0
	v_add_u32_e32 v0, v0, v2
	ds_write_b32 v4, v3
	v_mov_b32_e32 v3, 0
	v_cmp_gt_u32_e32 vcc, 64, v0
	ds_write_b32 v4, v3 offset:2080
	s_waitcnt lgkmcnt(0)
	s_barrier
	s_and_saveexec_b64 s[4:5], vcc
	s_cbranch_execz .LBB193_123
; %bb.84:
	s_load_dwordx2 s[4:5], s[0:1], 0x30
	v_and_b32_e32 v2, 63, v1
	v_cmp_gt_u32_e64 s[0:1], 8, v2
	v_mul_u32_u24_e32 v4, 0x41, v2
                                        ; implicit-def: $vgpr2
	s_and_saveexec_b64 s[6:7], s[0:1]
; %bb.85:
	v_lshlrev_b32_e32 v2, 2, v0
	v_lshlrev_b32_e32 v3, 2, v4
	v_add3_u32 v2, 0, v2, v3
	ds_read_b32 v2, v2
; %bb.86:
	s_or_b64 exec, exec, s[6:7]
	v_mbcnt_lo_u32_b32 v3, -1, 0
	v_mbcnt_hi_u32_b32 v3, -1, v3
	v_and_b32_e32 v5, 64, v3
	v_add_u32_e32 v7, 64, v5
	v_xor_b32_e32 v5, 4, v3
	v_cmp_lt_i32_e32 vcc, v5, v7
	v_xor_b32_e32 v8, 2, v3
	v_xor_b32_e32 v9, 1, v3
	v_cndmask_b32_e32 v5, v3, v5, vcc
	v_lshlrev_b32_e32 v5, 2, v5
	s_waitcnt lgkmcnt(0)
	ds_bpermute_b32 v6, v5, v2
	v_cmp_lt_i32_e32 vcc, v8, v7
	s_mov_b32 s3, 0
	s_lshl_b64 s[6:7], s[2:3], 6
	v_cmp_ne_u32_e64 s[2:3], 0, v1
	s_waitcnt lgkmcnt(0)
	v_add_f32_e32 v2, v2, v6
	v_cndmask_b32_e32 v6, v3, v8, vcc
	v_lshlrev_b32_e32 v6, 2, v6
	ds_bpermute_b32 v8, v6, v2
	v_cmp_lt_i32_e32 vcc, v9, v7
	s_cmp_eq_u64 s[4:5], 0
	s_cselect_b64 s[8:9], -1, 0
	v_cndmask_b32_e32 v3, v3, v9, vcc
	s_waitcnt lgkmcnt(0)
	v_add_f32_e32 v2, v2, v8
	v_lshlrev_b32_e32 v7, 2, v3
	ds_bpermute_b32 v3, v7, v2
	s_waitcnt lgkmcnt(0)
	v_add_f32_e32 v8, v2, v3
	v_or_b32_e32 v2, s6, v0
	v_mov_b32_e32 v3, s7
	v_cmp_le_i64_e32 vcc, s[10:11], v[2:3]
	s_or_b64 s[12:13], s[2:3], vcc
	s_nor_b64 s[14:15], s[8:9], s[12:13]
	s_and_saveexec_b64 s[12:13], s[14:15]
	s_cbranch_execz .LBB193_88
; %bb.87:
	v_bfe_u32 v1, v8, 16, 1
	s_movk_i32 s14, 0x7fff
	v_add3_u32 v1, v8, v1, s14
	v_cmp_o_f32_e32 vcc, v8, v8
	v_mov_b32_e32 v9, 0x7fc0
	v_lshl_add_u64 v[2:3], v[2:3], 1, s[4:5]
	v_cndmask_b32_sdwa v1, v9, v1, vcc dst_sel:DWORD dst_unused:UNUSED_PAD src0_sel:DWORD src1_sel:WORD_1
	global_store_short v[2:3], v1, off
.LBB193_88:
	s_or_b64 exec, exec, s[12:13]
	v_cmp_gt_u32_e32 vcc, 56, v0
	s_and_b64 exec, exec, vcc
	s_cbranch_execz .LBB193_123
; %bb.89:
	v_mov_b32_e32 v1, 0
	s_and_saveexec_b64 s[12:13], s[0:1]
; %bb.90:
	v_lshlrev_b32_e32 v2, 2, v0
	v_lshlrev_b32_e32 v3, 2, v4
	v_add3_u32 v2, 0, v2, v3
	ds_read_b32 v8, v2 offset:32
; %bb.91:
	s_or_b64 exec, exec, s[12:13]
	s_waitcnt lgkmcnt(0)
	ds_bpermute_b32 v2, v5, v8
	s_waitcnt lgkmcnt(0)
	v_add_f32_e32 v3, v8, v2
	ds_bpermute_b32 v8, v6, v3
	v_add_u32_e32 v2, 8, v0
	s_waitcnt lgkmcnt(0)
	v_add_f32_e32 v8, v3, v8
	ds_bpermute_b32 v9, v7, v8
	v_mov_b32_e32 v3, v1
	v_lshl_add_u64 v[2:3], s[6:7], 0, v[2:3]
	v_cmp_le_i64_e32 vcc, s[10:11], v[2:3]
	s_or_b64 s[12:13], s[2:3], vcc
	s_waitcnt lgkmcnt(0)
	v_add_f32_e32 v2, v8, v9
	s_nor_b64 s[14:15], s[8:9], s[12:13]
	s_and_saveexec_b64 s[12:13], s[14:15]
	s_cbranch_execz .LBB193_93
; %bb.92:
	v_bfe_u32 v3, v2, 16, 1
	s_movk_i32 s14, 0x7fff
	v_add3_u32 v3, v2, v3, s14
	v_cmp_o_f32_e32 vcc, v2, v2
	v_mov_b32_e32 v8, 0x7fc0
	s_nop 0
	v_cndmask_b32_sdwa v3, v8, v3, vcc dst_sel:DWORD dst_unused:UNUSED_PAD src0_sel:DWORD src1_sel:WORD_1
	v_lshl_add_u64 v[8:9], s[6:7], 0, v[0:1]
	v_lshl_add_u64 v[8:9], v[8:9], 1, s[4:5]
	global_store_short v[8:9], v3, off offset:16
.LBB193_93:
	s_or_b64 exec, exec, s[12:13]
	v_cmp_gt_u32_e32 vcc, 48, v0
	s_and_b64 exec, exec, vcc
	s_cbranch_execz .LBB193_123
; %bb.94:
	s_and_saveexec_b64 s[12:13], s[0:1]
; %bb.95:
	v_lshlrev_b32_e32 v2, 2, v0
	v_lshlrev_b32_e32 v3, 2, v4
	v_add3_u32 v2, 0, v2, v3
	ds_read_b32 v2, v2 offset:64
; %bb.96:
	s_or_b64 exec, exec, s[12:13]
	s_waitcnt lgkmcnt(0)
	ds_bpermute_b32 v3, v5, v2
	s_waitcnt lgkmcnt(0)
	v_add_f32_e32 v3, v2, v3
	ds_bpermute_b32 v8, v6, v3
	v_add_u32_e32 v2, 16, v0
	s_waitcnt lgkmcnt(0)
	v_add_f32_e32 v8, v3, v8
	ds_bpermute_b32 v9, v7, v8
	v_mov_b32_e32 v3, 0
	v_lshl_add_u64 v[2:3], s[6:7], 0, v[2:3]
	v_cmp_le_i64_e32 vcc, s[10:11], v[2:3]
	s_or_b64 s[12:13], s[2:3], vcc
	s_waitcnt lgkmcnt(0)
	v_add_f32_e32 v2, v8, v9
	s_nor_b64 s[14:15], s[8:9], s[12:13]
	s_and_saveexec_b64 s[12:13], s[14:15]
	s_cbranch_execz .LBB193_98
; %bb.97:
	v_bfe_u32 v3, v2, 16, 1
	s_movk_i32 s14, 0x7fff
	v_add3_u32 v3, v2, v3, s14
	v_cmp_o_f32_e32 vcc, v2, v2
	v_mov_b32_e32 v8, 0x7fc0
	s_nop 0
	v_cndmask_b32_sdwa v3, v8, v3, vcc dst_sel:DWORD dst_unused:UNUSED_PAD src0_sel:DWORD src1_sel:WORD_1
	v_lshl_add_u64 v[8:9], s[6:7], 0, v[0:1]
	v_lshl_add_u64 v[8:9], v[8:9], 1, s[4:5]
	global_store_short v[8:9], v3, off offset:32
.LBB193_98:
	s_or_b64 exec, exec, s[12:13]
	v_cmp_gt_u32_e32 vcc, 40, v0
	s_and_b64 exec, exec, vcc
	s_cbranch_execz .LBB193_123
; %bb.99:
	;; [unrolled: 43-line block ×3, first 2 shown]
	s_and_saveexec_b64 s[12:13], s[0:1]
; %bb.105:
	v_lshlrev_b32_e32 v2, 2, v0
	v_lshlrev_b32_e32 v3, 2, v4
	v_add3_u32 v2, 0, v2, v3
	ds_read_b32 v2, v2 offset:128
; %bb.106:
	s_or_b64 exec, exec, s[12:13]
	s_waitcnt lgkmcnt(0)
	ds_bpermute_b32 v3, v5, v2
	v_add_u32_e32 v8, 32, v0
	s_waitcnt lgkmcnt(0)
	v_add_f32_e32 v2, v2, v3
	ds_bpermute_b32 v3, v6, v2
	s_waitcnt lgkmcnt(0)
	v_add_f32_e32 v9, v2, v3
	ds_bpermute_b32 v10, v7, v9
	v_mov_b32_e32 v3, s7
	v_or_b32_e32 v2, s6, v8
	v_cmp_le_i64_e32 vcc, s[10:11], v[2:3]
	s_or_b64 s[12:13], s[2:3], vcc
	s_waitcnt lgkmcnt(0)
	v_add_f32_e32 v2, v9, v10
	s_nor_b64 s[14:15], s[8:9], s[12:13]
	s_and_saveexec_b64 s[12:13], s[14:15]
	s_cbranch_execz .LBB193_108
; %bb.107:
	v_bfe_u32 v3, v2, 16, 1
	s_movk_i32 s14, 0x7fff
	v_add3_u32 v3, v2, v3, s14
	v_cmp_o_f32_e32 vcc, v2, v2
	v_mov_b32_e32 v8, 0x7fc0
	s_nop 0
	v_cndmask_b32_sdwa v3, v8, v3, vcc dst_sel:DWORD dst_unused:UNUSED_PAD src0_sel:DWORD src1_sel:WORD_1
	v_lshl_add_u64 v[8:9], s[6:7], 0, v[0:1]
	v_lshl_add_u64 v[8:9], v[8:9], 1, s[4:5]
	global_store_short v[8:9], v3, off offset:64
.LBB193_108:
	s_or_b64 exec, exec, s[12:13]
	v_cmp_gt_u32_e32 vcc, 24, v0
	s_and_b64 exec, exec, vcc
	s_cbranch_execz .LBB193_123
; %bb.109:
	s_and_saveexec_b64 s[12:13], s[0:1]
; %bb.110:
	v_lshlrev_b32_e32 v2, 2, v0
	v_lshlrev_b32_e32 v3, 2, v4
	v_add3_u32 v2, 0, v2, v3
	ds_read_b32 v2, v2 offset:160
; %bb.111:
	s_or_b64 exec, exec, s[12:13]
	s_waitcnt lgkmcnt(0)
	ds_bpermute_b32 v3, v5, v2
	s_waitcnt lgkmcnt(0)
	v_add_f32_e32 v3, v2, v3
	ds_bpermute_b32 v8, v6, v3
	v_add_u32_e32 v2, 40, v0
	s_waitcnt lgkmcnt(0)
	v_add_f32_e32 v8, v3, v8
	ds_bpermute_b32 v9, v7, v8
	v_mov_b32_e32 v3, 0
	v_lshl_add_u64 v[2:3], s[6:7], 0, v[2:3]
	v_cmp_le_i64_e32 vcc, s[10:11], v[2:3]
	s_or_b64 s[12:13], s[2:3], vcc
	s_waitcnt lgkmcnt(0)
	v_add_f32_e32 v2, v8, v9
	s_nor_b64 s[14:15], s[8:9], s[12:13]
	s_and_saveexec_b64 s[12:13], s[14:15]
	s_cbranch_execz .LBB193_113
; %bb.112:
	v_bfe_u32 v3, v2, 16, 1
	s_movk_i32 s14, 0x7fff
	v_add3_u32 v3, v2, v3, s14
	v_cmp_o_f32_e32 vcc, v2, v2
	v_mov_b32_e32 v8, 0x7fc0
	s_nop 0
	v_cndmask_b32_sdwa v3, v8, v3, vcc dst_sel:DWORD dst_unused:UNUSED_PAD src0_sel:DWORD src1_sel:WORD_1
	v_lshl_add_u64 v[8:9], s[6:7], 0, v[0:1]
	v_lshl_add_u64 v[8:9], v[8:9], 1, s[4:5]
	global_store_short v[8:9], v3, off offset:80
.LBB193_113:
	s_or_b64 exec, exec, s[12:13]
	v_cmp_gt_u32_e32 vcc, 16, v0
	s_and_b64 exec, exec, vcc
	s_cbranch_execz .LBB193_123
; %bb.114:
	s_and_saveexec_b64 s[12:13], s[0:1]
; %bb.115:
	v_lshlrev_b32_e32 v2, 2, v0
	v_lshlrev_b32_e32 v3, 2, v4
	v_add3_u32 v2, 0, v2, v3
	ds_read_b32 v2, v2 offset:192
; %bb.116:
	s_or_b64 exec, exec, s[12:13]
	s_waitcnt lgkmcnt(0)
	ds_bpermute_b32 v3, v5, v2
	v_add_u32_e32 v8, 48, v0
	s_waitcnt lgkmcnt(0)
	v_add_f32_e32 v2, v2, v3
	ds_bpermute_b32 v3, v6, v2
	s_waitcnt lgkmcnt(0)
	v_add_f32_e32 v9, v2, v3
	ds_bpermute_b32 v10, v7, v9
	v_mov_b32_e32 v3, s7
	v_or_b32_e32 v2, s6, v8
	v_cmp_le_i64_e32 vcc, s[10:11], v[2:3]
	s_or_b64 s[12:13], s[2:3], vcc
	s_waitcnt lgkmcnt(0)
	v_add_f32_e32 v2, v9, v10
	s_nor_b64 s[14:15], s[8:9], s[12:13]
	s_and_saveexec_b64 s[12:13], s[14:15]
	s_cbranch_execz .LBB193_118
; %bb.117:
	v_bfe_u32 v3, v2, 16, 1
	s_movk_i32 s14, 0x7fff
	v_add3_u32 v3, v2, v3, s14
	v_cmp_o_f32_e32 vcc, v2, v2
	v_mov_b32_e32 v8, 0x7fc0
	s_nop 0
	v_cndmask_b32_sdwa v3, v8, v3, vcc dst_sel:DWORD dst_unused:UNUSED_PAD src0_sel:DWORD src1_sel:WORD_1
	v_lshl_add_u64 v[8:9], s[6:7], 0, v[0:1]
	v_lshl_add_u64 v[8:9], v[8:9], 1, s[4:5]
	global_store_short v[8:9], v3, off offset:96
.LBB193_118:
	s_or_b64 exec, exec, s[12:13]
	v_cmp_gt_u32_e32 vcc, 8, v0
	s_and_b64 exec, exec, vcc
	s_cbranch_execz .LBB193_123
; %bb.119:
	s_and_saveexec_b64 s[12:13], s[0:1]
; %bb.120:
	v_lshlrev_b32_e32 v2, 2, v0
	v_lshlrev_b32_e32 v3, 2, v4
	v_add3_u32 v2, 0, v2, v3
	ds_read_b32 v2, v2 offset:224
; %bb.121:
	s_or_b64 exec, exec, s[12:13]
	s_waitcnt lgkmcnt(0)
	ds_bpermute_b32 v3, v5, v2
	v_add_u32_e32 v4, 56, v0
	v_or_b32_e32 v4, s6, v4
	v_mov_b32_e32 v5, s7
	v_cmp_le_i64_e32 vcc, s[10:11], v[4:5]
	s_waitcnt lgkmcnt(0)
	v_add_f32_e32 v2, v2, v3
	ds_bpermute_b32 v3, v6, v2
	s_or_b64 s[0:1], s[2:3], vcc
	s_nor_b64 s[0:1], s[8:9], s[0:1]
	s_waitcnt lgkmcnt(0)
	v_add_f32_e32 v2, v2, v3
	ds_bpermute_b32 v3, v7, v2
	s_and_saveexec_b64 s[2:3], s[0:1]
	s_xor_b64 s[2:3], exec, s[2:3]
	s_cbranch_execz .LBB193_123
; %bb.122:
	s_waitcnt lgkmcnt(0)
	v_add_f32_e32 v2, v2, v3
	v_bfe_u32 v3, v2, 16, 1
	s_movk_i32 s0, 0x7fff
	v_add3_u32 v3, v2, v3, s0
	v_cmp_o_f32_e32 vcc, v2, v2
	v_mov_b32_e32 v2, 0x7fc0
	v_lshl_add_u64 v[0:1], s[6:7], 0, v[0:1]
	v_cndmask_b32_sdwa v2, v2, v3, vcc dst_sel:DWORD dst_unused:UNUSED_PAD src0_sel:DWORD src1_sel:WORD_1
	v_lshl_add_u64 v[0:1], v[0:1], 1, s[4:5]
	global_store_short v[0:1], v2, off offset:112
.LBB193_123:
	s_endpgm
	.section	.rodata,"a",@progbits
	.p2align	6, 0x0
	.amdhsa_kernel _ZN2at6native12_GLOBAL__N_135GammaBetaBackwardCUDAKernelTemplateIN3c108BFloat16EfLj64ELj8ELj64ELb0ELb0ELb1EEEvllPKT_S7_PKT0_SA_PS5_SB_
		.amdhsa_group_segment_fixed_size 0
		.amdhsa_private_segment_fixed_size 0
		.amdhsa_kernarg_size 320
		.amdhsa_user_sgpr_count 2
		.amdhsa_user_sgpr_dispatch_ptr 0
		.amdhsa_user_sgpr_queue_ptr 0
		.amdhsa_user_sgpr_kernarg_segment_ptr 1
		.amdhsa_user_sgpr_dispatch_id 0
		.amdhsa_user_sgpr_kernarg_preload_length 0
		.amdhsa_user_sgpr_kernarg_preload_offset 0
		.amdhsa_user_sgpr_private_segment_size 0
		.amdhsa_uses_dynamic_stack 0
		.amdhsa_enable_private_segment 0
		.amdhsa_system_sgpr_workgroup_id_x 1
		.amdhsa_system_sgpr_workgroup_id_y 1
		.amdhsa_system_sgpr_workgroup_id_z 0
		.amdhsa_system_sgpr_workgroup_info 0
		.amdhsa_system_vgpr_workitem_id 1
		.amdhsa_next_free_vgpr 118
		.amdhsa_next_free_sgpr 50
		.amdhsa_accum_offset 120
		.amdhsa_reserve_vcc 1
		.amdhsa_float_round_mode_32 0
		.amdhsa_float_round_mode_16_64 0
		.amdhsa_float_denorm_mode_32 3
		.amdhsa_float_denorm_mode_16_64 3
		.amdhsa_dx10_clamp 1
		.amdhsa_ieee_mode 1
		.amdhsa_fp16_overflow 0
		.amdhsa_tg_split 0
		.amdhsa_exception_fp_ieee_invalid_op 0
		.amdhsa_exception_fp_denorm_src 0
		.amdhsa_exception_fp_ieee_div_zero 0
		.amdhsa_exception_fp_ieee_overflow 0
		.amdhsa_exception_fp_ieee_underflow 0
		.amdhsa_exception_fp_ieee_inexact 0
		.amdhsa_exception_int_div_zero 0
	.end_amdhsa_kernel
	.section	.text._ZN2at6native12_GLOBAL__N_135GammaBetaBackwardCUDAKernelTemplateIN3c108BFloat16EfLj64ELj8ELj64ELb0ELb0ELb1EEEvllPKT_S7_PKT0_SA_PS5_SB_,"axG",@progbits,_ZN2at6native12_GLOBAL__N_135GammaBetaBackwardCUDAKernelTemplateIN3c108BFloat16EfLj64ELj8ELj64ELb0ELb0ELb1EEEvllPKT_S7_PKT0_SA_PS5_SB_,comdat
.Lfunc_end193:
	.size	_ZN2at6native12_GLOBAL__N_135GammaBetaBackwardCUDAKernelTemplateIN3c108BFloat16EfLj64ELj8ELj64ELb0ELb0ELb1EEEvllPKT_S7_PKT0_SA_PS5_SB_, .Lfunc_end193-_ZN2at6native12_GLOBAL__N_135GammaBetaBackwardCUDAKernelTemplateIN3c108BFloat16EfLj64ELj8ELj64ELb0ELb0ELb1EEEvllPKT_S7_PKT0_SA_PS5_SB_
                                        ; -- End function
	.set _ZN2at6native12_GLOBAL__N_135GammaBetaBackwardCUDAKernelTemplateIN3c108BFloat16EfLj64ELj8ELj64ELb0ELb0ELb1EEEvllPKT_S7_PKT0_SA_PS5_SB_.num_vgpr, 118
	.set _ZN2at6native12_GLOBAL__N_135GammaBetaBackwardCUDAKernelTemplateIN3c108BFloat16EfLj64ELj8ELj64ELb0ELb0ELb1EEEvllPKT_S7_PKT0_SA_PS5_SB_.num_agpr, 0
	.set _ZN2at6native12_GLOBAL__N_135GammaBetaBackwardCUDAKernelTemplateIN3c108BFloat16EfLj64ELj8ELj64ELb0ELb0ELb1EEEvllPKT_S7_PKT0_SA_PS5_SB_.numbered_sgpr, 50
	.set _ZN2at6native12_GLOBAL__N_135GammaBetaBackwardCUDAKernelTemplateIN3c108BFloat16EfLj64ELj8ELj64ELb0ELb0ELb1EEEvllPKT_S7_PKT0_SA_PS5_SB_.num_named_barrier, 0
	.set _ZN2at6native12_GLOBAL__N_135GammaBetaBackwardCUDAKernelTemplateIN3c108BFloat16EfLj64ELj8ELj64ELb0ELb0ELb1EEEvllPKT_S7_PKT0_SA_PS5_SB_.private_seg_size, 0
	.set _ZN2at6native12_GLOBAL__N_135GammaBetaBackwardCUDAKernelTemplateIN3c108BFloat16EfLj64ELj8ELj64ELb0ELb0ELb1EEEvllPKT_S7_PKT0_SA_PS5_SB_.uses_vcc, 1
	.set _ZN2at6native12_GLOBAL__N_135GammaBetaBackwardCUDAKernelTemplateIN3c108BFloat16EfLj64ELj8ELj64ELb0ELb0ELb1EEEvllPKT_S7_PKT0_SA_PS5_SB_.uses_flat_scratch, 0
	.set _ZN2at6native12_GLOBAL__N_135GammaBetaBackwardCUDAKernelTemplateIN3c108BFloat16EfLj64ELj8ELj64ELb0ELb0ELb1EEEvllPKT_S7_PKT0_SA_PS5_SB_.has_dyn_sized_stack, 0
	.set _ZN2at6native12_GLOBAL__N_135GammaBetaBackwardCUDAKernelTemplateIN3c108BFloat16EfLj64ELj8ELj64ELb0ELb0ELb1EEEvllPKT_S7_PKT0_SA_PS5_SB_.has_recursion, 0
	.set _ZN2at6native12_GLOBAL__N_135GammaBetaBackwardCUDAKernelTemplateIN3c108BFloat16EfLj64ELj8ELj64ELb0ELb0ELb1EEEvllPKT_S7_PKT0_SA_PS5_SB_.has_indirect_call, 0
	.section	.AMDGPU.csdata,"",@progbits
; Kernel info:
; codeLenInByte = 7952
; TotalNumSgprs: 56
; NumVgprs: 118
; NumAgprs: 0
; TotalNumVgprs: 118
; ScratchSize: 0
; MemoryBound: 0
; FloatMode: 240
; IeeeMode: 1
; LDSByteSize: 0 bytes/workgroup (compile time only)
; SGPRBlocks: 6
; VGPRBlocks: 14
; NumSGPRsForWavesPerEU: 56
; NumVGPRsForWavesPerEU: 118
; AccumOffset: 120
; Occupancy: 4
; WaveLimiterHint : 0
; COMPUTE_PGM_RSRC2:SCRATCH_EN: 0
; COMPUTE_PGM_RSRC2:USER_SGPR: 2
; COMPUTE_PGM_RSRC2:TRAP_HANDLER: 0
; COMPUTE_PGM_RSRC2:TGID_X_EN: 1
; COMPUTE_PGM_RSRC2:TGID_Y_EN: 1
; COMPUTE_PGM_RSRC2:TGID_Z_EN: 0
; COMPUTE_PGM_RSRC2:TIDIG_COMP_CNT: 1
; COMPUTE_PGM_RSRC3_GFX90A:ACCUM_OFFSET: 29
; COMPUTE_PGM_RSRC3_GFX90A:TG_SPLIT: 0
	.section	.text._ZN2at6native12_GLOBAL__N_135GammaBetaBackwardCUDAKernelTemplateIN3c108BFloat16EfLj64ELj16ELj128ELb0ELb1ELb1EEEvllPKT_S7_PKT0_SA_PS5_SB_,"axG",@progbits,_ZN2at6native12_GLOBAL__N_135GammaBetaBackwardCUDAKernelTemplateIN3c108BFloat16EfLj64ELj16ELj128ELb0ELb1ELb1EEEvllPKT_S7_PKT0_SA_PS5_SB_,comdat
	.globl	_ZN2at6native12_GLOBAL__N_135GammaBetaBackwardCUDAKernelTemplateIN3c108BFloat16EfLj64ELj16ELj128ELb0ELb1ELb1EEEvllPKT_S7_PKT0_SA_PS5_SB_ ; -- Begin function _ZN2at6native12_GLOBAL__N_135GammaBetaBackwardCUDAKernelTemplateIN3c108BFloat16EfLj64ELj16ELj128ELb0ELb1ELb1EEEvllPKT_S7_PKT0_SA_PS5_SB_
	.p2align	8
	.type	_ZN2at6native12_GLOBAL__N_135GammaBetaBackwardCUDAKernelTemplateIN3c108BFloat16EfLj64ELj16ELj128ELb0ELb1ELb1EEEvllPKT_S7_PKT0_SA_PS5_SB_,@function
_ZN2at6native12_GLOBAL__N_135GammaBetaBackwardCUDAKernelTemplateIN3c108BFloat16EfLj64ELj16ELj128ELb0ELb1ELb1EEEvllPKT_S7_PKT0_SA_PS5_SB_: ; @_ZN2at6native12_GLOBAL__N_135GammaBetaBackwardCUDAKernelTemplateIN3c108BFloat16EfLj64ELj16ELj128ELb0ELb1ELb1EEEvllPKT_S7_PKT0_SA_PS5_SB_
; %bb.0:
	s_load_dwordx4 s[4:7], s[0:1], 0x0
	s_lshl_b32 s14, s3, 7
	s_mov_b32 s15, 0
	v_mov_b64_e32 v[2:3], s[14:15]
	v_bfe_u32 v12, v0, 10, 10
	s_waitcnt lgkmcnt(0)
	v_cmp_gt_i64_e32 vcc, s[4:5], v[2:3]
	s_cbranch_vccnz .LBB194_2
; %bb.1:
	s_mov_b64 s[8:9], 0
	v_bfe_u32 v2, v0, 10, 10
	s_branch .LBB194_3
.LBB194_2:
	s_mov_b64 s[8:9], -1
                                        ; implicit-def: $vgpr2
.LBB194_3:
	s_load_dwordx2 s[12:13], s[0:1], 0x30
	v_and_b32_e32 v10, 0x3ff, v0
	v_mov_b32_e32 v1, 0
	s_andn2_b64 vcc, exec, s[8:9]
	v_mbcnt_lo_u32_b32 v11, -1, 0
	s_cbranch_vccnz .LBB194_11
; %bb.4:
	s_load_dword s3, s[0:1], 0x4c
	s_load_dword s16, s[0:1], 0x44
	s_load_dwordx2 s[18:19], s[0:1], 0x28
	s_load_dwordx4 s[8:11], s[0:1], 0x10
	v_lshlrev_b32_e32 v0, 3, v12
	s_waitcnt lgkmcnt(0)
	s_and_b32 s0, s3, 0xffff
	v_mad_u32_u24 v1, v12, s0, v10
	v_and_b32_e32 v2, 63, v1
	v_mov_b32_e32 v1, 0
	v_mov_b32_e32 v3, v1
	v_lshl_add_u64 v[8:9], v[0:1], 0, s[14:15]
	v_cmp_gt_u32_e64 s[0:1], 8, v2
	v_mbcnt_hi_u32_b32 v4, -1, v11
	s_lshl_b32 s16, s16, 7
	v_lshl_add_u64 v[2:3], v[8:9], 0, v[2:3]
	v_mul_lo_u32 v0, s7, v8
	v_mul_lo_u32 v21, s6, v9
	v_mad_u64_u32 v[8:9], s[20:21], s6, v8, 0
	v_lshl_add_u32 v6, s2, 6, v10
	v_mov_b32_e32 v7, v1
	v_lshlrev_b32_e32 v4, 2, v4
	s_mul_i32 s3, s7, s16
	s_mul_hi_u32 s20, s6, s16
	s_mov_b32 s17, 0
	v_and_b32_e32 v13, 0x100, v4
	v_add3_u32 v9, v9, v21, v0
	v_lshlrev_b64 v[6:7], 1, v[6:7]
	s_add_i32 s21, s20, s3
	s_mul_i32 s20, s6, s16
	v_or_b32_e32 v14, 4, v13
	v_or_b32_e32 v15, 8, v13
	;; [unrolled: 1-line block ×7, first 2 shown]
	v_lshl_add_u64 v[4:5], v[2:3], 2, s[18:19]
	s_lshl_b64 s[18:19], s[16:17], 2
	v_lshl_add_u64 v[6:7], v[8:9], 1, v[6:7]
	s_lshl_b64 s[20:21], s[20:21], 1
	s_lshl_b64 s[6:7], s[6:7], 1
	v_mov_b64_e32 v[8:9], s[4:5]
	s_branch .LBB194_7
.LBB194_5:                              ;   in Loop: Header=BB194_7 Depth=1
	s_or_b64 exec, exec, s[24:25]
.LBB194_6:                              ;   in Loop: Header=BB194_7 Depth=1
	s_or_b64 exec, exec, s[22:23]
	v_lshl_add_u64 v[22:23], s[8:9], 0, v[6:7]
	v_lshl_add_u64 v[24:25], s[10:11], 0, v[6:7]
	;; [unrolled: 1-line block ×5, first 2 shown]
	global_load_ushort v21, v[22:23], off
	global_load_ushort v34, v[24:25], off
	;; [unrolled: 1-line block ×4, first 2 shown]
	v_lshl_add_u64 v[32:33], v[28:29], 0, s[6:7]
	v_lshl_add_u64 v[22:23], v[30:31], 0, s[6:7]
	global_load_ushort v37, v[30:31], off
	global_load_ushort v38, v[32:33], off
	v_lshl_add_u64 v[24:25], v[32:33], 0, s[6:7]
	global_load_ushort v39, v[22:23], off
	global_load_ushort v40, v[24:25], off
	v_lshl_add_u64 v[22:23], v[22:23], 0, s[6:7]
	v_lshl_add_u64 v[24:25], v[24:25], 0, s[6:7]
	global_load_ushort v41, v[22:23], off
	global_load_ushort v42, v[24:25], off
	v_lshl_add_u64 v[22:23], v[22:23], 0, s[6:7]
	;; [unrolled: 4-line block ×4, first 2 shown]
	v_lshl_add_u64 v[24:25], v[24:25], 0, s[6:7]
	global_load_ushort v47, v[22:23], off
	global_load_ushort v48, v[24:25], off
	s_waitcnt vmcnt(16)
	ds_bpermute_b32 v22, v13, v0
	ds_bpermute_b32 v23, v14, v0
	;; [unrolled: 1-line block ×8, first 2 shown]
	s_add_u32 s14, s14, s16
	s_addc_u32 s15, s15, 0
	v_cmp_lt_i64_e32 vcc, s[14:15], v[8:9]
	v_lshl_add_u64 v[4:5], v[4:5], 0, s[18:19]
	v_lshl_add_u64 v[2:3], v[2:3], 0, s[16:17]
	;; [unrolled: 1-line block ×3, first 2 shown]
	s_and_b64 vcc, exec, vcc
	s_waitcnt vmcnt(15)
	v_lshlrev_b32_e32 v30, 16, v21
	s_waitcnt vmcnt(14)
	v_lshlrev_b32_e32 v32, 16, v34
	;; [unrolled: 2-line block ×4, first 2 shown]
	v_pk_mul_f32 v[30:31], v[30:31], v[32:33]
	s_waitcnt vmcnt(11)
	v_lshlrev_b32_e32 v32, 16, v37
	s_waitcnt vmcnt(10)
	v_lshlrev_b32_e32 v34, 16, v38
	s_waitcnt lgkmcnt(6)
	v_pk_mul_f32 v[22:23], v[30:31], v[22:23]
	s_waitcnt vmcnt(9)
	v_lshlrev_b32_e32 v33, 16, v39
	s_waitcnt vmcnt(8)
	v_lshlrev_b32_e32 v35, 16, v40
	v_add_f32_e32 v21, v1, v22
	v_pk_mul_f32 v[0:1], v[32:33], v[34:35]
	s_waitcnt vmcnt(7)
	v_lshlrev_b32_e32 v22, 16, v41
	s_waitcnt vmcnt(6)
	v_lshlrev_b32_e32 v30, 16, v42
	v_add_f32_e32 v21, v21, v23
	s_waitcnt lgkmcnt(4)
	v_pk_mul_f32 v[0:1], v[0:1], v[24:25]
	s_waitcnt vmcnt(5)
	v_lshlrev_b32_e32 v23, 16, v43
	s_waitcnt vmcnt(4)
	v_lshlrev_b32_e32 v31, 16, v44
	v_add_f32_e32 v21, v21, v0
	v_pk_mul_f32 v[22:23], v[22:23], v[30:31]
	s_waitcnt vmcnt(3)
	v_lshlrev_b32_e32 v0, 16, v45
	s_waitcnt vmcnt(2)
	v_lshlrev_b32_e32 v24, 16, v46
	v_add_f32_e32 v21, v21, v1
	s_waitcnt lgkmcnt(2)
	v_pk_mul_f32 v[22:23], v[22:23], v[26:27]
	s_waitcnt vmcnt(1)
	v_lshlrev_b32_e32 v1, 16, v47
	s_waitcnt vmcnt(0)
	v_lshlrev_b32_e32 v25, 16, v48
	v_add_f32_e32 v21, v21, v22
	v_pk_mul_f32 v[0:1], v[0:1], v[24:25]
	v_add_f32_e32 v21, v21, v23
	s_waitcnt lgkmcnt(0)
	v_pk_mul_f32 v[0:1], v[0:1], v[28:29]
	s_nop 0
	v_add_f32_e32 v0, v21, v0
	v_add_f32_e32 v1, v0, v1
	s_cbranch_vccz .LBB194_10
.LBB194_7:                              ; =>This Inner Loop Header: Depth=1
	v_mov_b32_e32 v0, 0
	s_and_saveexec_b64 s[22:23], s[0:1]
	s_cbranch_execz .LBB194_6
; %bb.8:                                ;   in Loop: Header=BB194_7 Depth=1
	v_cmp_gt_i64_e32 vcc, s[4:5], v[2:3]
	v_mov_b32_e32 v0, 0
	s_and_saveexec_b64 s[24:25], vcc
	s_cbranch_execz .LBB194_5
; %bb.9:                                ;   in Loop: Header=BB194_7 Depth=1
	global_load_dword v0, v[4:5], off
	s_branch .LBB194_5
.LBB194_10:
	v_mov_b32_e32 v2, v12
.LBB194_11:
	s_movk_i32 s0, 0x41
	v_mad_u32_u24 v0, v2, s0, v10
	v_lshl_add_u32 v0, v0, 2, 0
	ds_write_b32 v0, v1
	v_mov_b32_e32 v1, 0
	ds_write_b32 v0, v1 offset:4160
	v_lshrrev_b32_e32 v0, 6, v10
	v_add_u32_e32 v0, v0, v2
	v_cmp_gt_u32_e32 vcc, 64, v0
	s_waitcnt lgkmcnt(0)
	s_barrier
	s_and_saveexec_b64 s[0:1], vcc
	s_cbranch_execz .LBB194_31
; %bb.12:
	v_and_b32_e32 v1, 63, v10
	v_cmp_gt_u32_e64 s[0:1], 16, v1
	v_mul_u32_u24_e32 v2, 0x41, v1
                                        ; implicit-def: $vgpr1
	s_and_saveexec_b64 s[4:5], s[0:1]
; %bb.13:
	v_lshlrev_b32_e32 v1, 2, v0
	v_lshlrev_b32_e32 v3, 2, v2
	v_add3_u32 v1, 0, v1, v3
	ds_read_b32 v1, v1
; %bb.14:
	s_or_b64 exec, exec, s[4:5]
	v_mbcnt_hi_u32_b32 v6, -1, v11
	v_and_b32_e32 v3, 64, v6
	v_add_u32_e32 v7, 64, v3
	v_xor_b32_e32 v3, 8, v6
	v_cmp_lt_i32_e32 vcc, v3, v7
	v_xor_b32_e32 v5, 4, v6
	v_xor_b32_e32 v8, 2, v6
	v_cndmask_b32_e32 v3, v6, v3, vcc
	v_lshlrev_b32_e32 v3, 2, v3
	s_waitcnt lgkmcnt(0)
	ds_bpermute_b32 v4, v3, v1
	v_cmp_lt_i32_e32 vcc, v5, v7
	s_cmp_lg_u64 s[12:13], 0
	s_mov_b32 s3, 0
	s_cselect_b64 s[6:7], -1, 0
	s_waitcnt lgkmcnt(0)
	v_add_f32_e32 v1, v1, v4
	v_cndmask_b32_e32 v4, v6, v5, vcc
	v_lshlrev_b32_e32 v4, 2, v4
	ds_bpermute_b32 v5, v4, v1
	v_cmp_lt_i32_e32 vcc, v8, v7
	s_lshl_b64 s[2:3], s[2:3], 7
	s_waitcnt lgkmcnt(0)
	v_add_f32_e32 v1, v1, v5
	v_cndmask_b32_e32 v5, v6, v8, vcc
	v_lshlrev_b32_e32 v5, 2, v5
	ds_bpermute_b32 v8, v5, v1
	v_cmp_eq_u32_e32 vcc, 0, v10
	s_waitcnt lgkmcnt(0)
	v_add_f32_e32 v1, v1, v8
	v_xor_b32_e32 v8, 1, v6
	v_cmp_lt_i32_e64 s[4:5], v8, v7
	s_nop 1
	v_cndmask_b32_e64 v6, v6, v8, s[4:5]
	v_lshlrev_b32_e32 v6, 2, v6
	ds_bpermute_b32 v7, v6, v1
	s_and_b64 s[4:5], vcc, s[6:7]
	s_add_u32 s2, s12, s2
	s_addc_u32 s3, s13, s3
	s_waitcnt lgkmcnt(0)
	v_add_f32_e32 v7, v1, v7
	s_and_saveexec_b64 s[6:7], s[4:5]
	s_cbranch_execz .LBB194_16
; %bb.15:
	v_bfe_u32 v8, v7, 16, 1
	s_movk_i32 s8, 0x7fff
	v_mov_b32_e32 v1, 0
	v_add3_u32 v8, v7, v8, s8
	v_cmp_o_f32_e32 vcc, v7, v7
	v_mov_b32_e32 v9, 0x7fc0
	s_nop 0
	v_cndmask_b32_sdwa v10, v9, v8, vcc dst_sel:DWORD dst_unused:UNUSED_PAD src0_sel:DWORD src1_sel:WORD_1
	v_lshl_add_u64 v[8:9], v[0:1], 1, s[2:3]
	global_store_short v[8:9], v10, off
.LBB194_16:
	s_or_b64 exec, exec, s[6:7]
	v_cmp_gt_u32_e32 vcc, 48, v0
	s_and_b64 exec, exec, vcc
	s_cbranch_execz .LBB194_31
; %bb.17:
	s_and_saveexec_b64 s[6:7], s[0:1]
; %bb.18:
	v_lshlrev_b32_e32 v1, 2, v0
	v_lshlrev_b32_e32 v7, 2, v2
	v_add3_u32 v1, 0, v1, v7
	ds_read_b32 v7, v1 offset:64
; %bb.19:
	s_or_b64 exec, exec, s[6:7]
	s_waitcnt lgkmcnt(0)
	ds_bpermute_b32 v1, v3, v7
	s_waitcnt lgkmcnt(0)
	v_add_f32_e32 v1, v7, v1
	ds_bpermute_b32 v7, v4, v1
	s_waitcnt lgkmcnt(0)
	v_add_f32_e32 v1, v1, v7
	ds_bpermute_b32 v7, v5, v1
	s_waitcnt lgkmcnt(0)
	v_add_f32_e32 v1, v1, v7
	ds_bpermute_b32 v7, v6, v1
	s_waitcnt lgkmcnt(0)
	v_add_f32_e32 v7, v1, v7
	s_and_saveexec_b64 s[6:7], s[4:5]
	s_cbranch_execz .LBB194_21
; %bb.20:
	v_bfe_u32 v1, v7, 16, 1
	s_movk_i32 s8, 0x7fff
	v_add3_u32 v1, v7, v1, s8
	v_cmp_o_f32_e32 vcc, v7, v7
	v_mov_b32_e32 v8, 0x7fc0
	s_nop 0
	v_cndmask_b32_sdwa v10, v8, v1, vcc dst_sel:DWORD dst_unused:UNUSED_PAD src0_sel:DWORD src1_sel:WORD_1
	v_mov_b32_e32 v1, 0
	v_lshl_add_u64 v[8:9], v[0:1], 1, s[2:3]
	global_store_short v[8:9], v10, off offset:32
.LBB194_21:
	s_or_b64 exec, exec, s[6:7]
	v_cmp_gt_u32_e32 vcc, 32, v0
	s_and_b64 exec, exec, vcc
	s_cbranch_execz .LBB194_31
; %bb.22:
	s_and_saveexec_b64 s[6:7], s[0:1]
; %bb.23:
	v_lshlrev_b32_e32 v1, 2, v0
	v_lshlrev_b32_e32 v7, 2, v2
	v_add3_u32 v1, 0, v1, v7
	ds_read_b32 v7, v1 offset:128
; %bb.24:
	s_or_b64 exec, exec, s[6:7]
	s_waitcnt lgkmcnt(0)
	ds_bpermute_b32 v1, v3, v7
	s_waitcnt lgkmcnt(0)
	v_add_f32_e32 v1, v7, v1
	ds_bpermute_b32 v7, v4, v1
	s_waitcnt lgkmcnt(0)
	v_add_f32_e32 v1, v1, v7
	ds_bpermute_b32 v7, v5, v1
	s_waitcnt lgkmcnt(0)
	v_add_f32_e32 v1, v1, v7
	ds_bpermute_b32 v7, v6, v1
	s_waitcnt lgkmcnt(0)
	v_add_f32_e32 v7, v1, v7
	s_and_saveexec_b64 s[6:7], s[4:5]
	s_cbranch_execz .LBB194_26
; %bb.25:
	v_bfe_u32 v1, v7, 16, 1
	s_movk_i32 s8, 0x7fff
	v_add3_u32 v1, v7, v1, s8
	v_cmp_o_f32_e32 vcc, v7, v7
	v_mov_b32_e32 v8, 0x7fc0
	s_nop 0
	v_cndmask_b32_sdwa v10, v8, v1, vcc dst_sel:DWORD dst_unused:UNUSED_PAD src0_sel:DWORD src1_sel:WORD_1
	v_mov_b32_e32 v1, 0
	v_lshl_add_u64 v[8:9], v[0:1], 1, s[2:3]
	global_store_short v[8:9], v10, off offset:64
.LBB194_26:
	s_or_b64 exec, exec, s[6:7]
	v_cmp_gt_u32_e32 vcc, 16, v0
	s_and_b64 exec, exec, vcc
	s_cbranch_execz .LBB194_31
; %bb.27:
	s_and_saveexec_b64 s[6:7], s[0:1]
; %bb.28:
	v_lshlrev_b32_e32 v1, 2, v0
	v_lshlrev_b32_e32 v2, 2, v2
	v_add3_u32 v1, 0, v1, v2
	ds_read_b32 v7, v1 offset:192
; %bb.29:
	s_or_b64 exec, exec, s[6:7]
	s_waitcnt lgkmcnt(0)
	ds_bpermute_b32 v1, v3, v7
	s_waitcnt lgkmcnt(0)
	v_add_f32_e32 v1, v7, v1
	ds_bpermute_b32 v2, v4, v1
	s_waitcnt lgkmcnt(0)
	v_add_f32_e32 v1, v1, v2
	ds_bpermute_b32 v2, v5, v1
	s_waitcnt lgkmcnt(0)
	v_add_f32_e32 v1, v1, v2
	ds_bpermute_b32 v2, v6, v1
	s_and_saveexec_b64 s[0:1], s[4:5]
	s_xor_b64 s[0:1], exec, s[0:1]
	s_cbranch_execz .LBB194_31
; %bb.30:
	s_waitcnt lgkmcnt(0)
	v_add_f32_e32 v1, v1, v2
	v_bfe_u32 v2, v1, 16, 1
	s_movk_i32 s0, 0x7fff
	v_add3_u32 v2, v1, v2, s0
	v_cmp_o_f32_e32 vcc, v1, v1
	v_mov_b32_e32 v1, 0x7fc0
	s_nop 0
	v_cndmask_b32_sdwa v2, v1, v2, vcc dst_sel:DWORD dst_unused:UNUSED_PAD src0_sel:DWORD src1_sel:WORD_1
	v_mov_b32_e32 v1, 0
	v_lshl_add_u64 v[0:1], v[0:1], 1, s[2:3]
	global_store_short v[0:1], v2, off offset:96
.LBB194_31:
	s_endpgm
	.section	.rodata,"a",@progbits
	.p2align	6, 0x0
	.amdhsa_kernel _ZN2at6native12_GLOBAL__N_135GammaBetaBackwardCUDAKernelTemplateIN3c108BFloat16EfLj64ELj16ELj128ELb0ELb1ELb1EEEvllPKT_S7_PKT0_SA_PS5_SB_
		.amdhsa_group_segment_fixed_size 0
		.amdhsa_private_segment_fixed_size 0
		.amdhsa_kernarg_size 320
		.amdhsa_user_sgpr_count 2
		.amdhsa_user_sgpr_dispatch_ptr 0
		.amdhsa_user_sgpr_queue_ptr 0
		.amdhsa_user_sgpr_kernarg_segment_ptr 1
		.amdhsa_user_sgpr_dispatch_id 0
		.amdhsa_user_sgpr_kernarg_preload_length 0
		.amdhsa_user_sgpr_kernarg_preload_offset 0
		.amdhsa_user_sgpr_private_segment_size 0
		.amdhsa_uses_dynamic_stack 0
		.amdhsa_enable_private_segment 0
		.amdhsa_system_sgpr_workgroup_id_x 1
		.amdhsa_system_sgpr_workgroup_id_y 1
		.amdhsa_system_sgpr_workgroup_id_z 0
		.amdhsa_system_sgpr_workgroup_info 0
		.amdhsa_system_vgpr_workitem_id 1
		.amdhsa_next_free_vgpr 49
		.amdhsa_next_free_sgpr 26
		.amdhsa_accum_offset 52
		.amdhsa_reserve_vcc 1
		.amdhsa_float_round_mode_32 0
		.amdhsa_float_round_mode_16_64 0
		.amdhsa_float_denorm_mode_32 3
		.amdhsa_float_denorm_mode_16_64 3
		.amdhsa_dx10_clamp 1
		.amdhsa_ieee_mode 1
		.amdhsa_fp16_overflow 0
		.amdhsa_tg_split 0
		.amdhsa_exception_fp_ieee_invalid_op 0
		.amdhsa_exception_fp_denorm_src 0
		.amdhsa_exception_fp_ieee_div_zero 0
		.amdhsa_exception_fp_ieee_overflow 0
		.amdhsa_exception_fp_ieee_underflow 0
		.amdhsa_exception_fp_ieee_inexact 0
		.amdhsa_exception_int_div_zero 0
	.end_amdhsa_kernel
	.section	.text._ZN2at6native12_GLOBAL__N_135GammaBetaBackwardCUDAKernelTemplateIN3c108BFloat16EfLj64ELj16ELj128ELb0ELb1ELb1EEEvllPKT_S7_PKT0_SA_PS5_SB_,"axG",@progbits,_ZN2at6native12_GLOBAL__N_135GammaBetaBackwardCUDAKernelTemplateIN3c108BFloat16EfLj64ELj16ELj128ELb0ELb1ELb1EEEvllPKT_S7_PKT0_SA_PS5_SB_,comdat
.Lfunc_end194:
	.size	_ZN2at6native12_GLOBAL__N_135GammaBetaBackwardCUDAKernelTemplateIN3c108BFloat16EfLj64ELj16ELj128ELb0ELb1ELb1EEEvllPKT_S7_PKT0_SA_PS5_SB_, .Lfunc_end194-_ZN2at6native12_GLOBAL__N_135GammaBetaBackwardCUDAKernelTemplateIN3c108BFloat16EfLj64ELj16ELj128ELb0ELb1ELb1EEEvllPKT_S7_PKT0_SA_PS5_SB_
                                        ; -- End function
	.set _ZN2at6native12_GLOBAL__N_135GammaBetaBackwardCUDAKernelTemplateIN3c108BFloat16EfLj64ELj16ELj128ELb0ELb1ELb1EEEvllPKT_S7_PKT0_SA_PS5_SB_.num_vgpr, 49
	.set _ZN2at6native12_GLOBAL__N_135GammaBetaBackwardCUDAKernelTemplateIN3c108BFloat16EfLj64ELj16ELj128ELb0ELb1ELb1EEEvllPKT_S7_PKT0_SA_PS5_SB_.num_agpr, 0
	.set _ZN2at6native12_GLOBAL__N_135GammaBetaBackwardCUDAKernelTemplateIN3c108BFloat16EfLj64ELj16ELj128ELb0ELb1ELb1EEEvllPKT_S7_PKT0_SA_PS5_SB_.numbered_sgpr, 26
	.set _ZN2at6native12_GLOBAL__N_135GammaBetaBackwardCUDAKernelTemplateIN3c108BFloat16EfLj64ELj16ELj128ELb0ELb1ELb1EEEvllPKT_S7_PKT0_SA_PS5_SB_.num_named_barrier, 0
	.set _ZN2at6native12_GLOBAL__N_135GammaBetaBackwardCUDAKernelTemplateIN3c108BFloat16EfLj64ELj16ELj128ELb0ELb1ELb1EEEvllPKT_S7_PKT0_SA_PS5_SB_.private_seg_size, 0
	.set _ZN2at6native12_GLOBAL__N_135GammaBetaBackwardCUDAKernelTemplateIN3c108BFloat16EfLj64ELj16ELj128ELb0ELb1ELb1EEEvllPKT_S7_PKT0_SA_PS5_SB_.uses_vcc, 1
	.set _ZN2at6native12_GLOBAL__N_135GammaBetaBackwardCUDAKernelTemplateIN3c108BFloat16EfLj64ELj16ELj128ELb0ELb1ELb1EEEvllPKT_S7_PKT0_SA_PS5_SB_.uses_flat_scratch, 0
	.set _ZN2at6native12_GLOBAL__N_135GammaBetaBackwardCUDAKernelTemplateIN3c108BFloat16EfLj64ELj16ELj128ELb0ELb1ELb1EEEvllPKT_S7_PKT0_SA_PS5_SB_.has_dyn_sized_stack, 0
	.set _ZN2at6native12_GLOBAL__N_135GammaBetaBackwardCUDAKernelTemplateIN3c108BFloat16EfLj64ELj16ELj128ELb0ELb1ELb1EEEvllPKT_S7_PKT0_SA_PS5_SB_.has_recursion, 0
	.set _ZN2at6native12_GLOBAL__N_135GammaBetaBackwardCUDAKernelTemplateIN3c108BFloat16EfLj64ELj16ELj128ELb0ELb1ELb1EEEvllPKT_S7_PKT0_SA_PS5_SB_.has_indirect_call, 0
	.section	.AMDGPU.csdata,"",@progbits
; Kernel info:
; codeLenInByte = 1968
; TotalNumSgprs: 32
; NumVgprs: 49
; NumAgprs: 0
; TotalNumVgprs: 49
; ScratchSize: 0
; MemoryBound: 0
; FloatMode: 240
; IeeeMode: 1
; LDSByteSize: 0 bytes/workgroup (compile time only)
; SGPRBlocks: 3
; VGPRBlocks: 6
; NumSGPRsForWavesPerEU: 32
; NumVGPRsForWavesPerEU: 49
; AccumOffset: 52
; Occupancy: 8
; WaveLimiterHint : 0
; COMPUTE_PGM_RSRC2:SCRATCH_EN: 0
; COMPUTE_PGM_RSRC2:USER_SGPR: 2
; COMPUTE_PGM_RSRC2:TRAP_HANDLER: 0
; COMPUTE_PGM_RSRC2:TGID_X_EN: 1
; COMPUTE_PGM_RSRC2:TGID_Y_EN: 1
; COMPUTE_PGM_RSRC2:TGID_Z_EN: 0
; COMPUTE_PGM_RSRC2:TIDIG_COMP_CNT: 1
; COMPUTE_PGM_RSRC3_GFX90A:ACCUM_OFFSET: 12
; COMPUTE_PGM_RSRC3_GFX90A:TG_SPLIT: 0
	.section	.text._ZN2at6native12_GLOBAL__N_135GammaBetaBackwardCUDAKernelTemplateIN3c108BFloat16EfLj64ELj16ELj128ELb0ELb0ELb1EEEvllPKT_S7_PKT0_SA_PS5_SB_,"axG",@progbits,_ZN2at6native12_GLOBAL__N_135GammaBetaBackwardCUDAKernelTemplateIN3c108BFloat16EfLj64ELj16ELj128ELb0ELb0ELb1EEEvllPKT_S7_PKT0_SA_PS5_SB_,comdat
	.globl	_ZN2at6native12_GLOBAL__N_135GammaBetaBackwardCUDAKernelTemplateIN3c108BFloat16EfLj64ELj16ELj128ELb0ELb0ELb1EEEvllPKT_S7_PKT0_SA_PS5_SB_ ; -- Begin function _ZN2at6native12_GLOBAL__N_135GammaBetaBackwardCUDAKernelTemplateIN3c108BFloat16EfLj64ELj16ELj128ELb0ELb0ELb1EEEvllPKT_S7_PKT0_SA_PS5_SB_
	.p2align	8
	.type	_ZN2at6native12_GLOBAL__N_135GammaBetaBackwardCUDAKernelTemplateIN3c108BFloat16EfLj64ELj16ELj128ELb0ELb0ELb1EEEvllPKT_S7_PKT0_SA_PS5_SB_,@function
_ZN2at6native12_GLOBAL__N_135GammaBetaBackwardCUDAKernelTemplateIN3c108BFloat16EfLj64ELj16ELj128ELb0ELb0ELb1EEEvllPKT_S7_PKT0_SA_PS5_SB_: ; @_ZN2at6native12_GLOBAL__N_135GammaBetaBackwardCUDAKernelTemplateIN3c108BFloat16EfLj64ELj16ELj128ELb0ELb0ELb1EEEvllPKT_S7_PKT0_SA_PS5_SB_
; %bb.0:
	s_load_dwordx8 s[8:15], s[0:1], 0x0
	s_load_dwordx2 s[16:17], s[0:1], 0x28
	s_lshl_b32 s33, s2, 6
	s_mov_b32 s19, 0
	s_lshl_b32 s18, s3, 7
	s_or_b32 s4, s33, 63
	v_mov_b64_e32 v[4:5], s[18:19]
	v_mov_b32_e32 v2, s4
	v_mov_b32_e32 v3, 0
	s_waitcnt lgkmcnt(0)
	v_cmp_gt_i64_e64 s[4:5], s[8:9], v[4:5]
	v_cmp_le_i64_e32 vcc, s[10:11], v[2:3]
	s_nop 0
	v_cndmask_b32_e64 v1, 0, 1, s[4:5]
	v_cmp_ne_u32_e64 s[4:5], 1, v1
	s_cbranch_vccz .LBB195_49
; %bb.1:
	s_and_b64 vcc, exec, s[4:5]
	s_cbranch_vccnz .LBB195_50
; %bb.2:
	v_and_b32_e32 v1, 0x3ff, v0
	v_mov_b32_e32 v2, 0
	v_bfe_u32 v58, v0, 10, 10
	v_add_u32_e32 v4, s33, v1
	v_mov_b32_e32 v5, v2
	v_lshlrev_b32_e32 v20, 3, v58
	v_mov_b32_e32 v21, v2
	v_cmp_gt_i64_e64 s[6:7], s[10:11], v[4:5]
	v_lshlrev_b64 v[22:23], 1, v[4:5]
	v_lshl_add_u64 v[4:5], v[20:21], 0, s[18:19]
	v_mul_lo_u32 v3, s11, v4
	v_mul_lo_u32 v8, s10, v5
	v_mad_u64_u32 v[6:7], s[22:23], s10, v4, 0
	v_add3_u32 v7, v7, v8, v3
	v_lshlrev_b64 v[6:7], 1, v[6:7]
	v_lshl_add_u64 v[24:25], s[12:13], 0, v[6:7]
	v_lshl_add_u64 v[26:27], s[14:15], 0, v[6:7]
	v_lshl_add_u64 v[6:7], v[4:5], 0, 7
	v_mul_lo_u32 v9, s11, v6
	v_mul_lo_u32 v10, s10, v7
	v_mad_u64_u32 v[6:7], s[24:25], s10, v6, 0
	v_add3_u32 v7, v7, v10, v9
	v_lshlrev_b64 v[6:7], 1, v[6:7]
	v_lshl_add_u64 v[28:29], s[12:13], 0, v[6:7]
	v_lshl_add_u64 v[30:31], s[14:15], 0, v[6:7]
	;; [unrolled: 8-line block ×5, first 2 shown]
	v_lshl_add_u64 v[6:7], v[4:5], 0, 3
	v_mul_lo_u32 v9, s11, v6
	v_mul_lo_u32 v10, s10, v7
	v_mad_u64_u32 v[6:7], s[24:25], s10, v6, 0
	v_add3_u32 v7, v7, v10, v9
	s_load_dword s3, s[0:1], 0x44
	v_lshlrev_b64 v[6:7], 1, v[6:7]
	v_lshl_add_u64 v[44:45], s[12:13], 0, v[6:7]
	v_lshl_add_u64 v[46:47], s[14:15], 0, v[6:7]
	;; [unrolled: 1-line block ×3, first 2 shown]
	v_mul_lo_u32 v5, s11, v6
	v_mul_lo_u32 v9, s10, v7
	v_mad_u64_u32 v[6:7], s[24:25], s10, v6, 0
	v_add3_u32 v7, v7, v9, v5
	s_add_u32 s20, s0, 64
	v_lshlrev_b64 v[6:7], 1, v[6:7]
	s_addc_u32 s21, s1, 0
	s_waitcnt lgkmcnt(0)
	s_lshl_b32 s3, s3, 7
	v_lshl_add_u64 v[48:49], s[12:13], 0, v[6:7]
	v_lshl_add_u64 v[50:51], s[14:15], 0, v[6:7]
	v_mov_b64_e32 v[6:7], s[10:11]
	s_mul_i32 s22, s11, s3
	s_mul_hi_u32 s23, s10, s3
	v_mad_u64_u32 v[4:5], s[24:25], s10, v4, v[6:7]
	s_add_i32 s23, s23, s22
	s_mul_i32 s22, s10, s3
	v_add3_u32 v5, v3, v5, v8
	v_mbcnt_lo_u32_b32 v3, -1, 0
	s_lshl_b64 s[22:23], s[22:23], 1
	v_mbcnt_hi_u32_b32 v3, -1, v3
	v_lshlrev_b64 v[4:5], 1, v[4:5]
	s_add_u32 s24, s18, 0x7f
	s_movk_i32 s26, 0xff81
	s_movk_i32 s28, 0xff82
	;; [unrolled: 1-line block ×8, first 2 shown]
	v_lshlrev_b32_e32 v3, 2, v3
	v_lshl_add_u64 v[52:53], s[12:13], 0, v[4:5]
	v_lshl_add_u64 v[54:55], s[14:15], 0, v[4:5]
	s_addc_u32 s25, 0, 0
	s_mov_b32 s27, -1
	s_mov_b32 s29, -1
	;; [unrolled: 1-line block ×8, first 2 shown]
	v_and_b32_e32 v59, 0x100, v3
	s_mov_b64 s[44:45], s[18:19]
	v_mov_b32_e32 v60, 0
.LBB195_3:                              ; =>This Inner Loop Header: Depth=1
	v_mov_b64_e32 v[4:5], s[8:9]
	v_cmp_ge_i64_e32 vcc, s[24:25], v[4:5]
	v_lshl_add_u64 v[56:57], v[20:21], 0, s[24:25]
	s_mov_b64 s[46:47], -1
	s_and_b64 vcc, exec, vcc
                                        ; implicit-def: $vgpr4_vgpr5_vgpr6_vgpr7_vgpr8_vgpr9_vgpr10_vgpr11
                                        ; implicit-def: $vgpr3
                                        ; implicit-def: $vgpr12_vgpr13_vgpr14_vgpr15_vgpr16_vgpr17_vgpr18_vgpr19
                                        ; implicit-def: $vgpr4
	s_cbranch_vccz .LBB195_25
; %bb.4:                                ;   in Loop: Header=BB195_3 Depth=1
	s_load_dword s46, s[20:21], 0xc
	v_mov_b32_e32 v61, 0
	s_waitcnt lgkmcnt(0)
	s_and_b32 s46, s46, 0xffff
	v_mad_u32_u24 v3, v58, s46, v1
	v_and_b32_e32 v4, 63, v3
	v_cmp_gt_u32_e32 vcc, 8, v4
	s_and_saveexec_b64 s[46:47], vcc
	s_cbranch_execz .LBB195_8
; %bb.5:                                ;   in Loop: Header=BB195_3 Depth=1
	v_mov_b32_e32 v5, v2
	v_lshl_add_u64 v[4:5], v[56:57], 0, v[4:5]
	v_lshl_add_u64 v[4:5], v[4:5], 0, s[26:27]
	v_cmp_gt_i64_e32 vcc, s[8:9], v[4:5]
	v_mov_b32_e32 v61, 0
	s_and_saveexec_b64 s[48:49], vcc
	s_cbranch_execz .LBB195_7
; %bb.6:                                ;   in Loop: Header=BB195_3 Depth=1
	v_lshl_add_u64 v[4:5], v[4:5], 2, s[16:17]
	global_load_dword v61, v[4:5], off
.LBB195_7:                              ;   in Loop: Header=BB195_3 Depth=1
	s_or_b64 exec, exec, s[48:49]
.LBB195_8:                              ;   in Loop: Header=BB195_3 Depth=1
	s_or_b64 exec, exec, s[46:47]
	v_lshl_add_u64 v[4:5], v[56:57], 0, s[26:27]
	v_mov_b32_e32 v8, v2
	v_mov_b32_e32 v9, v2
	v_cmp_gt_i64_e32 vcc, s[8:9], v[4:5]
	v_mov_b32_e32 v3, v2
	v_mov_b32_e32 v4, v2
	;; [unrolled: 1-line block ×5, first 2 shown]
	v_mov_b64_e32 v[18:19], v[8:9]
	v_mov_b64_e32 v[16:17], v[6:7]
	;; [unrolled: 1-line block ×5, first 2 shown]
	s_and_b64 s[48:49], s[6:7], vcc
	v_mov_b64_e32 v[8:9], v[6:7]
	v_mov_b64_e32 v[6:7], v[4:5]
	;; [unrolled: 1-line block ×3, first 2 shown]
	s_and_saveexec_b64 s[46:47], s[48:49]
	s_cbranch_execz .LBB195_10
; %bb.9:                                ;   in Loop: Header=BB195_3 Depth=1
	v_lshl_add_u64 v[4:5], v[24:25], 0, v[22:23]
	global_load_ushort v3, v[4:5], off
	v_lshl_add_u64 v[4:5], v[26:27], 0, v[22:23]
	global_load_ushort v12, v[4:5], off
	v_mov_b32_e32 v5, v2
	v_mov_b32_e32 v6, v2
	;; [unrolled: 1-line block ×14, first 2 shown]
	s_waitcnt vmcnt(1)
	v_lshlrev_b32_e32 v4, 16, v3
	s_waitcnt vmcnt(0)
	v_lshlrev_b32_e32 v12, 16, v12
.LBB195_10:                             ;   in Loop: Header=BB195_3 Depth=1
	s_or_b64 exec, exec, s[46:47]
	v_lshl_add_u64 v[62:63], v[56:57], 0, s[28:29]
	v_cmp_gt_i64_e32 vcc, s[8:9], v[62:63]
	s_and_b64 s[48:49], s[6:7], vcc
	s_and_saveexec_b64 s[46:47], s[48:49]
	s_cbranch_execz .LBB195_12
; %bb.11:                               ;   in Loop: Header=BB195_3 Depth=1
	v_lshl_add_u64 v[62:63], v[52:53], 0, v[22:23]
	global_load_ushort v3, v[62:63], off
	v_lshl_add_u64 v[62:63], v[54:55], 0, v[22:23]
	global_load_ushort v13, v[62:63], off
	s_waitcnt vmcnt(1)
	v_lshlrev_b32_e32 v5, 16, v3
	s_waitcnt vmcnt(0)
	v_lshlrev_b32_e32 v13, 16, v13
.LBB195_12:                             ;   in Loop: Header=BB195_3 Depth=1
	s_or_b64 exec, exec, s[46:47]
	v_lshl_add_u64 v[62:63], v[56:57], 0, s[30:31]
	v_cmp_gt_i64_e32 vcc, s[8:9], v[62:63]
	s_and_b64 s[48:49], s[6:7], vcc
	s_and_saveexec_b64 s[46:47], s[48:49]
	s_cbranch_execz .LBB195_14
; %bb.13:                               ;   in Loop: Header=BB195_3 Depth=1
	v_lshl_add_u64 v[62:63], v[48:49], 0, v[22:23]
	global_load_ushort v3, v[62:63], off
	v_lshl_add_u64 v[62:63], v[50:51], 0, v[22:23]
	global_load_ushort v14, v[62:63], off
	s_waitcnt vmcnt(1)
	v_lshlrev_b32_e32 v6, 16, v3
	s_waitcnt vmcnt(0)
	v_lshlrev_b32_e32 v14, 16, v14
.LBB195_14:                             ;   in Loop: Header=BB195_3 Depth=1
	;; [unrolled: 16-line block ×7, first 2 shown]
	s_or_b64 exec, exec, s[46:47]
	s_waitcnt vmcnt(0)
	ds_bpermute_b32 v3, v59, v61
	ds_bpermute_b32 v62, v59, v61 offset:4
	ds_bpermute_b32 v63, v59, v61 offset:8
	v_mul_f32_e32 v4, v12, v4
	v_pk_mul_f32 v[8:9], v[16:17], v[8:9]
	s_waitcnt lgkmcnt(2)
	v_fma_f32 v16, v4, v3, v60
	v_pk_mul_f32 v[6:7], v[14:15], v[6:7]
	v_mul_f32_e32 v3, v13, v5
	ds_bpermute_b32 v14, v59, v61 offset:12
	ds_bpermute_b32 v15, v59, v61 offset:16
	v_pk_mov_b32 v[12:13], v[2:3], v[6:7] op_sel:[1,0]
	v_pk_mov_b32 v[6:7], v[6:7], v[8:9] op_sel:[1,0]
	s_waitcnt lgkmcnt(2)
	v_pk_mul_f32 v[12:13], v[12:13], v[62:63]
	v_mul_f32_e32 v4, v18, v10
	v_add_f32_e32 v3, v16, v12
	v_add_f32_e32 v3, v3, v13
	ds_bpermute_b32 v12, v59, v61 offset:20
	ds_bpermute_b32 v13, v59, v61 offset:24
	s_waitcnt lgkmcnt(2)
	v_pk_mul_f32 v[6:7], v[6:7], v[14:15]
	s_mov_b64 s[46:47], 0
	v_add_f32_e32 v3, v3, v6
	v_add_f32_e32 v3, v3, v7
	v_pk_mov_b32 v[6:7], v[8:9], v[4:5] op_sel:[1,0]
	ds_bpermute_b32 v4, v59, v61 offset:28
	s_waitcnt lgkmcnt(1)
	v_pk_mul_f32 v[6:7], v[6:7], v[12:13]
	s_nop 0
	v_add_f32_e32 v3, v3, v6
	v_add_f32_e32 v3, v3, v7
.LBB195_25:                             ;   in Loop: Header=BB195_3 Depth=1
	s_and_b64 vcc, exec, s[46:47]
	s_cbranch_vccz .LBB195_40
; %bb.26:                               ;   in Loop: Header=BB195_3 Depth=1
	s_load_dword s46, s[20:21], 0x0
	v_mov_b32_e32 v61, 0
	s_waitcnt lgkmcnt(0)
	s_cmp_lt_u32 s2, s46
	s_cselect_b32 s46, 12, 18
	s_add_u32 s46, s20, s46
	s_addc_u32 s47, s21, 0
	global_load_ushort v3, v2, s[46:47]
	s_waitcnt vmcnt(0)
	v_mad_u32_u24 v3, v58, v3, v1
	v_and_b32_e32 v4, 63, v3
	v_cmp_gt_u32_e32 vcc, 8, v4
	s_and_saveexec_b64 s[46:47], vcc
	s_cbranch_execz .LBB195_30
; %bb.27:                               ;   in Loop: Header=BB195_3 Depth=1
	v_mov_b32_e32 v5, v2
	v_lshl_add_u64 v[4:5], v[56:57], 0, v[4:5]
	v_lshl_add_u64 v[4:5], v[4:5], 0, s[26:27]
	v_cmp_gt_i64_e32 vcc, s[8:9], v[4:5]
	v_mov_b32_e32 v61, 0
	s_and_saveexec_b64 s[48:49], vcc
	s_cbranch_execz .LBB195_29
; %bb.28:                               ;   in Loop: Header=BB195_3 Depth=1
	v_lshl_add_u64 v[4:5], v[4:5], 2, s[16:17]
	global_load_dword v61, v[4:5], off
.LBB195_29:                             ;   in Loop: Header=BB195_3 Depth=1
	s_or_b64 exec, exec, s[48:49]
.LBB195_30:                             ;   in Loop: Header=BB195_3 Depth=1
	s_or_b64 exec, exec, s[46:47]
	v_mov_b32_e32 v8, v2
	v_mov_b32_e32 v9, v2
	;; [unrolled: 1-line block ×7, first 2 shown]
	v_mov_b64_e32 v[18:19], v[8:9]
	v_mov_b64_e32 v[16:17], v[6:7]
	;; [unrolled: 1-line block ×8, first 2 shown]
	s_and_saveexec_b64 s[46:47], s[6:7]
	s_cbranch_execnz .LBB195_42
; %bb.31:                               ;   in Loop: Header=BB195_3 Depth=1
	s_or_b64 exec, exec, s[46:47]
	s_and_saveexec_b64 s[46:47], s[6:7]
	s_cbranch_execnz .LBB195_43
.LBB195_32:                             ;   in Loop: Header=BB195_3 Depth=1
	s_or_b64 exec, exec, s[46:47]
	s_and_saveexec_b64 s[46:47], s[6:7]
	s_cbranch_execnz .LBB195_44
.LBB195_33:                             ;   in Loop: Header=BB195_3 Depth=1
	s_or_b64 exec, exec, s[46:47]
	s_and_saveexec_b64 s[46:47], s[6:7]
	s_cbranch_execnz .LBB195_45
.LBB195_34:                             ;   in Loop: Header=BB195_3 Depth=1
	s_or_b64 exec, exec, s[46:47]
	s_and_saveexec_b64 s[46:47], s[6:7]
	s_cbranch_execnz .LBB195_46
.LBB195_35:                             ;   in Loop: Header=BB195_3 Depth=1
	s_or_b64 exec, exec, s[46:47]
	s_and_saveexec_b64 s[46:47], s[6:7]
	s_cbranch_execnz .LBB195_47
.LBB195_36:                             ;   in Loop: Header=BB195_3 Depth=1
	s_or_b64 exec, exec, s[46:47]
	s_and_saveexec_b64 s[46:47], s[6:7]
	s_cbranch_execnz .LBB195_48
.LBB195_37:                             ;   in Loop: Header=BB195_3 Depth=1
	s_or_b64 exec, exec, s[46:47]
	s_and_saveexec_b64 s[46:47], s[6:7]
	s_cbranch_execz .LBB195_39
.LBB195_38:                             ;   in Loop: Header=BB195_3 Depth=1
	v_lshl_add_u64 v[56:57], v[28:29], 0, v[22:23]
	global_load_ushort v3, v[56:57], off
	v_lshl_add_u64 v[56:57], v[30:31], 0, v[22:23]
	global_load_ushort v19, v[56:57], off
	s_waitcnt vmcnt(1)
	v_lshlrev_b32_e32 v11, 16, v3
	s_waitcnt vmcnt(0)
	v_lshlrev_b32_e32 v19, 16, v19
.LBB195_39:                             ;   in Loop: Header=BB195_3 Depth=1
	s_or_b64 exec, exec, s[46:47]
	s_waitcnt vmcnt(0)
	ds_bpermute_b32 v3, v59, v61
	ds_bpermute_b32 v56, v59, v61 offset:4
	ds_bpermute_b32 v57, v59, v61 offset:8
	v_mul_f32_e32 v4, v12, v4
	v_pk_mul_f32 v[6:7], v[14:15], v[6:7]
	s_waitcnt lgkmcnt(2)
	v_fmac_f32_e32 v60, v4, v3
	v_mul_f32_e32 v3, v13, v5
	v_pk_mov_b32 v[4:5], v[2:3], v[6:7] op_sel:[1,0]
	ds_bpermute_b32 v12, v59, v61 offset:12
	ds_bpermute_b32 v13, v59, v61 offset:16
	s_waitcnt lgkmcnt(2)
	v_pk_mul_f32 v[4:5], v[4:5], v[56:57]
	v_pk_mul_f32 v[8:9], v[16:17], v[8:9]
	v_add_f32_e32 v3, v60, v4
	v_add_f32_e32 v3, v3, v5
	v_pk_mov_b32 v[4:5], v[6:7], v[8:9] op_sel:[1,0]
	ds_bpermute_b32 v6, v59, v61 offset:20
	ds_bpermute_b32 v7, v59, v61 offset:24
	s_waitcnt lgkmcnt(2)
	v_pk_mul_f32 v[4:5], v[4:5], v[12:13]
	v_mul_f32_e32 v10, v18, v10
	v_add_f32_e32 v3, v3, v4
	ds_bpermute_b32 v4, v59, v61 offset:28
	v_pk_mov_b32 v[8:9], v[8:9], v[10:11] op_sel:[1,0]
	v_add_f32_e32 v3, v3, v5
	s_waitcnt lgkmcnt(1)
	v_pk_mul_f32 v[6:7], v[8:9], v[6:7]
	s_nop 0
	v_add_f32_e32 v3, v3, v6
	v_add_f32_e32 v3, v3, v7
.LBB195_40:                             ;   in Loop: Header=BB195_3 Depth=1
	v_mul_f32_e32 v5, v11, v19
	s_add_u32 s44, s44, s3
	s_waitcnt lgkmcnt(0)
	v_fmac_f32_e32 v3, v5, v4
	s_addc_u32 s45, s45, 0
	v_mov_b64_e32 v[4:5], s[8:9]
	s_add_u32 s24, s24, s3
	v_cmp_lt_i64_e32 vcc, s[44:45], v[4:5]
	v_lshl_add_u64 v[24:25], v[24:25], 0, s[22:23]
	v_lshl_add_u64 v[26:27], v[26:27], 0, s[22:23]
	v_lshl_add_u64 v[28:29], v[28:29], 0, s[22:23]
	v_lshl_add_u64 v[30:31], v[30:31], 0, s[22:23]
	v_lshl_add_u64 v[32:33], v[32:33], 0, s[22:23]
	v_lshl_add_u64 v[34:35], v[34:35], 0, s[22:23]
	v_lshl_add_u64 v[36:37], v[36:37], 0, s[22:23]
	v_lshl_add_u64 v[38:39], v[38:39], 0, s[22:23]
	v_lshl_add_u64 v[40:41], v[40:41], 0, s[22:23]
	v_lshl_add_u64 v[42:43], v[42:43], 0, s[22:23]
	v_lshl_add_u64 v[44:45], v[44:45], 0, s[22:23]
	v_lshl_add_u64 v[46:47], v[46:47], 0, s[22:23]
	v_lshl_add_u64 v[48:49], v[48:49], 0, s[22:23]
	v_lshl_add_u64 v[50:51], v[50:51], 0, s[22:23]
	v_lshl_add_u64 v[52:53], v[52:53], 0, s[22:23]
	v_lshl_add_u64 v[54:55], v[54:55], 0, s[22:23]
	s_addc_u32 s25, s25, 0
	s_cbranch_vccz .LBB195_50
; %bb.41:                               ;   in Loop: Header=BB195_3 Depth=1
	v_mov_b32_e32 v60, v3
	s_branch .LBB195_3
.LBB195_42:                             ;   in Loop: Header=BB195_3 Depth=1
	v_lshl_add_u64 v[4:5], v[24:25], 0, v[22:23]
	global_load_ushort v3, v[4:5], off
	v_lshl_add_u64 v[4:5], v[26:27], 0, v[22:23]
	global_load_ushort v12, v[4:5], off
	v_mov_b32_e32 v5, v2
	v_mov_b32_e32 v6, v2
	;; [unrolled: 1-line block ×14, first 2 shown]
	s_waitcnt vmcnt(1)
	v_lshlrev_b32_e32 v4, 16, v3
	s_waitcnt vmcnt(0)
	v_lshlrev_b32_e32 v12, 16, v12
	s_or_b64 exec, exec, s[46:47]
	s_and_saveexec_b64 s[46:47], s[6:7]
	s_cbranch_execz .LBB195_32
.LBB195_43:                             ;   in Loop: Header=BB195_3 Depth=1
	v_lshl_add_u64 v[56:57], v[52:53], 0, v[22:23]
	global_load_ushort v3, v[56:57], off
	v_lshl_add_u64 v[56:57], v[54:55], 0, v[22:23]
	global_load_ushort v13, v[56:57], off
	s_waitcnt vmcnt(1)
	v_lshlrev_b32_e32 v5, 16, v3
	s_waitcnt vmcnt(0)
	v_lshlrev_b32_e32 v13, 16, v13
	s_or_b64 exec, exec, s[46:47]
	s_and_saveexec_b64 s[46:47], s[6:7]
	s_cbranch_execz .LBB195_33
.LBB195_44:                             ;   in Loop: Header=BB195_3 Depth=1
	v_lshl_add_u64 v[56:57], v[48:49], 0, v[22:23]
	global_load_ushort v3, v[56:57], off
	v_lshl_add_u64 v[56:57], v[50:51], 0, v[22:23]
	global_load_ushort v14, v[56:57], off
	s_waitcnt vmcnt(1)
	v_lshlrev_b32_e32 v6, 16, v3
	s_waitcnt vmcnt(0)
	v_lshlrev_b32_e32 v14, 16, v14
	s_or_b64 exec, exec, s[46:47]
	s_and_saveexec_b64 s[46:47], s[6:7]
	s_cbranch_execz .LBB195_34
.LBB195_45:                             ;   in Loop: Header=BB195_3 Depth=1
	v_lshl_add_u64 v[56:57], v[44:45], 0, v[22:23]
	global_load_ushort v3, v[56:57], off
	v_lshl_add_u64 v[56:57], v[46:47], 0, v[22:23]
	global_load_ushort v15, v[56:57], off
	s_waitcnt vmcnt(1)
	v_lshlrev_b32_e32 v7, 16, v3
	s_waitcnt vmcnt(0)
	v_lshlrev_b32_e32 v15, 16, v15
	s_or_b64 exec, exec, s[46:47]
	s_and_saveexec_b64 s[46:47], s[6:7]
	s_cbranch_execz .LBB195_35
.LBB195_46:                             ;   in Loop: Header=BB195_3 Depth=1
	v_lshl_add_u64 v[56:57], v[40:41], 0, v[22:23]
	global_load_ushort v3, v[56:57], off
	v_lshl_add_u64 v[56:57], v[42:43], 0, v[22:23]
	global_load_ushort v16, v[56:57], off
	s_waitcnt vmcnt(1)
	v_lshlrev_b32_e32 v8, 16, v3
	s_waitcnt vmcnt(0)
	v_lshlrev_b32_e32 v16, 16, v16
	s_or_b64 exec, exec, s[46:47]
	s_and_saveexec_b64 s[46:47], s[6:7]
	s_cbranch_execz .LBB195_36
.LBB195_47:                             ;   in Loop: Header=BB195_3 Depth=1
	v_lshl_add_u64 v[56:57], v[36:37], 0, v[22:23]
	global_load_ushort v3, v[56:57], off
	v_lshl_add_u64 v[56:57], v[38:39], 0, v[22:23]
	global_load_ushort v17, v[56:57], off
	s_waitcnt vmcnt(1)
	v_lshlrev_b32_e32 v9, 16, v3
	s_waitcnt vmcnt(0)
	v_lshlrev_b32_e32 v17, 16, v17
	s_or_b64 exec, exec, s[46:47]
	s_and_saveexec_b64 s[46:47], s[6:7]
	s_cbranch_execz .LBB195_37
.LBB195_48:                             ;   in Loop: Header=BB195_3 Depth=1
	v_lshl_add_u64 v[56:57], v[32:33], 0, v[22:23]
	global_load_ushort v3, v[56:57], off
	v_lshl_add_u64 v[56:57], v[34:35], 0, v[22:23]
	global_load_ushort v18, v[56:57], off
	s_waitcnt vmcnt(1)
	v_lshlrev_b32_e32 v10, 16, v3
	s_waitcnt vmcnt(0)
	v_lshlrev_b32_e32 v18, 16, v18
	s_or_b64 exec, exec, s[46:47]
	s_and_saveexec_b64 s[46:47], s[6:7]
	s_cbranch_execnz .LBB195_38
	s_branch .LBB195_39
.LBB195_49:
                                        ; implicit-def: $vgpr3
	s_branch .LBB195_51
.LBB195_50:
	s_cbranch_execnz .LBB195_83
.LBB195_51:
	s_and_b64 vcc, exec, s[4:5]
	v_mov_b32_e32 v3, 0
	s_cbranch_vccnz .LBB195_83
; %bb.52:
	v_mov_b32_e32 v2, 0
	v_bfe_u32 v86, v0, 10, 10
	v_lshlrev_b32_e32 v6, 4, v86
	v_mov_b32_e32 v7, v2
	v_lshl_add_u64 v[6:7], s[18:19], 1, v[6:7]
	v_lshl_add_u64 v[8:9], v[6:7], 0, 2
	v_mov_b64_e32 v[10:11], s[12:13]
	v_lshl_add_u64 v[12:13], v[6:7], 0, 4
	v_lshl_add_u64 v[14:15], v[6:7], 0, 6
	;; [unrolled: 1-line block ×6, first 2 shown]
	v_mad_u64_u32 v[22:23], s[4:5], s10, v8, v[10:11]
	v_mad_u64_u32 v[24:25], s[4:5], s10, v12, v[10:11]
	;; [unrolled: 1-line block ×7, first 2 shown]
	v_mov_b64_e32 v[10:11], s[14:15]
	v_mul_lo_u32 v9, s10, v9
	v_mul_lo_u32 v38, s11, v8
	v_mad_u64_u32 v[36:37], s[4:5], s10, v8, v[10:11]
	v_add3_u32 v23, v38, v23, v9
	v_mul_lo_u32 v13, s10, v13
	v_mul_lo_u32 v40, s11, v12
	v_add3_u32 v37, v38, v37, v9
	v_mad_u64_u32 v[38:39], s[4:5], s10, v12, v[10:11]
	v_add3_u32 v25, v40, v25, v13
	v_mul_lo_u32 v15, s10, v15
	v_mul_lo_u32 v42, s11, v14
	v_add3_u32 v39, v40, v39, v13
	;; [unrolled: 5-line block ×3, first 2 shown]
	v_mad_u64_u32 v[42:43], s[4:5], s10, v16, v[10:11]
	v_lshlrev_b32_e32 v20, 3, v86
	v_mov_b32_e32 v21, v2
	v_add3_u32 v29, v44, v29, v17
	v_mul_lo_u32 v19, s10, v19
	v_mul_lo_u32 v48, s11, v18
	;; [unrolled: 1-line block ×4, first 2 shown]
	v_add3_u32 v43, v44, v43, v17
	v_mad_u64_u32 v[44:45], s[4:5], s10, v18, v[10:11]
	v_mad_u64_u32 v[46:47], s[4:5], s10, v46, v[10:11]
	v_lshl_add_u64 v[4:5], v[20:21], 0, s[18:19]
	v_add3_u32 v31, v48, v31, v19
	v_add3_u32 v33, v51, v33, v49
	v_mul_lo_u32 v7, s10, v7
	v_mul_lo_u32 v8, s11, v6
	v_add3_u32 v45, v48, v45, v19
	v_add3_u32 v47, v51, v47, v49
	v_mad_u64_u32 v[48:49], s[4:5], s10, v6, v[10:11]
	v_add3_u32 v35, v8, v35, v7
	v_add3_u32 v49, v8, v49, v7
	v_lshl_add_u64 v[6:7], v[4:5], 0, 7
	v_mul_lo_u32 v8, s11, v6
	v_mul_lo_u32 v9, s10, v7
	v_mad_u64_u32 v[6:7], s[4:5], s10, v6, 0
	v_add3_u32 v7, v7, v9, v8
	v_lshl_add_u64 v[8:9], v[4:5], 0, 6
	v_mul_lo_u32 v10, s11, v8
	v_mul_lo_u32 v11, s10, v9
	v_mad_u64_u32 v[8:9], s[4:5], s10, v8, 0
	;; [unrolled: 5-line block ×5, first 2 shown]
	v_add3_u32 v15, v15, v17, v16
	v_lshl_add_u64 v[16:17], v[4:5], 0, 2
	v_mul_lo_u32 v50, s10, v5
	v_mul_lo_u32 v5, s11, v16
	;; [unrolled: 1-line block ×3, first 2 shown]
	v_mad_u64_u32 v[16:17], s[4:5], s10, v16, 0
	v_add3_u32 v17, v17, v18, v5
	v_mov_b64_e32 v[18:19], s[10:11]
	v_mul_lo_u32 v3, s11, v4
	v_mad_u64_u32 v[18:19], s[4:5], s10, v4, v[18:19]
	v_mad_u64_u32 v[4:5], s[4:5], s10, v4, 0
	s_load_dword s3, s[0:1], 0x44
	v_add3_u32 v5, v5, v50, v3
	v_lshlrev_b64 v[4:5], 1, v[4:5]
	v_lshl_add_u64 v[52:53], s[12:13], 0, v[4:5]
	v_lshl_add_u64 v[54:55], s[14:15], 0, v[4:5]
	v_lshlrev_b64 v[4:5], 1, v[6:7]
	v_lshl_add_u64 v[56:57], s[12:13], 0, v[4:5]
	v_lshl_add_u64 v[58:59], s[14:15], 0, v[4:5]
	v_lshlrev_b64 v[4:5], 1, v[8:9]
	s_add_u32 s4, s0, 64
	v_lshl_add_u64 v[60:61], s[12:13], 0, v[4:5]
	v_lshl_add_u64 v[62:63], s[14:15], 0, v[4:5]
	v_lshlrev_b64 v[4:5], 1, v[10:11]
	s_addc_u32 s5, s1, 0
	s_waitcnt lgkmcnt(0)
	s_lshl_b32 s3, s3, 7
	v_lshl_add_u64 v[64:65], s[12:13], 0, v[4:5]
	v_lshl_add_u64 v[66:67], s[14:15], 0, v[4:5]
	v_lshlrev_b64 v[4:5], 1, v[12:13]
	s_mul_i32 s6, s11, s3
	s_mul_hi_u32 s7, s10, s3
	v_lshl_add_u64 v[68:69], s[12:13], 0, v[4:5]
	v_lshl_add_u64 v[70:71], s[14:15], 0, v[4:5]
	v_lshlrev_b64 v[4:5], 1, v[14:15]
	v_add3_u32 v19, v3, v19, v50
	s_add_i32 s7, s7, s6
	s_mul_i32 s6, s10, s3
	v_lshl_add_u64 v[72:73], s[12:13], 0, v[4:5]
	v_lshl_add_u64 v[74:75], s[14:15], 0, v[4:5]
	v_lshlrev_b64 v[4:5], 1, v[16:17]
	v_mbcnt_lo_u32_b32 v3, -1, 0
	v_and_b32_e32 v1, 0x3ff, v0
	s_lshl_b64 s[6:7], s[6:7], 1
	v_lshl_add_u64 v[76:77], s[12:13], 0, v[4:5]
	v_lshl_add_u64 v[78:79], s[14:15], 0, v[4:5]
	v_lshlrev_b64 v[4:5], 1, v[18:19]
	v_mbcnt_hi_u32_b32 v3, -1, v3
	v_add_u32_e32 v50, s33, v1
	v_mov_b32_e32 v51, v2
	s_add_u32 s20, s18, 0x7f
	v_lshl_add_u64 v[80:81], s[12:13], 0, v[4:5]
	v_lshl_add_u64 v[82:83], s[14:15], 0, v[4:5]
	s_movk_i32 s12, 0xff81
	s_movk_i32 s14, 0xff82
	;; [unrolled: 1-line block ×8, first 2 shown]
	v_lshlrev_b32_e32 v3, 2, v3
	v_lshlrev_b64 v[50:51], 1, v[50:51]
	s_addc_u32 s21, 0, 0
	s_mov_b32 s13, -1
	s_mov_b32 s15, -1
	;; [unrolled: 1-line block ×8, first 2 shown]
	v_and_b32_e32 v87, 0x100, v3
	v_mov_b32_e32 v88, 0
.LBB195_53:                             ; =>This Inner Loop Header: Depth=1
	v_mov_b64_e32 v[4:5], s[8:9]
	v_cmp_ge_i64_e32 vcc, s[20:21], v[4:5]
	v_lshl_add_u64 v[84:85], v[20:21], 0, s[20:21]
	s_mov_b64 s[36:37], -1
                                        ; implicit-def: $vgpr3
	s_cbranch_vccz .LBB195_75
; %bb.54:                               ;   in Loop: Header=BB195_53 Depth=1
	s_load_dword s33, s[4:5], 0xc
	v_mov_b32_e32 v89, 0
	s_waitcnt lgkmcnt(0)
	s_and_b32 s33, s33, 0xffff
	v_mad_u32_u24 v3, v86, s33, v1
	v_and_b32_e32 v4, 63, v3
	v_cmp_gt_u32_e32 vcc, 8, v4
	s_and_saveexec_b64 s[36:37], vcc
	s_cbranch_execz .LBB195_58
; %bb.55:                               ;   in Loop: Header=BB195_53 Depth=1
	v_mov_b32_e32 v5, v2
	v_lshl_add_u64 v[4:5], v[84:85], 0, v[4:5]
	v_lshl_add_u64 v[4:5], v[4:5], 0, s[12:13]
	v_cmp_gt_i64_e32 vcc, s[8:9], v[4:5]
	v_mov_b32_e32 v89, 0
	s_and_saveexec_b64 s[38:39], vcc
	s_cbranch_execz .LBB195_57
; %bb.56:                               ;   in Loop: Header=BB195_53 Depth=1
	v_lshl_add_u64 v[4:5], v[4:5], 2, s[16:17]
	global_load_dword v89, v[4:5], off
.LBB195_57:                             ;   in Loop: Header=BB195_53 Depth=1
	s_or_b64 exec, exec, s[38:39]
.LBB195_58:                             ;   in Loop: Header=BB195_53 Depth=1
	s_or_b64 exec, exec, s[36:37]
	v_lshl_add_u64 v[4:5], v[84:85], 0, s[12:13]
	v_mov_b32_e32 v8, v2
	v_mov_b32_e32 v9, v2
	v_cmp_gt_i64_e32 vcc, s[8:9], v[4:5]
	v_mov_b32_e32 v3, v2
	v_mov_b32_e32 v4, v2
	;; [unrolled: 1-line block ×5, first 2 shown]
	v_mov_b64_e32 v[18:19], v[8:9]
	v_mov_b64_e32 v[16:17], v[6:7]
	;; [unrolled: 1-line block ×8, first 2 shown]
	s_and_saveexec_b64 s[36:37], vcc
	s_cbranch_execz .LBB195_60
; %bb.59:                               ;   in Loop: Header=BB195_53 Depth=1
	v_lshl_add_u64 v[4:5], v[52:53], 0, v[50:51]
	global_load_ushort v3, v[4:5], off
	v_lshl_add_u64 v[4:5], v[54:55], 0, v[50:51]
	global_load_ushort v12, v[4:5], off
	v_mov_b32_e32 v5, v2
	v_mov_b32_e32 v6, v2
	v_mov_b32_e32 v7, v2
	v_mov_b32_e32 v8, v2
	v_mov_b32_e32 v9, v2
	v_mov_b32_e32 v10, v2
	v_mov_b32_e32 v11, v2
	v_mov_b32_e32 v13, v2
	v_mov_b32_e32 v14, v2
	v_mov_b32_e32 v15, v2
	v_mov_b32_e32 v16, v2
	v_mov_b32_e32 v17, v2
	v_mov_b32_e32 v18, v2
	v_mov_b32_e32 v19, v2
	s_waitcnt vmcnt(1)
	v_lshlrev_b32_e32 v4, 16, v3
	s_waitcnt vmcnt(0)
	v_lshlrev_b32_e32 v12, 16, v12
.LBB195_60:                             ;   in Loop: Header=BB195_53 Depth=1
	s_or_b64 exec, exec, s[36:37]
	v_lshl_add_u64 v[90:91], v[84:85], 0, s[14:15]
	v_cmp_gt_i64_e32 vcc, s[8:9], v[90:91]
	s_and_saveexec_b64 s[36:37], vcc
	s_cbranch_execz .LBB195_62
; %bb.61:                               ;   in Loop: Header=BB195_53 Depth=1
	v_lshl_add_u64 v[90:91], v[80:81], 0, v[50:51]
	global_load_ushort v3, v[90:91], off
	v_lshl_add_u64 v[90:91], v[82:83], 0, v[50:51]
	global_load_ushort v13, v[90:91], off
	s_waitcnt vmcnt(1)
	v_lshlrev_b32_e32 v5, 16, v3
	s_waitcnt vmcnt(0)
	v_lshlrev_b32_e32 v13, 16, v13
.LBB195_62:                             ;   in Loop: Header=BB195_53 Depth=1
	s_or_b64 exec, exec, s[36:37]
	v_lshl_add_u64 v[90:91], v[84:85], 0, s[22:23]
	v_cmp_gt_i64_e32 vcc, s[8:9], v[90:91]
	s_and_saveexec_b64 s[36:37], vcc
	s_cbranch_execz .LBB195_64
; %bb.63:                               ;   in Loop: Header=BB195_53 Depth=1
	v_lshl_add_u64 v[90:91], v[76:77], 0, v[50:51]
	global_load_ushort v3, v[90:91], off
	v_lshl_add_u64 v[90:91], v[78:79], 0, v[50:51]
	global_load_ushort v14, v[90:91], off
	s_waitcnt vmcnt(1)
	v_lshlrev_b32_e32 v6, 16, v3
	s_waitcnt vmcnt(0)
	v_lshlrev_b32_e32 v14, 16, v14
.LBB195_64:                             ;   in Loop: Header=BB195_53 Depth=1
	;; [unrolled: 15-line block ×7, first 2 shown]
	s_or_b64 exec, exec, s[36:37]
	s_waitcnt vmcnt(0)
	ds_bpermute_b32 v90, v87, v89
	ds_bpermute_b32 v91, v87, v89 offset:4
	v_pk_mul_f32 v[6:7], v[14:15], v[6:7]
	ds_bpermute_b32 v14, v87, v89 offset:8
	ds_bpermute_b32 v15, v87, v89 offset:12
	v_pk_mul_f32 v[4:5], v[12:13], v[4:5]
	ds_bpermute_b32 v12, v87, v89 offset:24
	s_waitcnt lgkmcnt(3)
	v_pk_mul_f32 v[4:5], v[4:5], v[90:91]
	ds_bpermute_b32 v13, v87, v89 offset:28
	v_add_f32_e32 v3, v88, v4
	v_add_f32_e32 v3, v3, v5
	s_waitcnt lgkmcnt(2)
	v_pk_mul_f32 v[4:5], v[6:7], v[14:15]
	ds_bpermute_b32 v6, v87, v89 offset:16
	ds_bpermute_b32 v7, v87, v89 offset:20
	v_pk_mul_f32 v[8:9], v[16:17], v[8:9]
	v_add_f32_e32 v3, v3, v4
	v_add_f32_e32 v3, v3, v5
	v_pk_mul_f32 v[10:11], v[18:19], v[10:11]
	s_waitcnt lgkmcnt(0)
	v_pk_mul_f32 v[4:5], v[8:9], v[6:7]
	s_mov_b64 s[36:37], 0
	v_add_f32_e32 v3, v3, v4
	v_add_f32_e32 v3, v3, v5
	v_pk_mul_f32 v[4:5], v[10:11], v[12:13]
	s_nop 0
	v_add_f32_e32 v3, v3, v4
	v_add_f32_e32 v3, v3, v5
.LBB195_75:                             ;   in Loop: Header=BB195_53 Depth=1
	s_and_b64 vcc, exec, s[36:37]
	s_cbranch_vccz .LBB195_81
; %bb.76:                               ;   in Loop: Header=BB195_53 Depth=1
	s_load_dword s33, s[4:5], 0x0
	s_waitcnt lgkmcnt(0)
	s_cmp_lt_u32 s2, s33
	s_cselect_b32 s33, 12, 18
	s_add_u32 s36, s4, s33
	s_addc_u32 s37, s5, 0
	global_load_ushort v3, v2, s[36:37]
	s_waitcnt vmcnt(0)
	v_mad_u32_u24 v3, v86, v3, v1
	v_and_b32_e32 v4, 63, v3
	v_cmp_gt_u32_e32 vcc, 8, v4
	v_mov_b32_e32 v3, 0
	s_and_saveexec_b64 s[36:37], vcc
	s_cbranch_execz .LBB195_80
; %bb.77:                               ;   in Loop: Header=BB195_53 Depth=1
	v_mov_b32_e32 v5, v2
	v_lshl_add_u64 v[4:5], v[84:85], 0, v[4:5]
	v_lshl_add_u64 v[4:5], v[4:5], 0, s[12:13]
	v_cmp_gt_i64_e32 vcc, s[8:9], v[4:5]
	v_mov_b32_e32 v3, 0
	s_and_saveexec_b64 s[38:39], vcc
	s_cbranch_execz .LBB195_79
; %bb.78:                               ;   in Loop: Header=BB195_53 Depth=1
	v_lshl_add_u64 v[4:5], v[4:5], 2, s[16:17]
	global_load_dword v3, v[4:5], off
.LBB195_79:                             ;   in Loop: Header=BB195_53 Depth=1
	s_or_b64 exec, exec, s[38:39]
.LBB195_80:                             ;   in Loop: Header=BB195_53 Depth=1
	s_or_b64 exec, exec, s[36:37]
	v_lshl_add_u64 v[8:9], v[22:23], 0, v[50:51]
	v_lshl_add_u64 v[16:17], v[26:27], 0, v[50:51]
	;; [unrolled: 1-line block ×16, first 2 shown]
	global_load_ushort v89, v[8:9], off
	global_load_ushort v104, v[4:5], off
	;; [unrolled: 1-line block ×4, first 2 shown]
	s_nop 0
	global_load_ushort v16, v[16:17], off
	s_nop 0
	global_load_ushort v107, v[12:13], off
	;; [unrolled: 2-line block ×9, first 2 shown]
	global_load_ushort v95, v[96:97], off
	s_nop 0
	global_load_ushort v96, v[102:103], off
	global_load_ushort v97, v[98:99], off
	s_waitcnt vmcnt(16)
	ds_bpermute_b32 v4, v87, v3
	ds_bpermute_b32 v5, v87, v3 offset:4
	ds_bpermute_b32 v6, v87, v3 offset:8
	;; [unrolled: 1-line block ×7, first 2 shown]
	s_waitcnt vmcnt(15)
	v_lshlrev_b32_e32 v13, 16, v89
	s_waitcnt vmcnt(14)
	v_lshlrev_b32_e32 v12, 16, v104
	;; [unrolled: 2-line block ×4, first 2 shown]
	v_pk_mul_f32 v[12:13], v[12:13], v[14:15]
	s_waitcnt vmcnt(11)
	v_lshlrev_b32_e32 v17, 16, v16
	s_waitcnt vmcnt(10)
	v_lshlrev_b32_e32 v16, 16, v107
	;; [unrolled: 2-line block ×4, first 2 shown]
	s_waitcnt lgkmcnt(6)
	v_pk_mul_f32 v[4:5], v[12:13], v[4:5]
	v_pk_mul_f32 v[14:15], v[16:17], v[18:19]
	v_add_f32_e32 v3, v88, v4
	s_waitcnt vmcnt(7)
	v_lshlrev_b32_e32 v85, 16, v92
	s_waitcnt vmcnt(6)
	v_lshlrev_b32_e32 v84, 16, v84
	;; [unrolled: 2-line block ×4, first 2 shown]
	s_waitcnt lgkmcnt(4)
	v_pk_mul_f32 v[6:7], v[14:15], v[6:7]
	v_add_f32_e32 v3, v3, v5
	v_pk_mul_f32 v[16:17], v[84:85], v[90:91]
	v_add_f32_e32 v3, v3, v6
	s_waitcnt vmcnt(3)
	v_lshlrev_b32_e32 v93, 16, v94
	s_waitcnt vmcnt(2)
	v_lshlrev_b32_e32 v92, 16, v95
	;; [unrolled: 2-line block ×4, first 2 shown]
	s_waitcnt lgkmcnt(2)
	v_pk_mul_f32 v[8:9], v[16:17], v[8:9]
	v_add_f32_e32 v3, v3, v7
	v_pk_mul_f32 v[18:19], v[92:93], v[94:95]
	v_add_f32_e32 v3, v3, v8
	v_add_f32_e32 v3, v3, v9
	s_waitcnt lgkmcnt(0)
	v_pk_mul_f32 v[4:5], v[18:19], v[10:11]
	s_nop 0
	v_add_f32_e32 v3, v3, v4
	v_add_f32_e32 v3, v3, v5
.LBB195_81:                             ;   in Loop: Header=BB195_53 Depth=1
	s_add_u32 s18, s18, s3
	s_addc_u32 s19, s19, 0
	v_mov_b64_e32 v[4:5], s[8:9]
	s_add_u32 s20, s20, s3
	v_cmp_ge_i64_e32 vcc, s[18:19], v[4:5]
	v_lshl_add_u64 v[52:53], v[52:53], 0, s[6:7]
	v_lshl_add_u64 v[54:55], v[54:55], 0, s[6:7]
	s_addc_u32 s21, s21, 0
	v_lshl_add_u64 v[22:23], v[22:23], 0, s[6:7]
	v_lshl_add_u64 v[24:25], v[24:25], 0, s[6:7]
	;; [unrolled: 1-line block ×28, first 2 shown]
	s_cbranch_vccnz .LBB195_83
; %bb.82:                               ;   in Loop: Header=BB195_53 Depth=1
	v_mov_b32_e32 v88, v3
	s_branch .LBB195_53
.LBB195_83:
	v_and_b32_e32 v1, 0x3ff, v0
	v_bfe_u32 v2, v0, 10, 10
	s_movk_i32 s3, 0x41
	v_mad_u32_u24 v4, v2, s3, v1
	v_bfe_u32 v0, v0, 6, 4
	v_lshl_add_u32 v4, v4, 2, 0
	v_add_u32_e32 v0, v0, v2
	ds_write_b32 v4, v3
	v_mov_b32_e32 v3, 0
	v_cmp_gt_u32_e32 vcc, 64, v0
	ds_write_b32 v4, v3 offset:4160
	s_waitcnt lgkmcnt(0)
	s_barrier
	s_and_saveexec_b64 s[4:5], vcc
	s_cbranch_execz .LBB195_103
; %bb.84:
	s_load_dwordx2 s[4:5], s[0:1], 0x30
	v_and_b32_e32 v2, 63, v1
	v_cmp_gt_u32_e64 s[0:1], 16, v2
	v_mul_u32_u24_e32 v4, 0x41, v2
                                        ; implicit-def: $vgpr2
	s_and_saveexec_b64 s[6:7], s[0:1]
; %bb.85:
	v_lshlrev_b32_e32 v2, 2, v0
	v_lshlrev_b32_e32 v3, 2, v4
	v_add3_u32 v2, 0, v2, v3
	ds_read_b32 v2, v2
; %bb.86:
	s_or_b64 exec, exec, s[6:7]
	v_mbcnt_lo_u32_b32 v3, -1, 0
	v_mbcnt_hi_u32_b32 v3, -1, v3
	v_and_b32_e32 v5, 64, v3
	v_add_u32_e32 v8, 64, v5
	v_xor_b32_e32 v5, 8, v3
	v_cmp_lt_i32_e32 vcc, v5, v8
	v_xor_b32_e32 v7, 4, v3
	v_xor_b32_e32 v9, 2, v3
	v_cndmask_b32_e32 v5, v3, v5, vcc
	v_lshlrev_b32_e32 v5, 2, v5
	s_waitcnt lgkmcnt(0)
	ds_bpermute_b32 v6, v5, v2
	v_cmp_lt_i32_e32 vcc, v7, v8
	v_xor_b32_e32 v10, 1, v3
	s_mov_b32 s3, 0
	s_lshl_b64 s[6:7], s[2:3], 6
	s_waitcnt lgkmcnt(0)
	v_add_f32_e32 v2, v2, v6
	v_cndmask_b32_e32 v6, v3, v7, vcc
	v_lshlrev_b32_e32 v6, 2, v6
	ds_bpermute_b32 v7, v6, v2
	v_cmp_lt_i32_e32 vcc, v9, v8
	v_cmp_ne_u32_e64 s[2:3], 0, v1
	s_cmp_eq_u64 s[4:5], 0
	s_cselect_b64 s[8:9], -1, 0
	s_waitcnt lgkmcnt(0)
	v_add_f32_e32 v2, v2, v7
	v_cndmask_b32_e32 v7, v3, v9, vcc
	v_lshlrev_b32_e32 v7, 2, v7
	ds_bpermute_b32 v9, v7, v2
	v_cmp_lt_i32_e32 vcc, v10, v8
	s_waitcnt lgkmcnt(0)
	v_add_f32_e32 v2, v2, v9
	v_cndmask_b32_e32 v3, v3, v10, vcc
	v_lshlrev_b32_e32 v8, 2, v3
	ds_bpermute_b32 v3, v8, v2
	s_waitcnt lgkmcnt(0)
	v_add_f32_e32 v9, v2, v3
	v_or_b32_e32 v2, s6, v0
	v_mov_b32_e32 v3, s7
	v_cmp_le_i64_e32 vcc, s[10:11], v[2:3]
	s_or_b64 s[12:13], s[2:3], vcc
	s_nor_b64 s[14:15], s[8:9], s[12:13]
	s_and_saveexec_b64 s[12:13], s[14:15]
	s_cbranch_execz .LBB195_88
; %bb.87:
	v_bfe_u32 v1, v9, 16, 1
	s_movk_i32 s14, 0x7fff
	v_add3_u32 v1, v9, v1, s14
	v_cmp_o_f32_e32 vcc, v9, v9
	v_mov_b32_e32 v10, 0x7fc0
	v_lshl_add_u64 v[2:3], v[2:3], 1, s[4:5]
	v_cndmask_b32_sdwa v1, v10, v1, vcc dst_sel:DWORD dst_unused:UNUSED_PAD src0_sel:DWORD src1_sel:WORD_1
	global_store_short v[2:3], v1, off
.LBB195_88:
	s_or_b64 exec, exec, s[12:13]
	v_cmp_gt_u32_e32 vcc, 48, v0
	s_and_b64 exec, exec, vcc
	s_cbranch_execz .LBB195_103
; %bb.89:
	v_mov_b32_e32 v1, 0
	s_and_saveexec_b64 s[12:13], s[0:1]
; %bb.90:
	v_lshlrev_b32_e32 v2, 2, v0
	v_lshlrev_b32_e32 v3, 2, v4
	v_add3_u32 v2, 0, v2, v3
	ds_read_b32 v9, v2 offset:64
; %bb.91:
	s_or_b64 exec, exec, s[12:13]
	s_waitcnt lgkmcnt(0)
	ds_bpermute_b32 v2, v5, v9
	s_waitcnt lgkmcnt(0)
	v_add_f32_e32 v2, v9, v2
	ds_bpermute_b32 v3, v6, v2
	s_waitcnt lgkmcnt(0)
	v_add_f32_e32 v3, v2, v3
	ds_bpermute_b32 v9, v7, v3
	v_add_u32_e32 v2, 16, v0
	s_waitcnt lgkmcnt(0)
	v_add_f32_e32 v9, v3, v9
	ds_bpermute_b32 v10, v8, v9
	v_mov_b32_e32 v3, v1
	v_lshl_add_u64 v[2:3], s[6:7], 0, v[2:3]
	v_cmp_le_i64_e32 vcc, s[10:11], v[2:3]
	s_or_b64 s[12:13], s[2:3], vcc
	s_waitcnt lgkmcnt(0)
	v_add_f32_e32 v2, v9, v10
	s_nor_b64 s[14:15], s[8:9], s[12:13]
	s_and_saveexec_b64 s[12:13], s[14:15]
	s_cbranch_execz .LBB195_93
; %bb.92:
	v_bfe_u32 v3, v2, 16, 1
	s_movk_i32 s14, 0x7fff
	v_add3_u32 v3, v2, v3, s14
	v_cmp_o_f32_e32 vcc, v2, v2
	v_mov_b32_e32 v9, 0x7fc0
	v_lshl_add_u64 v[10:11], s[6:7], 0, v[0:1]
	v_cndmask_b32_sdwa v3, v9, v3, vcc dst_sel:DWORD dst_unused:UNUSED_PAD src0_sel:DWORD src1_sel:WORD_1
	v_lshl_add_u64 v[10:11], v[10:11], 1, s[4:5]
	global_store_short v[10:11], v3, off offset:32
.LBB195_93:
	s_or_b64 exec, exec, s[12:13]
	v_cmp_gt_u32_e32 vcc, 32, v0
	s_and_b64 exec, exec, vcc
	s_cbranch_execz .LBB195_103
; %bb.94:
	s_and_saveexec_b64 s[12:13], s[0:1]
; %bb.95:
	v_lshlrev_b32_e32 v2, 2, v0
	v_lshlrev_b32_e32 v3, 2, v4
	v_add3_u32 v2, 0, v2, v3
	ds_read_b32 v2, v2 offset:128
; %bb.96:
	s_or_b64 exec, exec, s[12:13]
	s_waitcnt lgkmcnt(0)
	ds_bpermute_b32 v3, v5, v2
	v_add_u32_e32 v9, 32, v0
	s_waitcnt lgkmcnt(0)
	v_add_f32_e32 v2, v2, v3
	ds_bpermute_b32 v3, v6, v2
	s_waitcnt lgkmcnt(0)
	v_add_f32_e32 v2, v2, v3
	ds_bpermute_b32 v3, v7, v2
	;; [unrolled: 3-line block ×3, first 2 shown]
	v_mov_b32_e32 v3, s7
	v_or_b32_e32 v2, s6, v9
	v_cmp_le_i64_e32 vcc, s[10:11], v[2:3]
	s_or_b64 s[12:13], s[2:3], vcc
	s_waitcnt lgkmcnt(0)
	v_add_f32_e32 v2, v10, v11
	s_nor_b64 s[14:15], s[8:9], s[12:13]
	s_and_saveexec_b64 s[12:13], s[14:15]
	s_cbranch_execz .LBB195_98
; %bb.97:
	v_bfe_u32 v3, v2, 16, 1
	s_movk_i32 s14, 0x7fff
	v_add3_u32 v3, v2, v3, s14
	v_cmp_o_f32_e32 vcc, v2, v2
	v_mov_b32_e32 v9, 0x7fc0
	v_lshl_add_u64 v[10:11], s[6:7], 0, v[0:1]
	v_cndmask_b32_sdwa v3, v9, v3, vcc dst_sel:DWORD dst_unused:UNUSED_PAD src0_sel:DWORD src1_sel:WORD_1
	v_lshl_add_u64 v[10:11], v[10:11], 1, s[4:5]
	global_store_short v[10:11], v3, off offset:64
.LBB195_98:
	s_or_b64 exec, exec, s[12:13]
	v_cmp_gt_u32_e32 vcc, 16, v0
	s_and_b64 exec, exec, vcc
	s_cbranch_execz .LBB195_103
; %bb.99:
	s_and_saveexec_b64 s[12:13], s[0:1]
; %bb.100:
	v_lshlrev_b32_e32 v2, 2, v0
	v_lshlrev_b32_e32 v3, 2, v4
	v_add3_u32 v2, 0, v2, v3
	ds_read_b32 v2, v2 offset:192
; %bb.101:
	s_or_b64 exec, exec, s[12:13]
	s_waitcnt lgkmcnt(0)
	ds_bpermute_b32 v3, v5, v2
	v_add_u32_e32 v4, 48, v0
	v_or_b32_e32 v4, s6, v4
	v_mov_b32_e32 v5, s7
	v_cmp_le_i64_e32 vcc, s[10:11], v[4:5]
	s_waitcnt lgkmcnt(0)
	v_add_f32_e32 v2, v2, v3
	ds_bpermute_b32 v3, v6, v2
	s_or_b64 s[0:1], s[2:3], vcc
	s_nor_b64 s[0:1], s[8:9], s[0:1]
	s_waitcnt lgkmcnt(0)
	v_add_f32_e32 v2, v2, v3
	ds_bpermute_b32 v3, v7, v2
	s_waitcnt lgkmcnt(0)
	v_add_f32_e32 v2, v2, v3
	ds_bpermute_b32 v3, v8, v2
	s_and_saveexec_b64 s[2:3], s[0:1]
	s_xor_b64 s[2:3], exec, s[2:3]
	s_cbranch_execz .LBB195_103
; %bb.102:
	s_waitcnt lgkmcnt(0)
	v_add_f32_e32 v2, v2, v3
	v_bfe_u32 v3, v2, 16, 1
	s_movk_i32 s0, 0x7fff
	v_add3_u32 v3, v2, v3, s0
	v_cmp_o_f32_e32 vcc, v2, v2
	v_mov_b32_e32 v2, 0x7fc0
	v_lshl_add_u64 v[0:1], s[6:7], 0, v[0:1]
	v_cndmask_b32_sdwa v2, v2, v3, vcc dst_sel:DWORD dst_unused:UNUSED_PAD src0_sel:DWORD src1_sel:WORD_1
	v_lshl_add_u64 v[0:1], v[0:1], 1, s[4:5]
	global_store_short v[0:1], v2, off offset:96
.LBB195_103:
	s_endpgm
	.section	.rodata,"a",@progbits
	.p2align	6, 0x0
	.amdhsa_kernel _ZN2at6native12_GLOBAL__N_135GammaBetaBackwardCUDAKernelTemplateIN3c108BFloat16EfLj64ELj16ELj128ELb0ELb0ELb1EEEvllPKT_S7_PKT0_SA_PS5_SB_
		.amdhsa_group_segment_fixed_size 0
		.amdhsa_private_segment_fixed_size 0
		.amdhsa_kernarg_size 320
		.amdhsa_user_sgpr_count 2
		.amdhsa_user_sgpr_dispatch_ptr 0
		.amdhsa_user_sgpr_queue_ptr 0
		.amdhsa_user_sgpr_kernarg_segment_ptr 1
		.amdhsa_user_sgpr_dispatch_id 0
		.amdhsa_user_sgpr_kernarg_preload_length 0
		.amdhsa_user_sgpr_kernarg_preload_offset 0
		.amdhsa_user_sgpr_private_segment_size 0
		.amdhsa_uses_dynamic_stack 0
		.amdhsa_enable_private_segment 0
		.amdhsa_system_sgpr_workgroup_id_x 1
		.amdhsa_system_sgpr_workgroup_id_y 1
		.amdhsa_system_sgpr_workgroup_id_z 0
		.amdhsa_system_sgpr_workgroup_info 0
		.amdhsa_system_vgpr_workitem_id 1
		.amdhsa_next_free_vgpr 109
		.amdhsa_next_free_sgpr 50
		.amdhsa_accum_offset 112
		.amdhsa_reserve_vcc 1
		.amdhsa_float_round_mode_32 0
		.amdhsa_float_round_mode_16_64 0
		.amdhsa_float_denorm_mode_32 3
		.amdhsa_float_denorm_mode_16_64 3
		.amdhsa_dx10_clamp 1
		.amdhsa_ieee_mode 1
		.amdhsa_fp16_overflow 0
		.amdhsa_tg_split 0
		.amdhsa_exception_fp_ieee_invalid_op 0
		.amdhsa_exception_fp_denorm_src 0
		.amdhsa_exception_fp_ieee_div_zero 0
		.amdhsa_exception_fp_ieee_overflow 0
		.amdhsa_exception_fp_ieee_underflow 0
		.amdhsa_exception_fp_ieee_inexact 0
		.amdhsa_exception_int_div_zero 0
	.end_amdhsa_kernel
	.section	.text._ZN2at6native12_GLOBAL__N_135GammaBetaBackwardCUDAKernelTemplateIN3c108BFloat16EfLj64ELj16ELj128ELb0ELb0ELb1EEEvllPKT_S7_PKT0_SA_PS5_SB_,"axG",@progbits,_ZN2at6native12_GLOBAL__N_135GammaBetaBackwardCUDAKernelTemplateIN3c108BFloat16EfLj64ELj16ELj128ELb0ELb0ELb1EEEvllPKT_S7_PKT0_SA_PS5_SB_,comdat
.Lfunc_end195:
	.size	_ZN2at6native12_GLOBAL__N_135GammaBetaBackwardCUDAKernelTemplateIN3c108BFloat16EfLj64ELj16ELj128ELb0ELb0ELb1EEEvllPKT_S7_PKT0_SA_PS5_SB_, .Lfunc_end195-_ZN2at6native12_GLOBAL__N_135GammaBetaBackwardCUDAKernelTemplateIN3c108BFloat16EfLj64ELj16ELj128ELb0ELb0ELb1EEEvllPKT_S7_PKT0_SA_PS5_SB_
                                        ; -- End function
	.set _ZN2at6native12_GLOBAL__N_135GammaBetaBackwardCUDAKernelTemplateIN3c108BFloat16EfLj64ELj16ELj128ELb0ELb0ELb1EEEvllPKT_S7_PKT0_SA_PS5_SB_.num_vgpr, 109
	.set _ZN2at6native12_GLOBAL__N_135GammaBetaBackwardCUDAKernelTemplateIN3c108BFloat16EfLj64ELj16ELj128ELb0ELb0ELb1EEEvllPKT_S7_PKT0_SA_PS5_SB_.num_agpr, 0
	.set _ZN2at6native12_GLOBAL__N_135GammaBetaBackwardCUDAKernelTemplateIN3c108BFloat16EfLj64ELj16ELj128ELb0ELb0ELb1EEEvllPKT_S7_PKT0_SA_PS5_SB_.numbered_sgpr, 50
	.set _ZN2at6native12_GLOBAL__N_135GammaBetaBackwardCUDAKernelTemplateIN3c108BFloat16EfLj64ELj16ELj128ELb0ELb0ELb1EEEvllPKT_S7_PKT0_SA_PS5_SB_.num_named_barrier, 0
	.set _ZN2at6native12_GLOBAL__N_135GammaBetaBackwardCUDAKernelTemplateIN3c108BFloat16EfLj64ELj16ELj128ELb0ELb0ELb1EEEvllPKT_S7_PKT0_SA_PS5_SB_.private_seg_size, 0
	.set _ZN2at6native12_GLOBAL__N_135GammaBetaBackwardCUDAKernelTemplateIN3c108BFloat16EfLj64ELj16ELj128ELb0ELb0ELb1EEEvllPKT_S7_PKT0_SA_PS5_SB_.uses_vcc, 1
	.set _ZN2at6native12_GLOBAL__N_135GammaBetaBackwardCUDAKernelTemplateIN3c108BFloat16EfLj64ELj16ELj128ELb0ELb0ELb1EEEvllPKT_S7_PKT0_SA_PS5_SB_.uses_flat_scratch, 0
	.set _ZN2at6native12_GLOBAL__N_135GammaBetaBackwardCUDAKernelTemplateIN3c108BFloat16EfLj64ELj16ELj128ELb0ELb0ELb1EEEvllPKT_S7_PKT0_SA_PS5_SB_.has_dyn_sized_stack, 0
	.set _ZN2at6native12_GLOBAL__N_135GammaBetaBackwardCUDAKernelTemplateIN3c108BFloat16EfLj64ELj16ELj128ELb0ELb0ELb1EEEvllPKT_S7_PKT0_SA_PS5_SB_.has_recursion, 0
	.set _ZN2at6native12_GLOBAL__N_135GammaBetaBackwardCUDAKernelTemplateIN3c108BFloat16EfLj64ELj16ELj128ELb0ELb0ELb1EEEvllPKT_S7_PKT0_SA_PS5_SB_.has_indirect_call, 0
	.section	.AMDGPU.csdata,"",@progbits
; Kernel info:
; codeLenInByte = 7256
; TotalNumSgprs: 56
; NumVgprs: 109
; NumAgprs: 0
; TotalNumVgprs: 109
; ScratchSize: 0
; MemoryBound: 0
; FloatMode: 240
; IeeeMode: 1
; LDSByteSize: 0 bytes/workgroup (compile time only)
; SGPRBlocks: 6
; VGPRBlocks: 13
; NumSGPRsForWavesPerEU: 56
; NumVGPRsForWavesPerEU: 109
; AccumOffset: 112
; Occupancy: 4
; WaveLimiterHint : 0
; COMPUTE_PGM_RSRC2:SCRATCH_EN: 0
; COMPUTE_PGM_RSRC2:USER_SGPR: 2
; COMPUTE_PGM_RSRC2:TRAP_HANDLER: 0
; COMPUTE_PGM_RSRC2:TGID_X_EN: 1
; COMPUTE_PGM_RSRC2:TGID_Y_EN: 1
; COMPUTE_PGM_RSRC2:TGID_Z_EN: 0
; COMPUTE_PGM_RSRC2:TIDIG_COMP_CNT: 1
; COMPUTE_PGM_RSRC3_GFX90A:ACCUM_OFFSET: 27
; COMPUTE_PGM_RSRC3_GFX90A:TG_SPLIT: 0
	.section	.text._ZN2at6native12_GLOBAL__N_135GammaBetaBackwardCUDAKernelTemplateIN3c108BFloat16EfLj64ELj16ELj256ELb0ELb1ELb1EEEvllPKT_S7_PKT0_SA_PS5_SB_,"axG",@progbits,_ZN2at6native12_GLOBAL__N_135GammaBetaBackwardCUDAKernelTemplateIN3c108BFloat16EfLj64ELj16ELj256ELb0ELb1ELb1EEEvllPKT_S7_PKT0_SA_PS5_SB_,comdat
	.globl	_ZN2at6native12_GLOBAL__N_135GammaBetaBackwardCUDAKernelTemplateIN3c108BFloat16EfLj64ELj16ELj256ELb0ELb1ELb1EEEvllPKT_S7_PKT0_SA_PS5_SB_ ; -- Begin function _ZN2at6native12_GLOBAL__N_135GammaBetaBackwardCUDAKernelTemplateIN3c108BFloat16EfLj64ELj16ELj256ELb0ELb1ELb1EEEvllPKT_S7_PKT0_SA_PS5_SB_
	.p2align	8
	.type	_ZN2at6native12_GLOBAL__N_135GammaBetaBackwardCUDAKernelTemplateIN3c108BFloat16EfLj64ELj16ELj256ELb0ELb1ELb1EEEvllPKT_S7_PKT0_SA_PS5_SB_,@function
_ZN2at6native12_GLOBAL__N_135GammaBetaBackwardCUDAKernelTemplateIN3c108BFloat16EfLj64ELj16ELj256ELb0ELb1ELb1EEEvllPKT_S7_PKT0_SA_PS5_SB_: ; @_ZN2at6native12_GLOBAL__N_135GammaBetaBackwardCUDAKernelTemplateIN3c108BFloat16EfLj64ELj16ELj256ELb0ELb1ELb1EEEvllPKT_S7_PKT0_SA_PS5_SB_
; %bb.0:
	s_load_dwordx4 s[4:7], s[0:1], 0x0
	s_lshl_b32 s14, s3, 8
	s_mov_b32 s15, 0
	v_mov_b64_e32 v[2:3], s[14:15]
	v_bfe_u32 v12, v0, 10, 10
	s_waitcnt lgkmcnt(0)
	v_cmp_gt_i64_e32 vcc, s[4:5], v[2:3]
	s_cbranch_vccnz .LBB196_2
; %bb.1:
	s_mov_b64 s[8:9], 0
	v_bfe_u32 v2, v0, 10, 10
	s_branch .LBB196_3
.LBB196_2:
	s_mov_b64 s[8:9], -1
                                        ; implicit-def: $vgpr2
.LBB196_3:
	s_load_dwordx2 s[12:13], s[0:1], 0x30
	v_and_b32_e32 v10, 0x3ff, v0
	v_mov_b32_e32 v1, 0
	s_andn2_b64 vcc, exec, s[8:9]
	v_mbcnt_lo_u32_b32 v11, -1, 0
	s_cbranch_vccnz .LBB196_11
; %bb.4:
	s_load_dword s3, s[0:1], 0x4c
	s_load_dword s16, s[0:1], 0x44
	s_load_dwordx2 s[18:19], s[0:1], 0x28
	s_load_dwordx4 s[8:11], s[0:1], 0x10
	v_lshlrev_b32_e32 v0, 4, v12
	s_waitcnt lgkmcnt(0)
	s_and_b32 s0, s3, 0xffff
	v_mad_u32_u24 v1, v12, s0, v10
	v_and_b32_e32 v2, 63, v1
	v_mov_b32_e32 v1, 0
	v_mov_b32_e32 v3, v1
	v_lshl_add_u64 v[8:9], v[0:1], 0, s[14:15]
	v_cmp_gt_u32_e64 s[0:1], 16, v2
	v_mbcnt_hi_u32_b32 v4, -1, v11
	s_lshl_b32 s16, s16, 8
	v_lshl_add_u64 v[2:3], v[8:9], 0, v[2:3]
	v_mul_lo_u32 v0, s7, v8
	v_mul_lo_u32 v29, s6, v9
	v_mad_u64_u32 v[8:9], s[20:21], s6, v8, 0
	v_lshl_add_u32 v6, s2, 6, v10
	v_mov_b32_e32 v7, v1
	v_lshlrev_b32_e32 v4, 2, v4
	s_mul_i32 s3, s7, s16
	s_mul_hi_u32 s20, s6, s16
	s_mov_b32 s17, 0
	v_and_b32_e32 v13, 0x100, v4
	v_add3_u32 v9, v9, v29, v0
	v_lshlrev_b64 v[6:7], 1, v[6:7]
	s_add_i32 s21, s20, s3
	s_mul_i32 s20, s6, s16
	v_or_b32_e32 v14, 4, v13
	v_or_b32_e32 v15, 8, v13
	;; [unrolled: 1-line block ×15, first 2 shown]
	v_lshl_add_u64 v[4:5], v[2:3], 2, s[18:19]
	s_lshl_b64 s[18:19], s[16:17], 2
	v_lshl_add_u64 v[6:7], v[8:9], 1, v[6:7]
	s_lshl_b64 s[20:21], s[20:21], 1
	s_lshl_b64 s[6:7], s[6:7], 1
	v_mov_b64_e32 v[8:9], s[4:5]
	s_branch .LBB196_7
.LBB196_5:                              ;   in Loop: Header=BB196_7 Depth=1
	s_or_b64 exec, exec, s[24:25]
.LBB196_6:                              ;   in Loop: Header=BB196_7 Depth=1
	s_or_b64 exec, exec, s[22:23]
	v_lshl_add_u64 v[30:31], s[8:9], 0, v[6:7]
	v_lshl_add_u64 v[32:33], s[10:11], 0, v[6:7]
	global_load_ushort v29, v[30:31], off
	global_load_ushort v38, v[32:33], off
	v_lshl_add_u64 v[30:31], v[30:31], 0, s[6:7]
	v_lshl_add_u64 v[32:33], v[32:33], 0, s[6:7]
	global_load_ushort v39, v[30:31], off
	global_load_ushort v40, v[32:33], off
	;; [unrolled: 4-line block ×4, first 2 shown]
	v_lshl_add_u64 v[30:31], v[30:31], 0, s[6:7]
	v_lshl_add_u64 v[32:33], v[32:33], 0, s[6:7]
	;; [unrolled: 1-line block ×3, first 2 shown]
	global_load_ushort v45, v[30:31], off
	v_lshl_add_u64 v[30:31], v[32:33], 0, s[6:7]
	global_load_ushort v46, v[34:35], off
	global_load_ushort v47, v[32:33], off
	global_load_ushort v48, v[30:31], off
	v_lshl_add_u64 v[32:33], v[34:35], 0, s[6:7]
	v_lshl_add_u64 v[30:31], v[30:31], 0, s[6:7]
	v_lshl_add_u64 v[34:35], v[32:33], 0, s[6:7]
	v_lshl_add_u64 v[36:37], v[30:31], 0, s[6:7]
	global_load_ushort v49, v[32:33], off
	global_load_ushort v50, v[34:35], off
	global_load_ushort v51, v[30:31], off
	global_load_ushort v52, v[36:37], off
	v_lshl_add_u64 v[30:31], v[34:35], 0, s[6:7]
	v_lshl_add_u64 v[32:33], v[36:37], 0, s[6:7]
	v_lshl_add_u64 v[34:35], v[30:31], 0, s[6:7]
	v_lshl_add_u64 v[36:37], v[32:33], 0, s[6:7]
	global_load_ushort v53, v[30:31], off
	;; [unrolled: 8-line block ×4, first 2 shown]
	global_load_ushort v62, v[34:35], off
	global_load_ushort v63, v[32:33], off
                                        ; kill: killed $vgpr32_vgpr33
                                        ; kill: killed $vgpr30_vgpr31
	global_load_ushort v64, v[36:37], off
	v_lshl_add_u64 v[30:31], v[34:35], 0, s[6:7]
	v_lshl_add_u64 v[32:33], v[36:37], 0, s[6:7]
	global_load_ushort v36, v[30:31], off
	v_lshl_add_u64 v[30:31], v[30:31], 0, s[6:7]
	global_load_ushort v37, v[30:31], off
	global_load_ushort v65, v[32:33], off
	v_lshl_add_u64 v[30:31], v[32:33], 0, s[6:7]
	global_load_ushort v66, v[30:31], off
	s_waitcnt vmcnt(32)
	ds_bpermute_b32 v30, v13, v0
	ds_bpermute_b32 v33, v16, v0
	s_add_u32 s14, s14, s16
	s_addc_u32 s15, s15, 0
	v_cmp_lt_i64_e32 vcc, s[14:15], v[8:9]
	v_lshl_add_u64 v[4:5], v[4:5], 0, s[18:19]
	v_lshl_add_u64 v[2:3], v[2:3], 0, s[16:17]
	;; [unrolled: 1-line block ×3, first 2 shown]
	s_and_b64 vcc, exec, vcc
	s_waitcnt vmcnt(31)
	v_lshlrev_b32_e32 v29, 16, v29
	s_waitcnt vmcnt(30)
	v_lshlrev_b32_e32 v31, 16, v38
	v_mul_f32_e32 v29, v29, v31
	ds_bpermute_b32 v31, v14, v0
	s_waitcnt lgkmcnt(2)
	v_fmac_f32_e32 v1, v29, v30
	ds_bpermute_b32 v29, v15, v0
	s_waitcnt vmcnt(29)
	v_lshlrev_b32_e32 v30, 16, v39
	s_waitcnt vmcnt(28)
	v_lshlrev_b32_e32 v32, 16, v40
	v_mul_f32_e32 v30, v30, v32
	s_waitcnt lgkmcnt(1)
	v_fmac_f32_e32 v1, v30, v31
	ds_bpermute_b32 v30, v17, v0
	ds_bpermute_b32 v31, v18, v0
	s_waitcnt vmcnt(27)
	v_lshlrev_b32_e32 v32, 16, v41
	s_waitcnt vmcnt(26)
	v_lshlrev_b32_e32 v34, 16, v42
	;; [unrolled: 2-line block ×4, first 2 shown]
	v_mul_f32_e32 v32, v32, v34
	s_waitcnt lgkmcnt(2)
	v_fmac_f32_e32 v1, v32, v29
	v_mul_f32_e32 v29, v35, v38
	s_waitcnt vmcnt(23)
	v_lshlrev_b32_e32 v32, 16, v45
	v_fmac_f32_e32 v1, v29, v33
	s_waitcnt vmcnt(22)
	v_lshlrev_b32_e32 v33, 16, v46
	s_waitcnt vmcnt(21)
	v_lshlrev_b32_e32 v34, 16, v47
	;; [unrolled: 2-line block ×3, first 2 shown]
	v_pk_mul_f32 v[32:33], v[32:33], v[34:35]
	s_waitcnt vmcnt(17)
	v_lshlrev_b32_e32 v34, 16, v51
	s_waitcnt lgkmcnt(0)
	v_pk_mul_f32 v[30:31], v[32:33], v[30:31]
	v_lshlrev_b32_e32 v32, 16, v49
	v_add_f32_e32 v1, v1, v30
	v_add_f32_e32 v1, v1, v31
	ds_bpermute_b32 v30, v19, v0
	ds_bpermute_b32 v31, v20, v0
	v_lshlrev_b32_e32 v33, 16, v50
	s_waitcnt vmcnt(16)
	v_lshlrev_b32_e32 v35, 16, v52
	v_pk_mul_f32 v[32:33], v[32:33], v[34:35]
	s_waitcnt vmcnt(13)
	v_lshlrev_b32_e32 v34, 16, v55
	s_waitcnt lgkmcnt(0)
	v_pk_mul_f32 v[30:31], v[32:33], v[30:31]
	v_lshlrev_b32_e32 v32, 16, v53
	v_add_f32_e32 v1, v1, v30
	v_add_f32_e32 v1, v1, v31
	ds_bpermute_b32 v30, v21, v0
	ds_bpermute_b32 v31, v22, v0
	v_lshlrev_b32_e32 v33, 16, v54
	s_waitcnt vmcnt(12)
	v_lshlrev_b32_e32 v35, 16, v56
	;; [unrolled: 13-line block ×4, first 2 shown]
	v_pk_mul_f32 v[32:33], v[32:33], v[34:35]
	s_waitcnt lgkmcnt(0)
	v_pk_mul_f32 v[30:31], v[32:33], v[30:31]
	s_waitcnt vmcnt(1)
	v_lshlrev_b32_e32 v32, 16, v65
	v_add_f32_e32 v1, v1, v30
	v_add_f32_e32 v29, v1, v31
	ds_bpermute_b32 v30, v27, v0
	ds_bpermute_b32 v31, v28, v0
	v_lshlrev_b32_e32 v0, 16, v36
	v_lshlrev_b32_e32 v1, 16, v37
	s_waitcnt vmcnt(0)
	v_lshlrev_b32_e32 v33, 16, v66
	v_pk_mul_f32 v[0:1], v[0:1], v[32:33]
	s_waitcnt lgkmcnt(0)
	v_pk_mul_f32 v[0:1], v[0:1], v[30:31]
	s_nop 0
	v_add_f32_e32 v0, v29, v0
	v_add_f32_e32 v1, v0, v1
	s_cbranch_vccz .LBB196_10
.LBB196_7:                              ; =>This Inner Loop Header: Depth=1
	v_mov_b32_e32 v0, 0
	s_and_saveexec_b64 s[22:23], s[0:1]
	s_cbranch_execz .LBB196_6
; %bb.8:                                ;   in Loop: Header=BB196_7 Depth=1
	v_cmp_gt_i64_e32 vcc, s[4:5], v[2:3]
	v_mov_b32_e32 v0, 0
	s_and_saveexec_b64 s[24:25], vcc
	s_cbranch_execz .LBB196_5
; %bb.9:                                ;   in Loop: Header=BB196_7 Depth=1
	global_load_dword v0, v[4:5], off
	s_branch .LBB196_5
.LBB196_10:
	v_mov_b32_e32 v2, v12
.LBB196_11:
	s_movk_i32 s0, 0x41
	v_mad_u32_u24 v0, v2, s0, v10
	v_lshl_add_u32 v0, v0, 2, 0
	ds_write_b32 v0, v1
	v_mov_b32_e32 v1, 0
	ds_write_b32 v0, v1 offset:4160
	v_lshrrev_b32_e32 v0, 6, v10
	v_add_u32_e32 v0, v0, v2
	v_cmp_gt_u32_e32 vcc, 64, v0
	s_waitcnt lgkmcnt(0)
	s_barrier
	s_and_saveexec_b64 s[0:1], vcc
	s_cbranch_execz .LBB196_31
; %bb.12:
	v_and_b32_e32 v1, 63, v10
	v_cmp_gt_u32_e64 s[0:1], 16, v1
	v_mul_u32_u24_e32 v2, 0x41, v1
                                        ; implicit-def: $vgpr1
	s_and_saveexec_b64 s[4:5], s[0:1]
; %bb.13:
	v_lshlrev_b32_e32 v1, 2, v0
	v_lshlrev_b32_e32 v3, 2, v2
	v_add3_u32 v1, 0, v1, v3
	ds_read_b32 v1, v1
; %bb.14:
	s_or_b64 exec, exec, s[4:5]
	v_mbcnt_hi_u32_b32 v6, -1, v11
	v_and_b32_e32 v3, 64, v6
	v_add_u32_e32 v7, 64, v3
	v_xor_b32_e32 v3, 8, v6
	v_cmp_lt_i32_e32 vcc, v3, v7
	v_xor_b32_e32 v5, 4, v6
	v_xor_b32_e32 v8, 2, v6
	v_cndmask_b32_e32 v3, v6, v3, vcc
	v_lshlrev_b32_e32 v3, 2, v3
	s_waitcnt lgkmcnt(0)
	ds_bpermute_b32 v4, v3, v1
	v_cmp_lt_i32_e32 vcc, v5, v7
	s_cmp_lg_u64 s[12:13], 0
	s_mov_b32 s3, 0
	s_cselect_b64 s[6:7], -1, 0
	s_waitcnt lgkmcnt(0)
	v_add_f32_e32 v1, v1, v4
	v_cndmask_b32_e32 v4, v6, v5, vcc
	v_lshlrev_b32_e32 v4, 2, v4
	ds_bpermute_b32 v5, v4, v1
	v_cmp_lt_i32_e32 vcc, v8, v7
	s_lshl_b64 s[2:3], s[2:3], 7
	s_waitcnt lgkmcnt(0)
	v_add_f32_e32 v1, v1, v5
	v_cndmask_b32_e32 v5, v6, v8, vcc
	v_lshlrev_b32_e32 v5, 2, v5
	ds_bpermute_b32 v8, v5, v1
	v_cmp_eq_u32_e32 vcc, 0, v10
	s_waitcnt lgkmcnt(0)
	v_add_f32_e32 v1, v1, v8
	v_xor_b32_e32 v8, 1, v6
	v_cmp_lt_i32_e64 s[4:5], v8, v7
	s_nop 1
	v_cndmask_b32_e64 v6, v6, v8, s[4:5]
	v_lshlrev_b32_e32 v6, 2, v6
	ds_bpermute_b32 v7, v6, v1
	s_and_b64 s[4:5], vcc, s[6:7]
	s_add_u32 s2, s12, s2
	s_addc_u32 s3, s13, s3
	s_waitcnt lgkmcnt(0)
	v_add_f32_e32 v7, v1, v7
	s_and_saveexec_b64 s[6:7], s[4:5]
	s_cbranch_execz .LBB196_16
; %bb.15:
	v_bfe_u32 v8, v7, 16, 1
	s_movk_i32 s8, 0x7fff
	v_mov_b32_e32 v1, 0
	v_add3_u32 v8, v7, v8, s8
	v_cmp_o_f32_e32 vcc, v7, v7
	v_mov_b32_e32 v9, 0x7fc0
	s_nop 0
	v_cndmask_b32_sdwa v10, v9, v8, vcc dst_sel:DWORD dst_unused:UNUSED_PAD src0_sel:DWORD src1_sel:WORD_1
	v_lshl_add_u64 v[8:9], v[0:1], 1, s[2:3]
	global_store_short v[8:9], v10, off
.LBB196_16:
	s_or_b64 exec, exec, s[6:7]
	v_cmp_gt_u32_e32 vcc, 48, v0
	s_and_b64 exec, exec, vcc
	s_cbranch_execz .LBB196_31
; %bb.17:
	s_and_saveexec_b64 s[6:7], s[0:1]
; %bb.18:
	v_lshlrev_b32_e32 v1, 2, v0
	v_lshlrev_b32_e32 v7, 2, v2
	v_add3_u32 v1, 0, v1, v7
	ds_read_b32 v7, v1 offset:64
; %bb.19:
	s_or_b64 exec, exec, s[6:7]
	s_waitcnt lgkmcnt(0)
	ds_bpermute_b32 v1, v3, v7
	s_waitcnt lgkmcnt(0)
	v_add_f32_e32 v1, v7, v1
	ds_bpermute_b32 v7, v4, v1
	s_waitcnt lgkmcnt(0)
	v_add_f32_e32 v1, v1, v7
	;; [unrolled: 3-line block ×4, first 2 shown]
	s_and_saveexec_b64 s[6:7], s[4:5]
	s_cbranch_execz .LBB196_21
; %bb.20:
	v_bfe_u32 v1, v7, 16, 1
	s_movk_i32 s8, 0x7fff
	v_add3_u32 v1, v7, v1, s8
	v_cmp_o_f32_e32 vcc, v7, v7
	v_mov_b32_e32 v8, 0x7fc0
	s_nop 0
	v_cndmask_b32_sdwa v10, v8, v1, vcc dst_sel:DWORD dst_unused:UNUSED_PAD src0_sel:DWORD src1_sel:WORD_1
	v_mov_b32_e32 v1, 0
	v_lshl_add_u64 v[8:9], v[0:1], 1, s[2:3]
	global_store_short v[8:9], v10, off offset:32
.LBB196_21:
	s_or_b64 exec, exec, s[6:7]
	v_cmp_gt_u32_e32 vcc, 32, v0
	s_and_b64 exec, exec, vcc
	s_cbranch_execz .LBB196_31
; %bb.22:
	s_and_saveexec_b64 s[6:7], s[0:1]
; %bb.23:
	v_lshlrev_b32_e32 v1, 2, v0
	v_lshlrev_b32_e32 v7, 2, v2
	v_add3_u32 v1, 0, v1, v7
	ds_read_b32 v7, v1 offset:128
; %bb.24:
	s_or_b64 exec, exec, s[6:7]
	s_waitcnt lgkmcnt(0)
	ds_bpermute_b32 v1, v3, v7
	s_waitcnt lgkmcnt(0)
	v_add_f32_e32 v1, v7, v1
	ds_bpermute_b32 v7, v4, v1
	s_waitcnt lgkmcnt(0)
	v_add_f32_e32 v1, v1, v7
	;; [unrolled: 3-line block ×4, first 2 shown]
	s_and_saveexec_b64 s[6:7], s[4:5]
	s_cbranch_execz .LBB196_26
; %bb.25:
	v_bfe_u32 v1, v7, 16, 1
	s_movk_i32 s8, 0x7fff
	v_add3_u32 v1, v7, v1, s8
	v_cmp_o_f32_e32 vcc, v7, v7
	v_mov_b32_e32 v8, 0x7fc0
	s_nop 0
	v_cndmask_b32_sdwa v10, v8, v1, vcc dst_sel:DWORD dst_unused:UNUSED_PAD src0_sel:DWORD src1_sel:WORD_1
	v_mov_b32_e32 v1, 0
	v_lshl_add_u64 v[8:9], v[0:1], 1, s[2:3]
	global_store_short v[8:9], v10, off offset:64
.LBB196_26:
	s_or_b64 exec, exec, s[6:7]
	v_cmp_gt_u32_e32 vcc, 16, v0
	s_and_b64 exec, exec, vcc
	s_cbranch_execz .LBB196_31
; %bb.27:
	s_and_saveexec_b64 s[6:7], s[0:1]
; %bb.28:
	v_lshlrev_b32_e32 v1, 2, v0
	v_lshlrev_b32_e32 v2, 2, v2
	v_add3_u32 v1, 0, v1, v2
	ds_read_b32 v7, v1 offset:192
; %bb.29:
	s_or_b64 exec, exec, s[6:7]
	s_waitcnt lgkmcnt(0)
	ds_bpermute_b32 v1, v3, v7
	s_waitcnt lgkmcnt(0)
	v_add_f32_e32 v1, v7, v1
	ds_bpermute_b32 v2, v4, v1
	s_waitcnt lgkmcnt(0)
	v_add_f32_e32 v1, v1, v2
	;; [unrolled: 3-line block ×3, first 2 shown]
	ds_bpermute_b32 v2, v6, v1
	s_and_saveexec_b64 s[0:1], s[4:5]
	s_xor_b64 s[0:1], exec, s[0:1]
	s_cbranch_execz .LBB196_31
; %bb.30:
	s_waitcnt lgkmcnt(0)
	v_add_f32_e32 v1, v1, v2
	v_bfe_u32 v2, v1, 16, 1
	s_movk_i32 s0, 0x7fff
	v_add3_u32 v2, v1, v2, s0
	v_cmp_o_f32_e32 vcc, v1, v1
	v_mov_b32_e32 v1, 0x7fc0
	s_nop 0
	v_cndmask_b32_sdwa v2, v1, v2, vcc dst_sel:DWORD dst_unused:UNUSED_PAD src0_sel:DWORD src1_sel:WORD_1
	v_mov_b32_e32 v1, 0
	v_lshl_add_u64 v[0:1], v[0:1], 1, s[2:3]
	global_store_short v[0:1], v2, off offset:96
.LBB196_31:
	s_endpgm
	.section	.rodata,"a",@progbits
	.p2align	6, 0x0
	.amdhsa_kernel _ZN2at6native12_GLOBAL__N_135GammaBetaBackwardCUDAKernelTemplateIN3c108BFloat16EfLj64ELj16ELj256ELb0ELb1ELb1EEEvllPKT_S7_PKT0_SA_PS5_SB_
		.amdhsa_group_segment_fixed_size 0
		.amdhsa_private_segment_fixed_size 0
		.amdhsa_kernarg_size 320
		.amdhsa_user_sgpr_count 2
		.amdhsa_user_sgpr_dispatch_ptr 0
		.amdhsa_user_sgpr_queue_ptr 0
		.amdhsa_user_sgpr_kernarg_segment_ptr 1
		.amdhsa_user_sgpr_dispatch_id 0
		.amdhsa_user_sgpr_kernarg_preload_length 0
		.amdhsa_user_sgpr_kernarg_preload_offset 0
		.amdhsa_user_sgpr_private_segment_size 0
		.amdhsa_uses_dynamic_stack 0
		.amdhsa_enable_private_segment 0
		.amdhsa_system_sgpr_workgroup_id_x 1
		.amdhsa_system_sgpr_workgroup_id_y 1
		.amdhsa_system_sgpr_workgroup_id_z 0
		.amdhsa_system_sgpr_workgroup_info 0
		.amdhsa_system_vgpr_workitem_id 1
		.amdhsa_next_free_vgpr 67
		.amdhsa_next_free_sgpr 26
		.amdhsa_accum_offset 68
		.amdhsa_reserve_vcc 1
		.amdhsa_float_round_mode_32 0
		.amdhsa_float_round_mode_16_64 0
		.amdhsa_float_denorm_mode_32 3
		.amdhsa_float_denorm_mode_16_64 3
		.amdhsa_dx10_clamp 1
		.amdhsa_ieee_mode 1
		.amdhsa_fp16_overflow 0
		.amdhsa_tg_split 0
		.amdhsa_exception_fp_ieee_invalid_op 0
		.amdhsa_exception_fp_denorm_src 0
		.amdhsa_exception_fp_ieee_div_zero 0
		.amdhsa_exception_fp_ieee_overflow 0
		.amdhsa_exception_fp_ieee_underflow 0
		.amdhsa_exception_fp_ieee_inexact 0
		.amdhsa_exception_int_div_zero 0
	.end_amdhsa_kernel
	.section	.text._ZN2at6native12_GLOBAL__N_135GammaBetaBackwardCUDAKernelTemplateIN3c108BFloat16EfLj64ELj16ELj256ELb0ELb1ELb1EEEvllPKT_S7_PKT0_SA_PS5_SB_,"axG",@progbits,_ZN2at6native12_GLOBAL__N_135GammaBetaBackwardCUDAKernelTemplateIN3c108BFloat16EfLj64ELj16ELj256ELb0ELb1ELb1EEEvllPKT_S7_PKT0_SA_PS5_SB_,comdat
.Lfunc_end196:
	.size	_ZN2at6native12_GLOBAL__N_135GammaBetaBackwardCUDAKernelTemplateIN3c108BFloat16EfLj64ELj16ELj256ELb0ELb1ELb1EEEvllPKT_S7_PKT0_SA_PS5_SB_, .Lfunc_end196-_ZN2at6native12_GLOBAL__N_135GammaBetaBackwardCUDAKernelTemplateIN3c108BFloat16EfLj64ELj16ELj256ELb0ELb1ELb1EEEvllPKT_S7_PKT0_SA_PS5_SB_
                                        ; -- End function
	.set _ZN2at6native12_GLOBAL__N_135GammaBetaBackwardCUDAKernelTemplateIN3c108BFloat16EfLj64ELj16ELj256ELb0ELb1ELb1EEEvllPKT_S7_PKT0_SA_PS5_SB_.num_vgpr, 67
	.set _ZN2at6native12_GLOBAL__N_135GammaBetaBackwardCUDAKernelTemplateIN3c108BFloat16EfLj64ELj16ELj256ELb0ELb1ELb1EEEvllPKT_S7_PKT0_SA_PS5_SB_.num_agpr, 0
	.set _ZN2at6native12_GLOBAL__N_135GammaBetaBackwardCUDAKernelTemplateIN3c108BFloat16EfLj64ELj16ELj256ELb0ELb1ELb1EEEvllPKT_S7_PKT0_SA_PS5_SB_.numbered_sgpr, 26
	.set _ZN2at6native12_GLOBAL__N_135GammaBetaBackwardCUDAKernelTemplateIN3c108BFloat16EfLj64ELj16ELj256ELb0ELb1ELb1EEEvllPKT_S7_PKT0_SA_PS5_SB_.num_named_barrier, 0
	.set _ZN2at6native12_GLOBAL__N_135GammaBetaBackwardCUDAKernelTemplateIN3c108BFloat16EfLj64ELj16ELj256ELb0ELb1ELb1EEEvllPKT_S7_PKT0_SA_PS5_SB_.private_seg_size, 0
	.set _ZN2at6native12_GLOBAL__N_135GammaBetaBackwardCUDAKernelTemplateIN3c108BFloat16EfLj64ELj16ELj256ELb0ELb1ELb1EEEvllPKT_S7_PKT0_SA_PS5_SB_.uses_vcc, 1
	.set _ZN2at6native12_GLOBAL__N_135GammaBetaBackwardCUDAKernelTemplateIN3c108BFloat16EfLj64ELj16ELj256ELb0ELb1ELb1EEEvllPKT_S7_PKT0_SA_PS5_SB_.uses_flat_scratch, 0
	.set _ZN2at6native12_GLOBAL__N_135GammaBetaBackwardCUDAKernelTemplateIN3c108BFloat16EfLj64ELj16ELj256ELb0ELb1ELb1EEEvllPKT_S7_PKT0_SA_PS5_SB_.has_dyn_sized_stack, 0
	.set _ZN2at6native12_GLOBAL__N_135GammaBetaBackwardCUDAKernelTemplateIN3c108BFloat16EfLj64ELj16ELj256ELb0ELb1ELb1EEEvllPKT_S7_PKT0_SA_PS5_SB_.has_recursion, 0
	.set _ZN2at6native12_GLOBAL__N_135GammaBetaBackwardCUDAKernelTemplateIN3c108BFloat16EfLj64ELj16ELj256ELb0ELb1ELb1EEEvllPKT_S7_PKT0_SA_PS5_SB_.has_indirect_call, 0
	.section	.AMDGPU.csdata,"",@progbits
; Kernel info:
; codeLenInByte = 2508
; TotalNumSgprs: 32
; NumVgprs: 67
; NumAgprs: 0
; TotalNumVgprs: 67
; ScratchSize: 0
; MemoryBound: 0
; FloatMode: 240
; IeeeMode: 1
; LDSByteSize: 0 bytes/workgroup (compile time only)
; SGPRBlocks: 3
; VGPRBlocks: 8
; NumSGPRsForWavesPerEU: 32
; NumVGPRsForWavesPerEU: 67
; AccumOffset: 68
; Occupancy: 7
; WaveLimiterHint : 0
; COMPUTE_PGM_RSRC2:SCRATCH_EN: 0
; COMPUTE_PGM_RSRC2:USER_SGPR: 2
; COMPUTE_PGM_RSRC2:TRAP_HANDLER: 0
; COMPUTE_PGM_RSRC2:TGID_X_EN: 1
; COMPUTE_PGM_RSRC2:TGID_Y_EN: 1
; COMPUTE_PGM_RSRC2:TGID_Z_EN: 0
; COMPUTE_PGM_RSRC2:TIDIG_COMP_CNT: 1
; COMPUTE_PGM_RSRC3_GFX90A:ACCUM_OFFSET: 16
; COMPUTE_PGM_RSRC3_GFX90A:TG_SPLIT: 0
	.section	.text._ZN2at6native12_GLOBAL__N_135GammaBetaBackwardCUDAKernelTemplateIN3c108BFloat16EfLj64ELj16ELj256ELb0ELb0ELb1EEEvllPKT_S7_PKT0_SA_PS5_SB_,"axG",@progbits,_ZN2at6native12_GLOBAL__N_135GammaBetaBackwardCUDAKernelTemplateIN3c108BFloat16EfLj64ELj16ELj256ELb0ELb0ELb1EEEvllPKT_S7_PKT0_SA_PS5_SB_,comdat
	.globl	_ZN2at6native12_GLOBAL__N_135GammaBetaBackwardCUDAKernelTemplateIN3c108BFloat16EfLj64ELj16ELj256ELb0ELb0ELb1EEEvllPKT_S7_PKT0_SA_PS5_SB_ ; -- Begin function _ZN2at6native12_GLOBAL__N_135GammaBetaBackwardCUDAKernelTemplateIN3c108BFloat16EfLj64ELj16ELj256ELb0ELb0ELb1EEEvllPKT_S7_PKT0_SA_PS5_SB_
	.p2align	8
	.type	_ZN2at6native12_GLOBAL__N_135GammaBetaBackwardCUDAKernelTemplateIN3c108BFloat16EfLj64ELj16ELj256ELb0ELb0ELb1EEEvllPKT_S7_PKT0_SA_PS5_SB_,@function
_ZN2at6native12_GLOBAL__N_135GammaBetaBackwardCUDAKernelTemplateIN3c108BFloat16EfLj64ELj16ELj256ELb0ELb0ELb1EEEvllPKT_S7_PKT0_SA_PS5_SB_: ; @_ZN2at6native12_GLOBAL__N_135GammaBetaBackwardCUDAKernelTemplateIN3c108BFloat16EfLj64ELj16ELj256ELb0ELb0ELb1EEEvllPKT_S7_PKT0_SA_PS5_SB_
; %bb.0:
	s_load_dwordx8 s[8:15], s[0:1], 0x0
	s_load_dwordx2 s[16:17], s[0:1], 0x28
	s_lshl_b32 s33, s2, 6
	s_mov_b32 s19, 0
	s_lshl_b32 s18, s3, 8
	v_mov_b32_e32 v77, v0
	s_or_b32 s4, s33, 63
	v_mov_b64_e32 v[0:1], s[18:19]
	v_mov_b32_e32 v2, s4
	v_mov_b32_e32 v3, 0
	s_waitcnt lgkmcnt(0)
	v_cmp_gt_i64_e64 s[4:5], s[8:9], v[0:1]
	v_cmp_le_i64_e32 vcc, s[10:11], v[2:3]
	s_nop 0
	v_cndmask_b32_e64 v0, 0, 1, s[4:5]
	v_cmp_ne_u32_e64 s[4:5], 1, v0
	s_cbranch_vccz .LBB197_81
; %bb.1:
	s_and_b64 vcc, exec, s[4:5]
	s_cbranch_vccnz .LBB197_83
; %bb.2:
	v_and_b32_e32 v104, 0x3ff, v77
	v_mov_b32_e32 v2, 0
	v_bfe_u32 v105, v77, 10, 10
	v_add_u32_e32 v0, s33, v104
	v_mov_b32_e32 v1, v2
	v_lshlrev_b32_e32 v36, 4, v105
	v_mov_b32_e32 v37, v2
	v_cmp_gt_i64_e64 s[6:7], s[10:11], v[0:1]
	v_lshlrev_b64 v[38:39], 1, v[0:1]
	v_lshl_add_u64 v[0:1], v[36:37], 0, s[18:19]
	v_mul_lo_u32 v3, s11, v0
	v_mul_lo_u32 v6, s10, v1
	v_mad_u64_u32 v[4:5], s[22:23], s10, v0, 0
	v_add3_u32 v5, v5, v6, v3
	v_lshlrev_b64 v[4:5], 1, v[4:5]
	v_lshl_add_u64 v[40:41], s[12:13], 0, v[4:5]
	v_lshl_add_u64 v[42:43], s[14:15], 0, v[4:5]
	v_lshl_add_u64 v[4:5], v[0:1], 0, 15
	v_mul_lo_u32 v7, s11, v4
	v_mul_lo_u32 v8, s10, v5
	v_mad_u64_u32 v[4:5], s[24:25], s10, v4, 0
	v_add3_u32 v5, v5, v8, v7
	v_lshlrev_b64 v[4:5], 1, v[4:5]
	v_lshl_add_u64 v[44:45], s[12:13], 0, v[4:5]
	v_lshl_add_u64 v[46:47], s[14:15], 0, v[4:5]
	;; [unrolled: 8-line block ×9, first 2 shown]
	v_lshl_add_u64 v[4:5], v[0:1], 0, 7
	v_mul_lo_u32 v7, s11, v4
	v_mul_lo_u32 v8, s10, v5
	v_mad_u64_u32 v[4:5], s[24:25], s10, v4, 0
	v_add3_u32 v5, v5, v8, v7
	v_lshlrev_b64 v[4:5], 1, v[4:5]
	v_mov_b32_e32 v112, v77
	v_lshl_add_u64 v[76:77], s[12:13], 0, v[4:5]
	v_lshl_add_u64 v[78:79], s[14:15], 0, v[4:5]
	v_lshl_add_u64 v[4:5], v[0:1], 0, 6
	v_mul_lo_u32 v7, s11, v4
	v_mul_lo_u32 v8, s10, v5
	v_mad_u64_u32 v[4:5], s[24:25], s10, v4, 0
	v_add3_u32 v5, v5, v8, v7
	v_lshlrev_b64 v[4:5], 1, v[4:5]
	v_lshl_add_u64 v[80:81], s[12:13], 0, v[4:5]
	v_lshl_add_u64 v[82:83], s[14:15], 0, v[4:5]
	v_lshl_add_u64 v[4:5], v[0:1], 0, 5
	v_mul_lo_u32 v7, s11, v4
	v_mul_lo_u32 v8, s10, v5
	v_mad_u64_u32 v[4:5], s[24:25], s10, v4, 0
	v_add3_u32 v5, v5, v8, v7
	v_lshlrev_b64 v[4:5], 1, v[4:5]
	;; [unrolled: 8-line block ×4, first 2 shown]
	v_lshl_add_u64 v[92:93], s[12:13], 0, v[4:5]
	v_lshl_add_u64 v[94:95], s[14:15], 0, v[4:5]
	;; [unrolled: 1-line block ×3, first 2 shown]
	s_load_dword s3, s[0:1], 0x44
	v_mul_lo_u32 v1, s11, v4
	v_mul_lo_u32 v7, s10, v5
	v_mad_u64_u32 v[4:5], s[24:25], s10, v4, 0
	v_add3_u32 v5, v5, v7, v1
	v_lshlrev_b64 v[4:5], 1, v[4:5]
	v_lshl_add_u64 v[96:97], s[12:13], 0, v[4:5]
	v_lshl_add_u64 v[98:99], s[14:15], 0, v[4:5]
	v_mov_b64_e32 v[4:5], s[10:11]
	s_add_u32 s20, s0, 64
	v_mad_u64_u32 v[0:1], s[24:25], s10, v0, v[4:5]
	s_addc_u32 s21, s1, 0
	s_waitcnt lgkmcnt(0)
	s_lshl_b32 s3, s3, 8
	v_add3_u32 v1, v3, v1, v6
	s_mul_i32 s22, s11, s3
	s_mul_hi_u32 s23, s10, s3
	v_lshlrev_b64 v[0:1], 1, v[0:1]
	s_add_i32 s23, s23, s22
	s_mul_i32 s22, s10, s3
	v_lshl_add_u64 v[100:101], s[12:13], 0, v[0:1]
	v_lshl_add_u64 v[102:103], s[14:15], 0, v[0:1]
	v_mbcnt_lo_u32_b32 v0, -1, 0
	s_lshl_b64 s[22:23], s[22:23], 1
	v_mbcnt_hi_u32_b32 v0, -1, v0
	s_add_u32 s24, s18, 0xff
	s_movk_i32 s26, 0xff01
	s_movk_i32 s28, 0xff02
	;; [unrolled: 1-line block ×16, first 2 shown]
	v_lshlrev_b32_e32 v0, 2, v0
	s_addc_u32 s25, 0, 0
	s_mov_b32 s27, -1
	s_mov_b32 s29, -1
	s_mov_b32 s31, -1
	s_mov_b32 s35, -1
	s_mov_b32 s37, -1
	s_mov_b32 s39, -1
	s_mov_b32 s41, -1
	s_mov_b32 s43, -1
	s_mov_b32 s45, -1
	s_mov_b32 s47, -1
	s_mov_b32 s49, -1
	s_mov_b32 s51, -1
	s_mov_b32 s53, -1
	s_mov_b32 s55, -1
	s_mov_b32 s57, -1
	s_mov_b32 s59, -1
	v_and_b32_e32 v106, 0x100, v0
	s_mov_b64 s[60:61], s[18:19]
	v_mov_b32_e32 v107, 0
.LBB197_3:                              ; =>This Inner Loop Header: Depth=1
	v_mov_b64_e32 v[0:1], s[8:9]
	v_cmp_ge_i64_e32 vcc, s[24:25], v[0:1]
	v_lshl_add_u64 v[0:1], v[36:37], 0, s[24:25]
	s_mov_b64 s[62:63], -1
	s_and_b64 vcc, exec, vcc
                                        ; implicit-def: $vgpr4_vgpr5_vgpr6_vgpr7_vgpr8_vgpr9_vgpr10_vgpr11_vgpr12_vgpr13_vgpr14_vgpr15_vgpr16_vgpr17_vgpr18_vgpr19
                                        ; implicit-def: $vgpr3
                                        ; implicit-def: $vgpr20_vgpr21_vgpr22_vgpr23_vgpr24_vgpr25_vgpr26_vgpr27_vgpr28_vgpr29_vgpr30_vgpr31_vgpr32_vgpr33_vgpr34_vgpr35
                                        ; implicit-def: $vgpr4
	s_cbranch_vccz .LBB197_41
; %bb.4:                                ;   in Loop: Header=BB197_3 Depth=1
	s_load_dword s62, s[20:21], 0xc
	v_mov_b32_e32 v108, 0
	s_waitcnt lgkmcnt(0)
	s_and_b32 s62, s62, 0xffff
	v_mad_u32_u24 v3, v105, s62, v104
	v_and_b32_e32 v4, 63, v3
	v_cmp_gt_u32_e32 vcc, 16, v4
	s_and_saveexec_b64 s[62:63], vcc
	s_cbranch_execz .LBB197_8
; %bb.5:                                ;   in Loop: Header=BB197_3 Depth=1
	v_mov_b32_e32 v5, v2
	v_lshl_add_u64 v[4:5], v[0:1], 0, v[4:5]
	v_lshl_add_u64 v[4:5], v[4:5], 0, s[26:27]
	v_cmp_gt_i64_e32 vcc, s[8:9], v[4:5]
	v_mov_b32_e32 v108, 0
	s_and_saveexec_b64 s[64:65], vcc
	s_cbranch_execz .LBB197_7
; %bb.6:                                ;   in Loop: Header=BB197_3 Depth=1
	v_lshl_add_u64 v[4:5], v[4:5], 2, s[16:17]
	global_load_dword v108, v[4:5], off
.LBB197_7:                              ;   in Loop: Header=BB197_3 Depth=1
	s_or_b64 exec, exec, s[64:65]
.LBB197_8:                              ;   in Loop: Header=BB197_3 Depth=1
	s_or_b64 exec, exec, s[62:63]
	v_lshl_add_u64 v[4:5], v[0:1], 0, s[26:27]
	v_mov_b32_e32 v16, v2
	v_mov_b32_e32 v17, v2
	v_cmp_gt_i64_e32 vcc, s[8:9], v[4:5]
	v_mov_b32_e32 v3, v2
	v_mov_b32_e32 v4, v2
	;; [unrolled: 1-line block ×13, first 2 shown]
	v_mov_b64_e32 v[34:35], v[16:17]
	v_mov_b64_e32 v[32:33], v[14:15]
	;; [unrolled: 1-line block ×9, first 2 shown]
	s_and_b64 s[64:65], s[6:7], vcc
	v_mov_b64_e32 v[16:17], v[14:15]
	v_mov_b64_e32 v[14:15], v[12:13]
	;; [unrolled: 1-line block ×7, first 2 shown]
	s_and_saveexec_b64 s[62:63], s[64:65]
	s_cbranch_execz .LBB197_10
; %bb.9:                                ;   in Loop: Header=BB197_3 Depth=1
	v_lshl_add_u64 v[4:5], v[40:41], 0, v[38:39]
	global_load_ushort v3, v[4:5], off
	v_lshl_add_u64 v[4:5], v[42:43], 0, v[38:39]
	global_load_ushort v20, v[4:5], off
	v_mov_b32_e32 v5, v2
	v_mov_b32_e32 v6, v2
	;; [unrolled: 1-line block ×30, first 2 shown]
	s_waitcnt vmcnt(1)
	v_lshlrev_b32_e32 v4, 16, v3
	s_waitcnt vmcnt(0)
	v_lshlrev_b32_e32 v20, 16, v20
.LBB197_10:                             ;   in Loop: Header=BB197_3 Depth=1
	s_or_b64 exec, exec, s[62:63]
	v_lshl_add_u64 v[110:111], v[0:1], 0, s[28:29]
	v_cmp_gt_i64_e32 vcc, s[8:9], v[110:111]
	s_and_b64 s[64:65], s[6:7], vcc
	s_and_saveexec_b64 s[62:63], s[64:65]
	s_cbranch_execz .LBB197_12
; %bb.11:                               ;   in Loop: Header=BB197_3 Depth=1
	v_lshl_add_u64 v[110:111], v[100:101], 0, v[38:39]
	global_load_ushort v3, v[110:111], off
	v_lshl_add_u64 v[110:111], v[102:103], 0, v[38:39]
	global_load_ushort v21, v[110:111], off
	s_waitcnt vmcnt(1)
	v_lshlrev_b32_e32 v5, 16, v3
	s_waitcnt vmcnt(0)
	v_lshlrev_b32_e32 v21, 16, v21
.LBB197_12:                             ;   in Loop: Header=BB197_3 Depth=1
	s_or_b64 exec, exec, s[62:63]
	v_lshl_add_u64 v[110:111], v[0:1], 0, s[30:31]
	v_cmp_gt_i64_e32 vcc, s[8:9], v[110:111]
	s_and_b64 s[64:65], s[6:7], vcc
	s_and_saveexec_b64 s[62:63], s[64:65]
	s_cbranch_execz .LBB197_14
; %bb.13:                               ;   in Loop: Header=BB197_3 Depth=1
	v_lshl_add_u64 v[110:111], v[96:97], 0, v[38:39]
	global_load_ushort v3, v[110:111], off
	v_lshl_add_u64 v[110:111], v[98:99], 0, v[38:39]
	global_load_ushort v22, v[110:111], off
	s_waitcnt vmcnt(1)
	v_lshlrev_b32_e32 v6, 16, v3
	s_waitcnt vmcnt(0)
	v_lshlrev_b32_e32 v22, 16, v22
.LBB197_14:                             ;   in Loop: Header=BB197_3 Depth=1
	;; [unrolled: 16-line block ×15, first 2 shown]
	s_or_b64 exec, exec, s[62:63]
	s_waitcnt vmcnt(0)
	ds_bpermute_b32 v3, v106, v108
	ds_bpermute_b32 v109, v106, v108 offset:4
	v_mul_f32_e32 v4, v20, v4
	ds_bpermute_b32 v20, v106, v108 offset:8
	v_mul_f32_e32 v5, v21, v5
	s_waitcnt lgkmcnt(2)
	v_fma_f32 v110, v4, v3, v107
	s_waitcnt lgkmcnt(1)
	v_fmac_f32_e32 v110, v5, v109
	ds_bpermute_b32 v4, v106, v108 offset:12
	ds_bpermute_b32 v5, v106, v108 offset:16
	v_mul_f32_e32 v3, v22, v6
	s_waitcnt lgkmcnt(2)
	v_fmac_f32_e32 v110, v3, v20
	v_pk_mul_f32 v[8:9], v[24:25], v[8:9]
	v_mul_f32_e32 v3, v23, v7
	v_pk_mov_b32 v[20:21], v[2:3], v[8:9] op_sel:[1,0]
	v_pk_mul_f32 v[10:11], v[26:27], v[10:11]
	s_waitcnt lgkmcnt(0)
	v_pk_mul_f32 v[4:5], v[20:21], v[4:5]
	ds_bpermute_b32 v20, v106, v108 offset:20
	ds_bpermute_b32 v21, v106, v108 offset:24
	v_add_f32_e32 v3, v110, v4
	v_add_f32_e32 v3, v3, v5
	v_pk_mov_b32 v[4:5], v[8:9], v[10:11] op_sel:[1,0]
	ds_bpermute_b32 v8, v106, v108 offset:28
	ds_bpermute_b32 v9, v106, v108 offset:32
	s_waitcnt lgkmcnt(2)
	v_pk_mul_f32 v[4:5], v[4:5], v[20:21]
	v_pk_mul_f32 v[12:13], v[28:29], v[12:13]
	v_add_f32_e32 v3, v3, v4
	v_add_f32_e32 v3, v3, v5
	v_pk_mov_b32 v[4:5], v[10:11], v[12:13] op_sel:[1,0]
	v_pk_mul_f32 v[14:15], v[30:31], v[14:15]
	s_waitcnt lgkmcnt(0)
	v_pk_mul_f32 v[4:5], v[4:5], v[8:9]
	ds_bpermute_b32 v8, v106, v108 offset:36
	ds_bpermute_b32 v9, v106, v108 offset:40
	v_add_f32_e32 v3, v3, v4
	ds_bpermute_b32 v10, v106, v108 offset:44
	ds_bpermute_b32 v11, v106, v108 offset:48
	v_add_f32_e32 v3, v3, v5
	v_pk_mov_b32 v[4:5], v[12:13], v[14:15] op_sel:[1,0]
	v_pk_mul_f32 v[16:17], v[32:33], v[16:17]
	s_waitcnt lgkmcnt(2)
	v_pk_mul_f32 v[4:5], v[4:5], v[8:9]
	ds_bpermute_b32 v8, v106, v108 offset:52
	v_add_f32_e32 v3, v3, v4
	ds_bpermute_b32 v9, v106, v108 offset:56
	v_add_f32_e32 v3, v3, v5
	v_pk_mov_b32 v[4:5], v[14:15], v[16:17] op_sel:[1,0]
	v_mul_f32_e32 v6, v34, v18
	s_waitcnt lgkmcnt(2)
	v_pk_mul_f32 v[4:5], v[4:5], v[10:11]
	v_pk_mov_b32 v[6:7], v[16:17], v[6:7] op_sel:[1,0]
	v_add_f32_e32 v3, v3, v4
	ds_bpermute_b32 v4, v106, v108 offset:60
	v_add_f32_e32 v3, v3, v5
	s_waitcnt lgkmcnt(1)
	v_pk_mul_f32 v[6:7], v[6:7], v[8:9]
	s_mov_b64 s[62:63], 0
	v_add_f32_e32 v3, v3, v6
	v_add_f32_e32 v3, v3, v7
.LBB197_41:                             ;   in Loop: Header=BB197_3 Depth=1
	s_and_b64 vcc, exec, s[62:63]
	s_cbranch_vccz .LBB197_64
; %bb.42:                               ;   in Loop: Header=BB197_3 Depth=1
	s_load_dword s62, s[20:21], 0x0
	v_mov_b32_e32 v108, 0
	s_waitcnt lgkmcnt(0)
	s_cmp_lt_u32 s2, s62
	s_cselect_b32 s62, 12, 18
	s_add_u32 s62, s20, s62
	s_addc_u32 s63, s21, 0
	global_load_ushort v3, v2, s[62:63]
	s_waitcnt vmcnt(0)
	v_mad_u32_u24 v3, v105, v3, v104
	v_and_b32_e32 v4, 63, v3
	v_cmp_gt_u32_e32 vcc, 16, v4
	s_and_saveexec_b64 s[62:63], vcc
	s_cbranch_execz .LBB197_46
; %bb.43:                               ;   in Loop: Header=BB197_3 Depth=1
	v_mov_b32_e32 v5, v2
	v_lshl_add_u64 v[0:1], v[0:1], 0, v[4:5]
	v_lshl_add_u64 v[0:1], v[0:1], 0, s[26:27]
	v_cmp_gt_i64_e32 vcc, s[8:9], v[0:1]
	v_mov_b32_e32 v108, 0
	s_and_saveexec_b64 s[64:65], vcc
	s_cbranch_execz .LBB197_45
; %bb.44:                               ;   in Loop: Header=BB197_3 Depth=1
	v_lshl_add_u64 v[0:1], v[0:1], 2, s[16:17]
	global_load_dword v108, v[0:1], off
.LBB197_45:                             ;   in Loop: Header=BB197_3 Depth=1
	s_or_b64 exec, exec, s[64:65]
.LBB197_46:                             ;   in Loop: Header=BB197_3 Depth=1
	s_or_b64 exec, exec, s[62:63]
	v_mov_b32_e32 v16, v2
	v_mov_b32_e32 v17, v2
	v_mov_b32_e32 v3, v2
	v_mov_b32_e32 v4, v2
	v_mov_b32_e32 v5, v2
	v_mov_b32_e32 v6, v2
	v_mov_b32_e32 v7, v2
	v_mov_b32_e32 v8, v2
	v_mov_b32_e32 v9, v2
	v_mov_b32_e32 v10, v2
	v_mov_b32_e32 v11, v2
	v_mov_b32_e32 v12, v2
	v_mov_b32_e32 v13, v2
	v_mov_b32_e32 v14, v2
	v_mov_b32_e32 v15, v2
	v_mov_b64_e32 v[34:35], v[16:17]
	v_mov_b64_e32 v[32:33], v[14:15]
	v_mov_b64_e32 v[30:31], v[12:13]
	v_mov_b64_e32 v[28:29], v[10:11]
	v_mov_b64_e32 v[26:27], v[8:9]
	v_mov_b64_e32 v[24:25], v[6:7]
	v_mov_b64_e32 v[22:23], v[4:5]
	v_mov_b64_e32 v[20:21], v[2:3]
	v_mov_b64_e32 v[18:19], v[16:17]
	v_mov_b64_e32 v[16:17], v[14:15]
	v_mov_b64_e32 v[14:15], v[12:13]
	v_mov_b64_e32 v[12:13], v[10:11]
	v_mov_b64_e32 v[10:11], v[8:9]
	v_mov_b64_e32 v[8:9], v[6:7]
	v_mov_b64_e32 v[6:7], v[4:5]
	v_mov_b64_e32 v[4:5], v[2:3]
	s_and_saveexec_b64 s[62:63], s[6:7]
	s_cbranch_execnz .LBB197_66
; %bb.47:                               ;   in Loop: Header=BB197_3 Depth=1
	s_or_b64 exec, exec, s[62:63]
	s_and_saveexec_b64 s[62:63], s[6:7]
	s_cbranch_execnz .LBB197_67
.LBB197_48:                             ;   in Loop: Header=BB197_3 Depth=1
	s_or_b64 exec, exec, s[62:63]
	s_and_saveexec_b64 s[62:63], s[6:7]
	s_cbranch_execnz .LBB197_68
.LBB197_49:                             ;   in Loop: Header=BB197_3 Depth=1
	s_or_b64 exec, exec, s[62:63]
	s_and_saveexec_b64 s[62:63], s[6:7]
	s_cbranch_execnz .LBB197_69
.LBB197_50:                             ;   in Loop: Header=BB197_3 Depth=1
	s_or_b64 exec, exec, s[62:63]
	s_and_saveexec_b64 s[62:63], s[6:7]
	s_cbranch_execnz .LBB197_70
.LBB197_51:                             ;   in Loop: Header=BB197_3 Depth=1
	s_or_b64 exec, exec, s[62:63]
	s_and_saveexec_b64 s[62:63], s[6:7]
	s_cbranch_execnz .LBB197_71
.LBB197_52:                             ;   in Loop: Header=BB197_3 Depth=1
	s_or_b64 exec, exec, s[62:63]
	s_and_saveexec_b64 s[62:63], s[6:7]
	s_cbranch_execnz .LBB197_72
.LBB197_53:                             ;   in Loop: Header=BB197_3 Depth=1
	s_or_b64 exec, exec, s[62:63]
	s_and_saveexec_b64 s[62:63], s[6:7]
	s_cbranch_execnz .LBB197_73
.LBB197_54:                             ;   in Loop: Header=BB197_3 Depth=1
	s_or_b64 exec, exec, s[62:63]
	s_and_saveexec_b64 s[62:63], s[6:7]
	s_cbranch_execnz .LBB197_74
.LBB197_55:                             ;   in Loop: Header=BB197_3 Depth=1
	s_or_b64 exec, exec, s[62:63]
	s_and_saveexec_b64 s[62:63], s[6:7]
	s_cbranch_execnz .LBB197_75
.LBB197_56:                             ;   in Loop: Header=BB197_3 Depth=1
	s_or_b64 exec, exec, s[62:63]
	s_and_saveexec_b64 s[62:63], s[6:7]
	s_cbranch_execnz .LBB197_76
.LBB197_57:                             ;   in Loop: Header=BB197_3 Depth=1
	s_or_b64 exec, exec, s[62:63]
	s_and_saveexec_b64 s[62:63], s[6:7]
	s_cbranch_execnz .LBB197_77
.LBB197_58:                             ;   in Loop: Header=BB197_3 Depth=1
	s_or_b64 exec, exec, s[62:63]
	s_and_saveexec_b64 s[62:63], s[6:7]
	s_cbranch_execnz .LBB197_78
.LBB197_59:                             ;   in Loop: Header=BB197_3 Depth=1
	s_or_b64 exec, exec, s[62:63]
	s_and_saveexec_b64 s[62:63], s[6:7]
	s_cbranch_execnz .LBB197_79
.LBB197_60:                             ;   in Loop: Header=BB197_3 Depth=1
	s_or_b64 exec, exec, s[62:63]
	s_and_saveexec_b64 s[62:63], s[6:7]
	s_cbranch_execnz .LBB197_80
.LBB197_61:                             ;   in Loop: Header=BB197_3 Depth=1
	s_or_b64 exec, exec, s[62:63]
	s_and_saveexec_b64 s[62:63], s[6:7]
	s_cbranch_execz .LBB197_63
.LBB197_62:                             ;   in Loop: Header=BB197_3 Depth=1
	v_lshl_add_u64 v[0:1], v[44:45], 0, v[38:39]
	global_load_ushort v3, v[0:1], off
	v_lshl_add_u64 v[0:1], v[46:47], 0, v[38:39]
	global_load_ushort v0, v[0:1], off
	s_waitcnt vmcnt(1)
	v_lshlrev_b32_e32 v19, 16, v3
	s_waitcnt vmcnt(0)
	v_lshlrev_b32_e32 v35, 16, v0
.LBB197_63:                             ;   in Loop: Header=BB197_3 Depth=1
	s_or_b64 exec, exec, s[62:63]
	s_waitcnt vmcnt(0)
	ds_bpermute_b32 v0, v106, v108
	ds_bpermute_b32 v1, v106, v108 offset:4
	v_mul_f32_e32 v3, v20, v4
	ds_bpermute_b32 v4, v106, v108 offset:8
	v_mul_f32_e32 v5, v21, v5
	s_waitcnt lgkmcnt(2)
	v_fmac_f32_e32 v107, v3, v0
	s_waitcnt lgkmcnt(1)
	v_fmac_f32_e32 v107, v5, v1
	v_mul_f32_e32 v0, v22, v6
	s_waitcnt lgkmcnt(0)
	v_fmac_f32_e32 v107, v0, v4
	ds_bpermute_b32 v0, v106, v108 offset:12
	ds_bpermute_b32 v1, v106, v108 offset:16
	v_pk_mul_f32 v[8:9], v[24:25], v[8:9]
	v_mul_f32_e32 v3, v23, v7
	v_pk_mul_f32 v[4:5], v[30:31], v[14:15]
	v_pk_mov_b32 v[14:15], v[2:3], v[8:9] op_sel:[1,0]
	v_pk_mul_f32 v[10:11], v[26:27], v[10:11]
	s_waitcnt lgkmcnt(0)
	v_pk_mul_f32 v[0:1], v[14:15], v[0:1]
	ds_bpermute_b32 v14, v106, v108 offset:20
	ds_bpermute_b32 v15, v106, v108 offset:24
	v_add_f32_e32 v0, v107, v0
	v_add_f32_e32 v3, v0, v1
	v_pk_mov_b32 v[0:1], v[8:9], v[10:11] op_sel:[1,0]
	ds_bpermute_b32 v8, v106, v108 offset:28
	ds_bpermute_b32 v9, v106, v108 offset:32
	s_waitcnt lgkmcnt(2)
	v_pk_mul_f32 v[0:1], v[0:1], v[14:15]
	v_pk_mul_f32 v[12:13], v[28:29], v[12:13]
	v_add_f32_e32 v0, v3, v0
	v_add_f32_e32 v3, v0, v1
	v_pk_mov_b32 v[0:1], v[10:11], v[12:13] op_sel:[1,0]
	ds_bpermute_b32 v10, v106, v108 offset:44
	s_waitcnt lgkmcnt(1)
	v_pk_mul_f32 v[0:1], v[0:1], v[8:9]
	ds_bpermute_b32 v8, v106, v108 offset:36
	ds_bpermute_b32 v9, v106, v108 offset:40
	v_add_f32_e32 v0, v3, v0
	ds_bpermute_b32 v11, v106, v108 offset:48
	v_add_f32_e32 v3, v0, v1
	v_pk_mov_b32 v[0:1], v[12:13], v[4:5] op_sel:[1,0]
	v_pk_mul_f32 v[16:17], v[32:33], v[16:17]
	s_waitcnt lgkmcnt(1)
	v_pk_mul_f32 v[0:1], v[0:1], v[8:9]
	ds_bpermute_b32 v8, v106, v108 offset:52
	v_add_f32_e32 v0, v3, v0
	ds_bpermute_b32 v9, v106, v108 offset:56
	v_add_f32_e32 v3, v0, v1
	v_pk_mov_b32 v[0:1], v[4:5], v[16:17] op_sel:[1,0]
	v_mul_f32_e32 v6, v34, v18
	s_waitcnt lgkmcnt(2)
	v_pk_mul_f32 v[0:1], v[0:1], v[10:11]
	ds_bpermute_b32 v4, v106, v108 offset:60
	v_add_f32_e32 v0, v3, v0
	v_add_f32_e32 v3, v0, v1
	v_pk_mov_b32 v[0:1], v[16:17], v[6:7] op_sel:[1,0]
	s_waitcnt lgkmcnt(1)
	v_pk_mul_f32 v[0:1], v[0:1], v[8:9]
	s_nop 0
	v_add_f32_e32 v0, v3, v0
	v_add_f32_e32 v3, v0, v1
.LBB197_64:                             ;   in Loop: Header=BB197_3 Depth=1
	v_mul_f32_e32 v0, v19, v35
	s_add_u32 s60, s60, s3
	s_waitcnt lgkmcnt(0)
	v_fmac_f32_e32 v3, v0, v4
	s_addc_u32 s61, s61, 0
	v_mov_b64_e32 v[0:1], s[8:9]
	s_add_u32 s24, s24, s3
	v_cmp_lt_i64_e32 vcc, s[60:61], v[0:1]
	v_lshl_add_u64 v[40:41], v[40:41], 0, s[22:23]
	v_lshl_add_u64 v[42:43], v[42:43], 0, s[22:23]
	;; [unrolled: 1-line block ×32, first 2 shown]
	s_addc_u32 s25, s25, 0
	s_cbranch_vccz .LBB197_82
; %bb.65:                               ;   in Loop: Header=BB197_3 Depth=1
	v_mov_b32_e32 v107, v3
	s_branch .LBB197_3
.LBB197_66:                             ;   in Loop: Header=BB197_3 Depth=1
	v_lshl_add_u64 v[0:1], v[40:41], 0, v[38:39]
	global_load_ushort v3, v[0:1], off
	v_lshl_add_u64 v[0:1], v[42:43], 0, v[38:39]
	global_load_ushort v0, v[0:1], off
	v_mov_b32_e32 v5, v2
	v_mov_b32_e32 v6, v2
	;; [unrolled: 1-line block ×30, first 2 shown]
	s_waitcnt vmcnt(1)
	v_lshlrev_b32_e32 v4, 16, v3
	s_waitcnt vmcnt(0)
	v_lshlrev_b32_e32 v20, 16, v0
	s_or_b64 exec, exec, s[62:63]
	s_and_saveexec_b64 s[62:63], s[6:7]
	s_cbranch_execz .LBB197_48
.LBB197_67:                             ;   in Loop: Header=BB197_3 Depth=1
	v_lshl_add_u64 v[0:1], v[100:101], 0, v[38:39]
	global_load_ushort v3, v[0:1], off
	v_lshl_add_u64 v[0:1], v[102:103], 0, v[38:39]
	global_load_ushort v0, v[0:1], off
	s_waitcnt vmcnt(1)
	v_lshlrev_b32_e32 v5, 16, v3
	s_waitcnt vmcnt(0)
	v_lshlrev_b32_e32 v21, 16, v0
	s_or_b64 exec, exec, s[62:63]
	s_and_saveexec_b64 s[62:63], s[6:7]
	s_cbranch_execz .LBB197_49
.LBB197_68:                             ;   in Loop: Header=BB197_3 Depth=1
	v_lshl_add_u64 v[0:1], v[96:97], 0, v[38:39]
	global_load_ushort v3, v[0:1], off
	v_lshl_add_u64 v[0:1], v[98:99], 0, v[38:39]
	global_load_ushort v0, v[0:1], off
	s_waitcnt vmcnt(1)
	v_lshlrev_b32_e32 v6, 16, v3
	s_waitcnt vmcnt(0)
	v_lshlrev_b32_e32 v22, 16, v0
	s_or_b64 exec, exec, s[62:63]
	s_and_saveexec_b64 s[62:63], s[6:7]
	s_cbranch_execz .LBB197_50
.LBB197_69:                             ;   in Loop: Header=BB197_3 Depth=1
	v_lshl_add_u64 v[0:1], v[92:93], 0, v[38:39]
	global_load_ushort v3, v[0:1], off
	v_lshl_add_u64 v[0:1], v[94:95], 0, v[38:39]
	global_load_ushort v0, v[0:1], off
	s_waitcnt vmcnt(1)
	v_lshlrev_b32_e32 v7, 16, v3
	s_waitcnt vmcnt(0)
	v_lshlrev_b32_e32 v23, 16, v0
	s_or_b64 exec, exec, s[62:63]
	s_and_saveexec_b64 s[62:63], s[6:7]
	s_cbranch_execz .LBB197_51
.LBB197_70:                             ;   in Loop: Header=BB197_3 Depth=1
	v_lshl_add_u64 v[0:1], v[88:89], 0, v[38:39]
	global_load_ushort v3, v[0:1], off
	v_lshl_add_u64 v[0:1], v[90:91], 0, v[38:39]
	global_load_ushort v0, v[0:1], off
	s_waitcnt vmcnt(1)
	v_lshlrev_b32_e32 v8, 16, v3
	s_waitcnt vmcnt(0)
	v_lshlrev_b32_e32 v24, 16, v0
	s_or_b64 exec, exec, s[62:63]
	s_and_saveexec_b64 s[62:63], s[6:7]
	s_cbranch_execz .LBB197_52
.LBB197_71:                             ;   in Loop: Header=BB197_3 Depth=1
	v_lshl_add_u64 v[0:1], v[84:85], 0, v[38:39]
	global_load_ushort v3, v[0:1], off
	v_lshl_add_u64 v[0:1], v[86:87], 0, v[38:39]
	global_load_ushort v0, v[0:1], off
	s_waitcnt vmcnt(1)
	v_lshlrev_b32_e32 v9, 16, v3
	s_waitcnt vmcnt(0)
	v_lshlrev_b32_e32 v25, 16, v0
	s_or_b64 exec, exec, s[62:63]
	s_and_saveexec_b64 s[62:63], s[6:7]
	s_cbranch_execz .LBB197_53
.LBB197_72:                             ;   in Loop: Header=BB197_3 Depth=1
	v_lshl_add_u64 v[0:1], v[80:81], 0, v[38:39]
	global_load_ushort v3, v[0:1], off
	v_lshl_add_u64 v[0:1], v[82:83], 0, v[38:39]
	global_load_ushort v0, v[0:1], off
	s_waitcnt vmcnt(1)
	v_lshlrev_b32_e32 v10, 16, v3
	s_waitcnt vmcnt(0)
	v_lshlrev_b32_e32 v26, 16, v0
	s_or_b64 exec, exec, s[62:63]
	s_and_saveexec_b64 s[62:63], s[6:7]
	s_cbranch_execz .LBB197_54
.LBB197_73:                             ;   in Loop: Header=BB197_3 Depth=1
	v_lshl_add_u64 v[0:1], v[76:77], 0, v[38:39]
	global_load_ushort v3, v[0:1], off
	v_lshl_add_u64 v[0:1], v[78:79], 0, v[38:39]
	global_load_ushort v0, v[0:1], off
	s_waitcnt vmcnt(1)
	v_lshlrev_b32_e32 v11, 16, v3
	s_waitcnt vmcnt(0)
	v_lshlrev_b32_e32 v27, 16, v0
	s_or_b64 exec, exec, s[62:63]
	s_and_saveexec_b64 s[62:63], s[6:7]
	s_cbranch_execz .LBB197_55
.LBB197_74:                             ;   in Loop: Header=BB197_3 Depth=1
	v_lshl_add_u64 v[0:1], v[72:73], 0, v[38:39]
	global_load_ushort v3, v[0:1], off
	v_lshl_add_u64 v[0:1], v[74:75], 0, v[38:39]
	global_load_ushort v0, v[0:1], off
	s_waitcnt vmcnt(1)
	v_lshlrev_b32_e32 v12, 16, v3
	s_waitcnt vmcnt(0)
	v_lshlrev_b32_e32 v28, 16, v0
	s_or_b64 exec, exec, s[62:63]
	s_and_saveexec_b64 s[62:63], s[6:7]
	s_cbranch_execz .LBB197_56
.LBB197_75:                             ;   in Loop: Header=BB197_3 Depth=1
	v_lshl_add_u64 v[0:1], v[68:69], 0, v[38:39]
	global_load_ushort v3, v[0:1], off
	v_lshl_add_u64 v[0:1], v[70:71], 0, v[38:39]
	global_load_ushort v0, v[0:1], off
	s_waitcnt vmcnt(1)
	v_lshlrev_b32_e32 v13, 16, v3
	s_waitcnt vmcnt(0)
	v_lshlrev_b32_e32 v29, 16, v0
	s_or_b64 exec, exec, s[62:63]
	s_and_saveexec_b64 s[62:63], s[6:7]
	s_cbranch_execz .LBB197_57
.LBB197_76:                             ;   in Loop: Header=BB197_3 Depth=1
	v_lshl_add_u64 v[0:1], v[64:65], 0, v[38:39]
	global_load_ushort v3, v[0:1], off
	v_lshl_add_u64 v[0:1], v[66:67], 0, v[38:39]
	global_load_ushort v0, v[0:1], off
	s_waitcnt vmcnt(1)
	v_lshlrev_b32_e32 v14, 16, v3
	s_waitcnt vmcnt(0)
	v_lshlrev_b32_e32 v30, 16, v0
	s_or_b64 exec, exec, s[62:63]
	s_and_saveexec_b64 s[62:63], s[6:7]
	s_cbranch_execz .LBB197_58
.LBB197_77:                             ;   in Loop: Header=BB197_3 Depth=1
	v_lshl_add_u64 v[0:1], v[60:61], 0, v[38:39]
	global_load_ushort v3, v[0:1], off
	v_lshl_add_u64 v[0:1], v[62:63], 0, v[38:39]
	global_load_ushort v0, v[0:1], off
	s_waitcnt vmcnt(1)
	v_lshlrev_b32_e32 v15, 16, v3
	s_waitcnt vmcnt(0)
	v_lshlrev_b32_e32 v31, 16, v0
	s_or_b64 exec, exec, s[62:63]
	s_and_saveexec_b64 s[62:63], s[6:7]
	s_cbranch_execz .LBB197_59
.LBB197_78:                             ;   in Loop: Header=BB197_3 Depth=1
	v_lshl_add_u64 v[0:1], v[56:57], 0, v[38:39]
	global_load_ushort v3, v[0:1], off
	v_lshl_add_u64 v[0:1], v[58:59], 0, v[38:39]
	global_load_ushort v0, v[0:1], off
	s_waitcnt vmcnt(1)
	v_lshlrev_b32_e32 v16, 16, v3
	s_waitcnt vmcnt(0)
	v_lshlrev_b32_e32 v32, 16, v0
	s_or_b64 exec, exec, s[62:63]
	s_and_saveexec_b64 s[62:63], s[6:7]
	s_cbranch_execz .LBB197_60
.LBB197_79:                             ;   in Loop: Header=BB197_3 Depth=1
	v_lshl_add_u64 v[0:1], v[52:53], 0, v[38:39]
	global_load_ushort v3, v[0:1], off
	v_lshl_add_u64 v[0:1], v[54:55], 0, v[38:39]
	global_load_ushort v0, v[0:1], off
	s_waitcnt vmcnt(1)
	v_lshlrev_b32_e32 v17, 16, v3
	s_waitcnt vmcnt(0)
	v_lshlrev_b32_e32 v33, 16, v0
	s_or_b64 exec, exec, s[62:63]
	s_and_saveexec_b64 s[62:63], s[6:7]
	s_cbranch_execz .LBB197_61
.LBB197_80:                             ;   in Loop: Header=BB197_3 Depth=1
	v_lshl_add_u64 v[0:1], v[48:49], 0, v[38:39]
	global_load_ushort v3, v[0:1], off
	v_lshl_add_u64 v[0:1], v[50:51], 0, v[38:39]
	global_load_ushort v0, v[0:1], off
	s_waitcnt vmcnt(1)
	v_lshlrev_b32_e32 v18, 16, v3
	s_waitcnt vmcnt(0)
	v_lshlrev_b32_e32 v34, 16, v0
	s_or_b64 exec, exec, s[62:63]
	s_and_saveexec_b64 s[62:63], s[6:7]
	s_cbranch_execnz .LBB197_62
	s_branch .LBB197_63
.LBB197_81:
                                        ; implicit-def: $vgpr3
	s_branch .LBB197_84
.LBB197_82:
	v_mov_b32_e32 v77, v112
.LBB197_83:
	s_cbranch_execnz .LBB197_132
.LBB197_84:
	s_and_b64 vcc, exec, s[4:5]
	v_mov_b32_e32 v3, 0
	s_cbranch_vccnz .LBB197_132
; %bb.85:
	v_mov_b32_e32 v35, v77
	v_mov_b32_e32 v2, 0
	v_bfe_u32 v25, v35, 10, 10
	v_lshlrev_b32_e32 v0, 5, v25
	v_mov_b32_e32 v1, v2
	v_lshl_add_u64 v[0:1], s[18:19], 1, v[0:1]
	v_lshl_add_u64 v[6:7], v[0:1], 0, 2
	v_mov_b64_e32 v[4:5], s[12:13]
	v_mad_u64_u32 v[8:9], s[4:5], s10, v6, v[4:5]
	v_mul_lo_u32 v3, s10, v7
	v_mul_lo_u32 v7, s11, v6
	v_add3_u32 v9, v7, v9, v3
	scratch_store_dwordx2 off, v[8:9], off  ; 8-byte Folded Spill
	v_lshl_add_u64 v[8:9], v[0:1], 0, 4
	v_mad_u64_u32 v[10:11], s[4:5], s10, v8, v[4:5]
	v_mul_lo_u32 v9, s10, v9
	v_mul_lo_u32 v20, s11, v8
	v_add3_u32 v11, v20, v11, v9
	scratch_store_dwordx2 off, v[10:11], off offset:8 ; 8-byte Folded Spill
	v_lshl_add_u64 v[10:11], v[0:1], 0, 6
	v_mad_u64_u32 v[12:13], s[4:5], s10, v10, v[4:5]
	v_mul_lo_u32 v11, s10, v11
	v_mul_lo_u32 v21, s11, v10
	v_add3_u32 v13, v21, v13, v11
	scratch_store_dwordx2 off, v[12:13], off offset:16 ; 8-byte Folded Spill
	v_lshl_add_u64 v[12:13], v[0:1], 0, 8
	v_mad_u64_u32 v[14:15], s[4:5], s10, v12, v[4:5]
	v_mul_lo_u32 v13, s10, v13
	v_mul_lo_u32 v22, s11, v12
	v_add3_u32 v15, v22, v15, v13
	scratch_store_dwordx2 off, v[14:15], off offset:24 ; 8-byte Folded Spill
	v_lshl_add_u64 v[14:15], v[0:1], 0, 10
	v_mad_u64_u32 v[16:17], s[4:5], s10, v14, v[4:5]
	v_mul_lo_u32 v15, s10, v15
	v_mul_lo_u32 v23, s11, v14
	v_add3_u32 v17, v23, v17, v15
	scratch_store_dwordx2 off, v[16:17], off offset:32 ; 8-byte Folded Spill
	v_lshl_add_u64 v[16:17], v[0:1], 0, 12
	v_mad_u64_u32 v[18:19], s[4:5], s10, v16, v[4:5]
	v_mul_lo_u32 v17, s10, v17
	v_mul_lo_u32 v24, s11, v16
	v_add3_u32 v19, v24, v19, v17
	scratch_store_dwordx2 off, v[18:19], off offset:40 ; 8-byte Folded Spill
	v_mov_b64_e32 v[18:19], s[14:15]
	v_mad_u64_u32 v[26:27], s[4:5], s10, v6, v[18:19]
	v_add3_u32 v27, v7, v27, v3
	scratch_store_dwordx2 off, v[26:27], off offset:48 ; 8-byte Folded Spill
	v_mad_u64_u32 v[26:27], s[4:5], s10, v8, v[18:19]
	v_lshl_add_u64 v[6:7], v[0:1], 0, 14
	v_add3_u32 v27, v20, v27, v9
	scratch_store_dwordx2 off, v[26:27], off offset:56 ; 8-byte Folded Spill
	v_mad_u64_u32 v[8:9], s[4:5], s10, v6, v[4:5]
	v_mad_u64_u32 v[26:27], s[4:5], s10, v10, v[18:19]
	v_mul_lo_u32 v3, s10, v7
	v_mul_lo_u32 v7, s11, v6
	v_add3_u32 v27, v21, v27, v11
	v_add3_u32 v9, v7, v9, v3
	v_mad_u64_u32 v[10:11], s[4:5], s10, v14, v[18:19]
	scratch_store_dwordx2 off, v[8:9], off offset:64 ; 8-byte Folded Spill
	v_mad_u64_u32 v[8:9], s[4:5], s10, v12, v[18:19]
	v_add3_u32 v11, v23, v11, v15
	v_add3_u32 v9, v22, v9, v13
	scratch_store_dwordx2 off, v[10:11], off offset:88 ; 8-byte Folded Spill
	v_mad_u64_u32 v[10:11], s[4:5], s10, v16, v[18:19]
	scratch_store_dwordx2 off, v[8:9], off offset:80 ; 8-byte Folded Spill
	v_lshl_add_u64 v[8:9], v[0:1], 0, 16
	v_add3_u32 v11, v24, v11, v17
	v_mad_u64_u32 v[12:13], s[4:5], s10, v8, v[4:5]
	scratch_store_dwordx2 off, v[10:11], off offset:104 ; 8-byte Folded Spill
	v_mul_lo_u32 v9, s10, v9
	v_mul_lo_u32 v10, s11, v8
	v_add3_u32 v13, v10, v13, v9
	scratch_store_dwordx2 off, v[12:13], off offset:96 ; 8-byte Folded Spill
	v_mad_u64_u32 v[12:13], s[4:5], s10, v6, v[18:19]
	v_add3_u32 v13, v7, v13, v3
	scratch_store_dwordx2 off, v[12:13], off offset:112 ; 8-byte Folded Spill
	v_lshl_add_u64 v[6:7], v[0:1], 0, 18
	v_mad_u64_u32 v[12:13], s[4:5], s10, v8, v[18:19]
	v_add3_u32 v13, v10, v13, v9
	v_mul_lo_u32 v3, s10, v7
	v_mul_lo_u32 v7, s11, v6
	v_mad_u64_u32 v[8:9], s[4:5], s10, v6, v[4:5]
	v_add3_u32 v9, v7, v9, v3
	scratch_store_dwordx2 off, v[8:9], off offset:128 ; 8-byte Folded Spill
	v_mad_u64_u32 v[8:9], s[4:5], s10, v6, v[18:19]
	v_add3_u32 v9, v7, v9, v3
	v_lshl_add_u64 v[6:7], v[0:1], 0, 20
	scratch_store_dwordx2 off, v[8:9], off offset:136 ; 8-byte Folded Spill
	v_mul_lo_u32 v3, s10, v7
	v_mul_lo_u32 v7, s11, v6
	v_mad_u64_u32 v[8:9], s[4:5], s10, v6, v[4:5]
	v_add3_u32 v9, v7, v9, v3
	scratch_store_dwordx2 off, v[8:9], off offset:144 ; 8-byte Folded Spill
	v_mad_u64_u32 v[8:9], s[4:5], s10, v6, v[18:19]
	v_add3_u32 v9, v7, v9, v3
	v_lshl_add_u64 v[6:7], v[0:1], 0, 22
	scratch_store_dwordx2 off, v[8:9], off offset:152 ; 8-byte Folded Spill
	v_mul_lo_u32 v3, s10, v7
	v_mul_lo_u32 v7, s11, v6
	v_mad_u64_u32 v[8:9], s[4:5], s10, v6, v[4:5]
	v_mad_u64_u32 v[78:79], s[4:5], s10, v6, v[18:19]
	v_add3_u32 v9, v7, v9, v3
	v_add3_u32 v79, v7, v79, v3
	v_lshl_add_u64 v[6:7], v[0:1], 0, 24
	v_mul_lo_u32 v3, s10, v7
	v_mul_lo_u32 v7, s11, v6
	v_mad_u64_u32 v[80:81], s[4:5], s10, v6, v[4:5]
	v_mad_u64_u32 v[82:83], s[4:5], s10, v6, v[18:19]
	v_add3_u32 v81, v7, v81, v3
	v_add3_u32 v83, v7, v83, v3
	v_lshl_add_u64 v[6:7], v[0:1], 0, 26
	;; [unrolled: 7-line block ×3, first 2 shown]
	v_lshl_add_u64 v[0:1], v[0:1], 0, 30
	v_mad_u64_u32 v[92:93], s[4:5], s10, v0, v[4:5]
	v_mad_u64_u32 v[94:95], s[4:5], s10, v0, v[18:19]
	v_mul_lo_u32 v1, s10, v1
	v_mul_lo_u32 v0, s11, v0
	;; [unrolled: 1-line block ×4, first 2 shown]
	v_mad_u64_u32 v[88:89], s[4:5], s10, v6, v[4:5]
	v_mad_u64_u32 v[90:91], s[4:5], s10, v6, v[18:19]
	v_add3_u32 v93, v0, v93, v1
	v_add3_u32 v95, v0, v95, v1
	v_lshlrev_b32_e32 v0, 4, v25
	v_mov_b32_e32 v1, v2
	v_add3_u32 v89, v7, v89, v3
	v_add3_u32 v91, v7, v91, v3
	v_lshl_add_u64 v[6:7], v[0:1], 0, s[18:19]
	scratch_store_dwordx2 off, v[0:1], off offset:168 ; 8-byte Folded Spill
	v_lshl_add_u64 v[0:1], v[6:7], 0, 15
	v_mul_lo_u32 v3, s11, v0
	v_mul_lo_u32 v4, s10, v1
	v_mad_u64_u32 v[0:1], s[4:5], s10, v0, 0
	v_add3_u32 v1, v1, v4, v3
	v_lshl_add_u64 v[4:5], v[6:7], 0, 14
	scratch_store_dwordx2 off, v[8:9], off offset:160 ; 8-byte Folded Spill
	v_mul_lo_u32 v3, s11, v4
	v_mul_lo_u32 v8, s10, v5
	v_mad_u64_u32 v[4:5], s[4:5], s10, v4, 0
	v_add3_u32 v5, v5, v8, v3
	v_lshl_add_u64 v[8:9], v[6:7], 0, 13
	v_mul_lo_u32 v3, s11, v8
	v_mul_lo_u32 v10, s10, v9
	v_mad_u64_u32 v[8:9], s[4:5], s10, v8, 0
	v_add3_u32 v9, v9, v10, v3
	v_lshl_add_u64 v[10:11], v[6:7], 0, 12
	scratch_store_dwordx2 off, v[12:13], off offset:120 ; 8-byte Folded Spill
	v_mul_lo_u32 v3, s11, v10
	v_mul_lo_u32 v12, s10, v11
	v_mad_u64_u32 v[10:11], s[4:5], s10, v10, 0
	v_add3_u32 v11, v11, v12, v3
	v_lshl_add_u64 v[12:13], v[6:7], 0, 11
	v_mul_lo_u32 v3, s11, v12
	v_mul_lo_u32 v14, s10, v13
	v_mad_u64_u32 v[12:13], s[4:5], s10, v12, 0
	v_add3_u32 v13, v13, v14, v3
	v_lshl_add_u64 v[14:15], v[6:7], 0, 10
	;; [unrolled: 5-line block ×7, first 2 shown]
	scratch_store_dwordx2 off, v[26:27], off offset:72 ; 8-byte Folded Spill
	v_mul_lo_u32 v3, s11, v24
	v_mul_lo_u32 v26, s10, v25
	v_mad_u64_u32 v[24:25], s[4:5], s10, v24, 0
	v_add3_u32 v25, v25, v26, v3
	v_lshl_add_u64 v[26:27], v[6:7], 0, 4
	v_mul_lo_u32 v3, s11, v26
	v_mul_lo_u32 v28, s10, v27
	v_mad_u64_u32 v[26:27], s[4:5], s10, v26, 0
	v_add3_u32 v27, v27, v28, v3
	v_lshl_add_u64 v[28:29], v[6:7], 0, 3
	;; [unrolled: 5-line block ×3, first 2 shown]
	s_load_dword s3, s[0:1], 0x44
	v_lshlrev_b64 v[0:1], 1, v[0:1]
	v_mul_lo_u32 v3, s11, v30
	v_mul_lo_u32 v32, s10, v31
	v_mad_u64_u32 v[30:31], s[4:5], s10, v30, 0
	v_lshl_add_u64 v[104:105], s[12:13], 0, v[0:1]
	v_lshl_add_u64 v[106:107], s[14:15], 0, v[0:1]
	v_lshlrev_b64 v[0:1], 1, v[4:5]
	v_lshlrev_b64 v[4:5], 1, v[18:19]
	v_add3_u32 v31, v31, v32, v3
	v_mov_b64_e32 v[32:33], s[10:11]
	v_lshl_add_u64 v[36:37], s[12:13], 0, v[4:5]
	v_lshl_add_u64 v[38:39], s[14:15], 0, v[4:5]
	v_lshlrev_b64 v[4:5], 1, v[20:21]
	v_mad_u64_u32 v[32:33], s[4:5], s10, v6, v[32:33]
	v_mul_lo_u32 v3, s11, v6
	v_mul_lo_u32 v34, s10, v7
	v_mad_u64_u32 v[6:7], s[4:5], s10, v6, 0
	v_lshl_add_u64 v[40:41], s[12:13], 0, v[4:5]
	v_lshl_add_u64 v[42:43], s[14:15], 0, v[4:5]
	v_lshlrev_b64 v[4:5], 1, v[22:23]
	s_add_u32 s4, s0, 64
	v_lshl_add_u64 v[108:109], s[12:13], 0, v[0:1]
	v_lshl_add_u64 v[110:111], s[14:15], 0, v[0:1]
	v_lshlrev_b64 v[0:1], 1, v[8:9]
	v_lshl_add_u64 v[44:45], s[12:13], 0, v[4:5]
	v_lshl_add_u64 v[46:47], s[14:15], 0, v[4:5]
	v_lshlrev_b64 v[4:5], 1, v[24:25]
	s_addc_u32 s5, s1, 0
	s_waitcnt lgkmcnt(0)
	s_lshl_b32 s3, s3, 8
	v_lshl_add_u64 v[112:113], s[12:13], 0, v[0:1]
	v_lshl_add_u64 v[114:115], s[14:15], 0, v[0:1]
	v_lshlrev_b64 v[0:1], 1, v[10:11]
	v_lshl_add_u64 v[48:49], s[12:13], 0, v[4:5]
	v_lshl_add_u64 v[50:51], s[14:15], 0, v[4:5]
	v_lshlrev_b64 v[4:5], 1, v[26:27]
	v_add3_u32 v7, v7, v34, v3
	v_add3_u32 v33, v3, v33, v34
	v_and_b32_e32 v3, 0x3ff, v35
	s_mul_i32 s6, s11, s3
	s_mul_hi_u32 s7, s10, s3
	v_lshl_add_u64 v[116:117], s[12:13], 0, v[0:1]
	v_lshl_add_u64 v[118:119], s[14:15], 0, v[0:1]
	v_lshlrev_b64 v[0:1], 1, v[12:13]
	v_lshl_add_u64 v[52:53], s[12:13], 0, v[4:5]
	v_lshl_add_u64 v[54:55], s[14:15], 0, v[4:5]
	v_lshlrev_b64 v[4:5], 1, v[28:29]
	scratch_store_dword off, v3, off offset:176 ; 4-byte Folded Spill
	v_add_u32_e32 v34, s33, v3
	s_add_i32 s7, s7, s6
	s_mul_i32 s6, s10, s3
	v_lshl_add_u64 v[120:121], s[12:13], 0, v[0:1]
	v_lshl_add_u64 v[122:123], s[14:15], 0, v[0:1]
	v_lshlrev_b64 v[0:1], 1, v[14:15]
	v_lshl_add_u64 v[56:57], s[12:13], 0, v[4:5]
	v_lshl_add_u64 v[58:59], s[14:15], 0, v[4:5]
	v_lshlrev_b64 v[4:5], 1, v[30:31]
	v_mbcnt_lo_u32_b32 v3, -1, 0
	v_lshlrev_b64 v[6:7], 1, v[6:7]
	s_lshl_b64 s[6:7], s[6:7], 1
	v_lshl_add_u64 v[124:125], s[12:13], 0, v[0:1]
	v_lshl_add_u64 v[126:127], s[14:15], 0, v[0:1]
	v_lshlrev_b64 v[0:1], 1, v[16:17]
	v_lshl_add_u64 v[60:61], s[12:13], 0, v[4:5]
	v_lshl_add_u64 v[62:63], s[14:15], 0, v[4:5]
	v_lshlrev_b64 v[4:5], 1, v[32:33]
	v_mbcnt_hi_u32_b32 v3, -1, v3
	v_mov_b32_e32 v35, v2
	v_lshl_add_u64 v[100:101], s[12:13], 0, v[6:7]
	v_lshl_add_u64 v[102:103], s[14:15], 0, v[6:7]
	s_add_u32 s20, s18, 0xff
	v_lshl_add_u64 v[96:97], s[12:13], 0, v[0:1]
	v_lshl_add_u64 v[0:1], s[14:15], 0, v[0:1]
	;; [unrolled: 1-line block ×4, first 2 shown]
	s_movk_i32 s12, 0xff01
	s_movk_i32 s14, 0xff02
	;; [unrolled: 1-line block ×16, first 2 shown]
	v_lshlrev_b32_e32 v3, 2, v3
	v_lshlrev_b64 v[98:99], 1, v[34:35]
	s_addc_u32 s21, 0, 0
	s_mov_b32 s13, -1
	s_mov_b32 s15, -1
	;; [unrolled: 1-line block ×16, first 2 shown]
	v_and_b32_e32 v70, 0x100, v3
	v_mov_b32_e32 v71, 0
.LBB197_86:                             ; =>This Inner Loop Header: Depth=1
	v_mov_b64_e32 v[4:5], s[8:9]
	v_cmp_ge_i64_e32 vcc, s[20:21], v[4:5]
	scratch_load_dwordx2 v[4:5], off, off offset:168 ; 8-byte Folded Reload
	s_mov_b64 s[52:53], -1
                                        ; implicit-def: $vgpr3
	s_waitcnt vmcnt(0)
	v_lshl_add_u64 v[68:69], v[4:5], 0, s[20:21]
	s_cbranch_vccz .LBB197_124
; %bb.87:                               ;   in Loop: Header=BB197_86 Depth=1
	scratch_load_dword v4, off, off offset:176 ; 4-byte Folded Reload
	s_load_dword s33, s[4:5], 0xc
	v_bfe_u32 v3, v77, 10, 10
	v_mov_b32_e32 v72, 0
	s_waitcnt lgkmcnt(0)
	s_and_b32 s33, s33, 0xffff
	s_waitcnt vmcnt(0)
	v_mad_u32_u24 v3, v3, s33, v4
	v_and_b32_e32 v4, 63, v3
	v_cmp_gt_u32_e32 vcc, 16, v4
	s_and_saveexec_b64 s[52:53], vcc
	s_cbranch_execz .LBB197_91
; %bb.88:                               ;   in Loop: Header=BB197_86 Depth=1
	v_mov_b32_e32 v5, v2
	v_lshl_add_u64 v[4:5], v[68:69], 0, v[4:5]
	v_lshl_add_u64 v[4:5], v[4:5], 0, s[12:13]
	v_cmp_gt_i64_e32 vcc, s[8:9], v[4:5]
	v_mov_b32_e32 v72, 0
	s_and_saveexec_b64 s[54:55], vcc
	s_cbranch_execz .LBB197_90
; %bb.89:                               ;   in Loop: Header=BB197_86 Depth=1
	v_lshl_add_u64 v[4:5], v[4:5], 2, s[16:17]
	global_load_dword v72, v[4:5], off
.LBB197_90:                             ;   in Loop: Header=BB197_86 Depth=1
	s_or_b64 exec, exec, s[54:55]
.LBB197_91:                             ;   in Loop: Header=BB197_86 Depth=1
	s_or_b64 exec, exec, s[52:53]
	v_lshl_add_u64 v[4:5], v[68:69], 0, s[12:13]
	v_mov_b32_e32 v16, v2
	v_mov_b32_e32 v17, v2
	v_cmp_gt_i64_e32 vcc, s[8:9], v[4:5]
	v_mov_b32_e32 v3, v2
	v_mov_b32_e32 v4, v2
	;; [unrolled: 1-line block ×13, first 2 shown]
	v_mov_b64_e32 v[34:35], v[16:17]
	v_mov_b64_e32 v[32:33], v[14:15]
	v_mov_b64_e32 v[30:31], v[12:13]
	v_mov_b64_e32 v[28:29], v[10:11]
	v_mov_b64_e32 v[26:27], v[8:9]
	v_mov_b64_e32 v[24:25], v[6:7]
	v_mov_b64_e32 v[22:23], v[4:5]
	v_mov_b64_e32 v[20:21], v[2:3]
	v_mov_b64_e32 v[18:19], v[16:17]
	v_mov_b64_e32 v[16:17], v[14:15]
	v_mov_b64_e32 v[14:15], v[12:13]
	v_mov_b64_e32 v[12:13], v[10:11]
	v_mov_b64_e32 v[10:11], v[8:9]
	v_mov_b64_e32 v[8:9], v[6:7]
	v_mov_b64_e32 v[6:7], v[4:5]
	v_mov_b64_e32 v[4:5], v[2:3]
	s_and_saveexec_b64 s[52:53], vcc
	s_cbranch_execz .LBB197_93
; %bb.92:                               ;   in Loop: Header=BB197_86 Depth=1
	v_lshl_add_u64 v[4:5], v[100:101], 0, v[98:99]
	global_load_ushort v3, v[4:5], off
	v_lshl_add_u64 v[4:5], v[102:103], 0, v[98:99]
	global_load_ushort v20, v[4:5], off
	v_mov_b32_e32 v5, v2
	v_mov_b32_e32 v6, v2
	;; [unrolled: 1-line block ×30, first 2 shown]
	s_waitcnt vmcnt(1)
	v_lshlrev_b32_e32 v4, 16, v3
	s_waitcnt vmcnt(0)
	v_lshlrev_b32_e32 v20, 16, v20
.LBB197_93:                             ;   in Loop: Header=BB197_86 Depth=1
	s_or_b64 exec, exec, s[52:53]
	v_lshl_add_u64 v[74:75], v[68:69], 0, s[14:15]
	v_cmp_gt_i64_e32 vcc, s[8:9], v[74:75]
	s_and_saveexec_b64 s[52:53], vcc
	s_cbranch_execz .LBB197_95
; %bb.94:                               ;   in Loop: Header=BB197_86 Depth=1
	v_lshl_add_u64 v[74:75], v[64:65], 0, v[98:99]
	global_load_ushort v3, v[74:75], off
	v_lshl_add_u64 v[74:75], v[66:67], 0, v[98:99]
	global_load_ushort v21, v[74:75], off
	s_waitcnt vmcnt(1)
	v_lshlrev_b32_e32 v5, 16, v3
	s_waitcnt vmcnt(0)
	v_lshlrev_b32_e32 v21, 16, v21
.LBB197_95:                             ;   in Loop: Header=BB197_86 Depth=1
	s_or_b64 exec, exec, s[52:53]
	v_lshl_add_u64 v[74:75], v[68:69], 0, s[22:23]
	v_cmp_gt_i64_e32 vcc, s[8:9], v[74:75]
	s_and_saveexec_b64 s[52:53], vcc
	s_cbranch_execz .LBB197_97
; %bb.96:                               ;   in Loop: Header=BB197_86 Depth=1
	v_lshl_add_u64 v[74:75], v[60:61], 0, v[98:99]
	global_load_ushort v3, v[74:75], off
	v_lshl_add_u64 v[74:75], v[62:63], 0, v[98:99]
	global_load_ushort v22, v[74:75], off
	s_waitcnt vmcnt(1)
	v_lshlrev_b32_e32 v6, 16, v3
	s_waitcnt vmcnt(0)
	v_lshlrev_b32_e32 v22, 16, v22
.LBB197_97:                             ;   in Loop: Header=BB197_86 Depth=1
	;; [unrolled: 15-line block ×3, first 2 shown]
	s_or_b64 exec, exec, s[52:53]
	v_lshl_add_u64 v[74:75], v[68:69], 0, s[26:27]
	v_cmp_gt_i64_e32 vcc, s[8:9], v[74:75]
	s_and_saveexec_b64 s[52:53], vcc
	s_cbranch_execz .LBB197_101
; %bb.100:                              ;   in Loop: Header=BB197_86 Depth=1
	v_lshl_add_u64 v[74:75], v[52:53], 0, v[98:99]
	global_load_ushort v3, v[74:75], off
	v_lshl_add_u64 v[74:75], v[54:55], 0, v[98:99]
	global_load_ushort v24, v[74:75], off
	s_waitcnt vmcnt(1)
	v_lshlrev_b32_e32 v8, 16, v3
	s_waitcnt vmcnt(0)
	v_lshlrev_b32_e32 v24, 16, v24
.LBB197_101:                            ;   in Loop: Header=BB197_86 Depth=1
	s_or_b64 exec, exec, s[52:53]
	v_lshl_add_u64 v[74:75], v[68:69], 0, s[28:29]
	v_cmp_gt_i64_e32 vcc, s[8:9], v[74:75]
	s_and_saveexec_b64 s[52:53], vcc
	s_cbranch_execz .LBB197_103
; %bb.102:                              ;   in Loop: Header=BB197_86 Depth=1
	v_lshl_add_u64 v[74:75], v[48:49], 0, v[98:99]
	global_load_ushort v3, v[74:75], off
	v_lshl_add_u64 v[74:75], v[50:51], 0, v[98:99]
	global_load_ushort v25, v[74:75], off
	s_waitcnt vmcnt(1)
	v_lshlrev_b32_e32 v9, 16, v3
	s_waitcnt vmcnt(0)
	v_lshlrev_b32_e32 v25, 16, v25
.LBB197_103:                            ;   in Loop: Header=BB197_86 Depth=1
	;; [unrolled: 15-line block ×12, first 2 shown]
	s_or_b64 exec, exec, s[52:53]
	s_waitcnt vmcnt(0)
	ds_bpermute_b32 v3, v70, v72
	v_mul_f32_e32 v4, v20, v4
	v_mul_f32_e32 v5, v21, v5
	v_pk_mul_f32 v[8:9], v[24:25], v[8:9]
	v_pk_mul_f32 v[10:11], v[26:27], v[10:11]
	s_waitcnt lgkmcnt(0)
	v_fma_f32 v3, v4, v3, v71
	ds_bpermute_b32 v4, v70, v72 offset:4
	v_pk_mul_f32 v[12:13], v[28:29], v[12:13]
	v_pk_mul_f32 v[14:15], v[30:31], v[14:15]
	;; [unrolled: 1-line block ×3, first 2 shown]
	s_mov_b64 s[52:53], 0
	s_waitcnt lgkmcnt(0)
	v_fmac_f32_e32 v3, v5, v4
	ds_bpermute_b32 v4, v70, v72 offset:8
	v_mul_f32_e32 v5, v22, v6
	ds_bpermute_b32 v6, v70, v72 offset:16
	s_waitcnt lgkmcnt(1)
	v_fmac_f32_e32 v3, v5, v4
	ds_bpermute_b32 v4, v70, v72 offset:12
	v_mul_f32_e32 v5, v23, v7
	ds_bpermute_b32 v7, v70, v72 offset:20
	s_waitcnt lgkmcnt(1)
	v_fmac_f32_e32 v3, v5, v4
	v_pk_mul_f32 v[4:5], v[34:35], v[18:19]
	s_waitcnt lgkmcnt(0)
	v_pk_mul_f32 v[6:7], v[8:9], v[6:7]
	s_nop 0
	v_add_f32_e32 v3, v3, v6
	v_add_f32_e32 v3, v3, v7
	ds_bpermute_b32 v6, v70, v72 offset:24
	ds_bpermute_b32 v7, v70, v72 offset:28
	s_waitcnt lgkmcnt(0)
	v_pk_mul_f32 v[6:7], v[10:11], v[6:7]
	s_nop 0
	v_add_f32_e32 v3, v3, v6
	v_add_f32_e32 v3, v3, v7
	ds_bpermute_b32 v6, v70, v72 offset:32
	ds_bpermute_b32 v7, v70, v72 offset:36
	;; [unrolled: 7-line block ×5, first 2 shown]
	s_waitcnt lgkmcnt(0)
	v_pk_mul_f32 v[4:5], v[4:5], v[6:7]
	s_nop 0
	v_add_f32_e32 v3, v3, v4
	v_add_f32_e32 v3, v3, v5
.LBB197_124:                            ;   in Loop: Header=BB197_86 Depth=1
	s_and_b64 vcc, exec, s[52:53]
	s_cbranch_vccz .LBB197_130
; %bb.125:                              ;   in Loop: Header=BB197_86 Depth=1
	s_load_dword s33, s[4:5], 0x0
	scratch_load_dword v5, off, off offset:176 ; 4-byte Folded Reload
	v_bfe_u32 v4, v77, 10, 10
	s_waitcnt lgkmcnt(0)
	s_cmp_lt_u32 s2, s33
	s_cselect_b32 s33, 12, 18
	s_add_u32 s52, s4, s33
	s_addc_u32 s53, s5, 0
	global_load_ushort v3, v2, s[52:53]
	s_waitcnt vmcnt(0)
	v_mad_u32_u24 v3, v4, v3, v5
	v_and_b32_e32 v4, 63, v3
	v_cmp_gt_u32_e32 vcc, 16, v4
	v_mov_b32_e32 v3, 0
	s_and_saveexec_b64 s[52:53], vcc
	s_cbranch_execz .LBB197_129
; %bb.126:                              ;   in Loop: Header=BB197_86 Depth=1
	v_mov_b32_e32 v5, v2
	v_lshl_add_u64 v[4:5], v[68:69], 0, v[4:5]
	v_lshl_add_u64 v[4:5], v[4:5], 0, s[12:13]
	v_cmp_gt_i64_e32 vcc, s[8:9], v[4:5]
	v_mov_b32_e32 v3, 0
	s_and_saveexec_b64 s[54:55], vcc
	s_cbranch_execz .LBB197_128
; %bb.127:                              ;   in Loop: Header=BB197_86 Depth=1
	v_lshl_add_u64 v[4:5], v[4:5], 2, s[16:17]
	global_load_dword v3, v[4:5], off
.LBB197_128:                            ;   in Loop: Header=BB197_86 Depth=1
	s_or_b64 exec, exec, s[54:55]
.LBB197_129:                            ;   in Loop: Header=BB197_86 Depth=1
	s_or_b64 exec, exec, s[52:53]
	v_lshl_add_u64 v[4:5], v[100:101], 0, v[98:99]
	global_load_ushort v12, v[4:5], off
	v_lshl_add_u64 v[4:5], v[102:103], 0, v[98:99]
	global_load_ushort v13, v[4:5], off
	s_nop 0
	scratch_load_dwordx2 v[4:5], off, off   ; 8-byte Folded Reload
	s_waitcnt vmcnt(3)
	ds_bpermute_b32 v76, v70, v3 offset:12
	s_waitcnt vmcnt(2)
	v_lshlrev_b32_e32 v12, 16, v12
	s_waitcnt vmcnt(1)
	v_lshlrev_b32_e32 v13, 16, v13
	s_waitcnt vmcnt(0)
	v_lshl_add_u64 v[4:5], v[4:5], 0, v[98:99]
	global_load_ushort v14, v[4:5], off
	s_nop 0
	scratch_load_dwordx2 v[4:5], off, off offset:48 ; 8-byte Folded Reload
	v_mul_f32_e32 v12, v12, v13
	s_waitcnt vmcnt(1)
	v_lshlrev_b32_e32 v14, 16, v14
	s_waitcnt vmcnt(0)
	v_lshl_add_u64 v[4:5], v[4:5], 0, v[98:99]
	global_load_ushort v15, v[4:5], off
	s_nop 0
	scratch_load_dwordx2 v[4:5], off, off offset:8 ; 8-byte Folded Reload
	s_waitcnt vmcnt(1)
	v_lshlrev_b32_e32 v15, 16, v15
	s_waitcnt vmcnt(0)
	v_lshl_add_u64 v[4:5], v[4:5], 0, v[98:99]
	global_load_ushort v16, v[4:5], off
	s_nop 0
	scratch_load_dwordx2 v[4:5], off, off offset:56 ; 8-byte Folded Reload
	v_mul_f32_e32 v13, v14, v15
	s_waitcnt vmcnt(1)
	v_lshlrev_b32_e32 v16, 16, v16
	s_waitcnt vmcnt(0)
	v_lshl_add_u64 v[4:5], v[4:5], 0, v[98:99]
	global_load_ushort v17, v[4:5], off
	s_nop 0
	scratch_load_dwordx2 v[4:5], off, off offset:16 ; 8-byte Folded Reload
	;; [unrolled: 15-line block ×3, first 2 shown]
	s_waitcnt vmcnt(1)
	v_lshlrev_b32_e32 v19, 16, v19
	s_waitcnt vmcnt(0)
	v_lshl_add_u64 v[4:5], v[4:5], 0, v[98:99]
	global_load_ushort v20, v[4:5], off
	s_nop 0
	scratch_load_dwordx2 v[4:5], off, off offset:24 ; 8-byte Folded Reload
	scratch_load_dwordx2 v[6:7], off, off offset:80 ; 8-byte Folded Reload
	;; [unrolled: 1-line block ×3, first 2 shown]
	v_mul_f32_e32 v15, v18, v19
	s_waitcnt vmcnt(2)
	v_lshl_add_u64 v[4:5], v[4:5], 0, v[98:99]
	s_waitcnt vmcnt(1)
	v_lshl_add_u64 v[6:7], v[6:7], 0, v[98:99]
	;; [unrolled: 2-line block ×3, first 2 shown]
	global_load_ushort v21, v[4:5], off
	global_load_ushort v22, v[8:9], off
	;; [unrolled: 1-line block ×3, first 2 shown]
	s_nop 0
	scratch_load_dwordx2 v[4:5], off, off offset:40 ; 8-byte Folded Reload
	scratch_load_dwordx2 v[6:7], off, off offset:104 ; 8-byte Folded Reload
	;; [unrolled: 1-line block ×4, first 2 shown]
	s_waitcnt vmcnt(3)
	v_lshl_add_u64 v[4:5], v[4:5], 0, v[98:99]
	s_waitcnt vmcnt(2)
	v_lshl_add_u64 v[6:7], v[6:7], 0, v[98:99]
	;; [unrolled: 2-line block ×4, first 2 shown]
	global_load_ushort v24, v[8:9], off
	global_load_ushort v25, v[4:5], off
	;; [unrolled: 1-line block ×4, first 2 shown]
	s_nop 0
	scratch_load_dwordx2 v[4:5], off, off offset:96 ; 8-byte Folded Reload
	scratch_load_dwordx2 v[6:7], off, off offset:120 ; 8-byte Folded Reload
	;; [unrolled: 1-line block ×4, first 2 shown]
	s_waitcnt vmcnt(3)
	v_lshl_add_u64 v[4:5], v[4:5], 0, v[98:99]
	s_waitcnt vmcnt(2)
	v_lshl_add_u64 v[6:7], v[6:7], 0, v[98:99]
	;; [unrolled: 2-line block ×4, first 2 shown]
	global_load_ushort v28, v[8:9], off
	global_load_ushort v29, v[4:5], off
	;; [unrolled: 1-line block ×4, first 2 shown]
	s_nop 0
	scratch_load_dwordx2 v[4:5], off, off offset:144 ; 8-byte Folded Reload
	scratch_load_dwordx2 v[6:7], off, off offset:152 ; 8-byte Folded Reload
	;; [unrolled: 1-line block ×3, first 2 shown]
	v_lshl_add_u64 v[10:11], v[78:79], 0, v[98:99]
	s_waitcnt vmcnt(2)
	v_lshl_add_u64 v[4:5], v[4:5], 0, v[98:99]
	s_waitcnt vmcnt(1)
	;; [unrolled: 2-line block ×3, first 2 shown]
	v_lshl_add_u64 v[8:9], v[8:9], 0, v[98:99]
	global_load_ushort v32, v[8:9], off
	global_load_ushort v33, v[4:5], off
	;; [unrolled: 1-line block ×4, first 2 shown]
	v_lshl_add_u64 v[8:9], v[84:85], 0, v[98:99]
	v_lshl_add_u64 v[4:5], v[80:81], 0, v[98:99]
	;; [unrolled: 1-line block ×4, first 2 shown]
	global_load_ushort v68, v[8:9], off
	global_load_ushort v69, v[4:5], off
	;; [unrolled: 1-line block ×4, first 2 shown]
	v_lshl_add_u64 v[8:9], v[92:93], 0, v[98:99]
	v_lshl_add_u64 v[10:11], v[94:95], 0, v[98:99]
	;; [unrolled: 1-line block ×4, first 2 shown]
	global_load_ushort v74, v[8:9], off
	global_load_ushort v75, v[4:5], off
	s_nop 0
	global_load_ushort v10, v[10:11], off
	s_nop 0
	global_load_ushort v11, v[6:7], off
	ds_bpermute_b32 v6, v70, v3
	ds_bpermute_b32 v8, v70, v3 offset:4
	ds_bpermute_b32 v9, v70, v3 offset:8
	;; [unrolled: 1-line block ×4, first 2 shown]
	s_waitcnt lgkmcnt(4)
	v_fmac_f32_e32 v71, v12, v6
	s_waitcnt lgkmcnt(3)
	v_fmac_f32_e32 v71, v13, v8
	v_lshlrev_b32_e32 v7, 16, v20
	s_waitcnt lgkmcnt(2)
	v_fmac_f32_e32 v71, v14, v9
	v_lshlrev_b32_e32 v6, 16, v21
	v_lshlrev_b32_e32 v9, 16, v22
	;; [unrolled: 1-line block ×3, first 2 shown]
	v_pk_mul_f32 v[6:7], v[6:7], v[8:9]
	v_fmac_f32_e32 v71, v15, v76
	s_waitcnt lgkmcnt(0)
	v_pk_mul_f32 v[4:5], v[6:7], v[4:5]
	v_lshlrev_b32_e32 v7, 16, v24
	v_add_f32_e32 v4, v71, v4
	v_add_f32_e32 v12, v4, v5
	ds_bpermute_b32 v4, v70, v3 offset:24
	ds_bpermute_b32 v5, v70, v3 offset:28
	v_lshlrev_b32_e32 v6, 16, v25
	v_lshlrev_b32_e32 v9, 16, v26
	;; [unrolled: 1-line block ×3, first 2 shown]
	v_pk_mul_f32 v[6:7], v[6:7], v[8:9]
	v_lshlrev_b32_e32 v9, 16, v30
	s_waitcnt lgkmcnt(0)
	v_pk_mul_f32 v[4:5], v[6:7], v[4:5]
	v_lshlrev_b32_e32 v7, 16, v28
	v_add_f32_e32 v4, v12, v4
	v_add_f32_e32 v12, v4, v5
	ds_bpermute_b32 v4, v70, v3 offset:32
	ds_bpermute_b32 v5, v70, v3 offset:36
	v_lshlrev_b32_e32 v6, 16, v29
	v_lshlrev_b32_e32 v8, 16, v31
	v_pk_mul_f32 v[6:7], v[6:7], v[8:9]
	s_waitcnt vmcnt(9)
	v_lshlrev_b32_e32 v9, 16, v34
	s_waitcnt lgkmcnt(0)
	v_pk_mul_f32 v[4:5], v[6:7], v[4:5]
	v_lshlrev_b32_e32 v7, 16, v32
	v_add_f32_e32 v4, v12, v4
	v_add_f32_e32 v12, v4, v5
	ds_bpermute_b32 v4, v70, v3 offset:40
	ds_bpermute_b32 v5, v70, v3 offset:44
	v_lshlrev_b32_e32 v6, 16, v33
	s_waitcnt vmcnt(8)
	v_lshlrev_b32_e32 v8, 16, v35
	v_pk_mul_f32 v[6:7], v[6:7], v[8:9]
	s_waitcnt vmcnt(5)
	v_lshlrev_b32_e32 v9, 16, v72
	s_waitcnt lgkmcnt(0)
	v_pk_mul_f32 v[4:5], v[6:7], v[4:5]
	v_lshlrev_b32_e32 v7, 16, v68
	v_add_f32_e32 v4, v12, v4
	v_add_f32_e32 v12, v4, v5
	ds_bpermute_b32 v4, v70, v3 offset:48
	ds_bpermute_b32 v5, v70, v3 offset:52
	v_lshlrev_b32_e32 v6, 16, v69
	s_waitcnt vmcnt(4)
	;; [unrolled: 13-line block ×3, first 2 shown]
	v_lshlrev_b32_e32 v8, 16, v11
	v_pk_mul_f32 v[6:7], v[6:7], v[8:9]
	s_waitcnt lgkmcnt(0)
	v_pk_mul_f32 v[4:5], v[6:7], v[4:5]
	s_nop 0
	v_add_f32_e32 v3, v12, v4
	v_add_f32_e32 v3, v3, v5
.LBB197_130:                            ;   in Loop: Header=BB197_86 Depth=1
	s_add_u32 s18, s18, s3
	s_addc_u32 s19, s19, 0
	v_mov_b64_e32 v[4:5], s[8:9]
	v_cmp_ge_i64_e32 vcc, s[18:19], v[4:5]
	scratch_load_dwordx2 v[4:5], off, off   ; 8-byte Folded Reload
	s_add_u32 s20, s20, s3
	v_lshl_add_u64 v[100:101], v[100:101], 0, s[6:7]
	v_lshl_add_u64 v[102:103], v[102:103], 0, s[6:7]
	s_addc_u32 s21, s21, 0
	v_lshl_add_u64 v[80:81], v[80:81], 0, s[6:7]
	v_lshl_add_u64 v[84:85], v[84:85], 0, s[6:7]
	;; [unrolled: 1-line block ×39, first 2 shown]
	s_and_b64 vcc, exec, vcc
	s_waitcnt vmcnt(0)
	v_lshl_add_u64 v[4:5], v[4:5], 0, s[6:7]
	scratch_store_dwordx2 off, v[4:5], off  ; 8-byte Folded Spill
	scratch_load_dwordx2 v[4:5], off, off offset:8 ; 8-byte Folded Reload
	s_waitcnt vmcnt(0)
	v_lshl_add_u64 v[4:5], v[4:5], 0, s[6:7]
	scratch_store_dwordx2 off, v[4:5], off offset:8 ; 8-byte Folded Spill
	scratch_load_dwordx2 v[4:5], off, off offset:16 ; 8-byte Folded Reload
	s_waitcnt vmcnt(0)
	v_lshl_add_u64 v[4:5], v[4:5], 0, s[6:7]
	scratch_store_dwordx2 off, v[4:5], off offset:16 ; 8-byte Folded Spill
	;; [unrolled: 4-line block ×20, first 2 shown]
	s_cbranch_vccnz .LBB197_132
; %bb.131:                              ;   in Loop: Header=BB197_86 Depth=1
	v_mov_b32_e32 v71, v3
	s_branch .LBB197_86
.LBB197_132:
	v_and_b32_e32 v1, 0x3ff, v77
	v_bfe_u32 v0, v77, 10, 10
	s_movk_i32 s3, 0x41
	v_mad_u32_u24 v2, v0, s3, v1
	v_lshl_add_u32 v2, v2, 2, 0
	ds_write_b32 v2, v3
	v_mov_b32_e32 v3, 0
	ds_write_b32 v2, v3 offset:4160
	v_bfe_u32 v2, v77, 6, 4
	v_add_u32_e32 v0, v2, v0
	v_cmp_gt_u32_e32 vcc, 64, v0
	s_waitcnt lgkmcnt(0)
	s_barrier
	s_and_saveexec_b64 s[4:5], vcc
	s_cbranch_execz .LBB197_152
; %bb.133:
	s_load_dwordx2 s[4:5], s[0:1], 0x30
	v_and_b32_e32 v2, 63, v1
	v_cmp_gt_u32_e64 s[0:1], 16, v2
	v_mul_u32_u24_e32 v4, 0x41, v2
                                        ; implicit-def: $vgpr2
	s_and_saveexec_b64 s[6:7], s[0:1]
; %bb.134:
	v_lshlrev_b32_e32 v2, 2, v0
	v_lshlrev_b32_e32 v3, 2, v4
	v_add3_u32 v2, 0, v2, v3
	ds_read_b32 v2, v2
; %bb.135:
	s_or_b64 exec, exec, s[6:7]
	v_mbcnt_lo_u32_b32 v3, -1, 0
	v_mbcnt_hi_u32_b32 v3, -1, v3
	v_and_b32_e32 v5, 64, v3
	v_add_u32_e32 v8, 64, v5
	v_xor_b32_e32 v5, 8, v3
	v_cmp_lt_i32_e32 vcc, v5, v8
	v_xor_b32_e32 v7, 4, v3
	v_xor_b32_e32 v9, 2, v3
	v_cndmask_b32_e32 v5, v3, v5, vcc
	v_lshlrev_b32_e32 v5, 2, v5
	s_waitcnt lgkmcnt(0)
	ds_bpermute_b32 v6, v5, v2
	v_cmp_lt_i32_e32 vcc, v7, v8
	v_xor_b32_e32 v10, 1, v3
	s_mov_b32 s3, 0
	s_lshl_b64 s[6:7], s[2:3], 6
	s_waitcnt lgkmcnt(0)
	v_add_f32_e32 v2, v2, v6
	v_cndmask_b32_e32 v6, v3, v7, vcc
	v_lshlrev_b32_e32 v6, 2, v6
	ds_bpermute_b32 v7, v6, v2
	v_cmp_lt_i32_e32 vcc, v9, v8
	v_cmp_ne_u32_e64 s[2:3], 0, v1
	s_cmp_eq_u64 s[4:5], 0
	s_cselect_b64 s[8:9], -1, 0
	s_waitcnt lgkmcnt(0)
	v_add_f32_e32 v2, v2, v7
	v_cndmask_b32_e32 v7, v3, v9, vcc
	v_lshlrev_b32_e32 v7, 2, v7
	ds_bpermute_b32 v9, v7, v2
	v_cmp_lt_i32_e32 vcc, v10, v8
	s_waitcnt lgkmcnt(0)
	v_add_f32_e32 v2, v2, v9
	v_cndmask_b32_e32 v3, v3, v10, vcc
	v_lshlrev_b32_e32 v8, 2, v3
	ds_bpermute_b32 v3, v8, v2
	s_waitcnt lgkmcnt(0)
	v_add_f32_e32 v9, v2, v3
	v_or_b32_e32 v2, s6, v0
	v_mov_b32_e32 v3, s7
	v_cmp_le_i64_e32 vcc, s[10:11], v[2:3]
	s_or_b64 s[12:13], s[2:3], vcc
	s_nor_b64 s[14:15], s[8:9], s[12:13]
	s_and_saveexec_b64 s[12:13], s[14:15]
	s_cbranch_execz .LBB197_137
; %bb.136:
	v_bfe_u32 v1, v9, 16, 1
	s_movk_i32 s14, 0x7fff
	v_add3_u32 v1, v9, v1, s14
	v_cmp_o_f32_e32 vcc, v9, v9
	v_mov_b32_e32 v10, 0x7fc0
	v_lshl_add_u64 v[2:3], v[2:3], 1, s[4:5]
	v_cndmask_b32_sdwa v1, v10, v1, vcc dst_sel:DWORD dst_unused:UNUSED_PAD src0_sel:DWORD src1_sel:WORD_1
	global_store_short v[2:3], v1, off
.LBB197_137:
	s_or_b64 exec, exec, s[12:13]
	v_cmp_gt_u32_e32 vcc, 48, v0
	s_and_b64 exec, exec, vcc
	s_cbranch_execz .LBB197_152
; %bb.138:
	v_mov_b32_e32 v1, 0
	s_and_saveexec_b64 s[12:13], s[0:1]
; %bb.139:
	v_lshlrev_b32_e32 v2, 2, v0
	v_lshlrev_b32_e32 v3, 2, v4
	v_add3_u32 v2, 0, v2, v3
	ds_read_b32 v9, v2 offset:64
; %bb.140:
	s_or_b64 exec, exec, s[12:13]
	s_waitcnt lgkmcnt(0)
	ds_bpermute_b32 v2, v5, v9
	s_waitcnt lgkmcnt(0)
	v_add_f32_e32 v2, v9, v2
	ds_bpermute_b32 v3, v6, v2
	s_waitcnt lgkmcnt(0)
	v_add_f32_e32 v3, v2, v3
	ds_bpermute_b32 v9, v7, v3
	v_add_u32_e32 v2, 16, v0
	s_waitcnt lgkmcnt(0)
	v_add_f32_e32 v9, v3, v9
	ds_bpermute_b32 v10, v8, v9
	v_mov_b32_e32 v3, v1
	v_lshl_add_u64 v[2:3], s[6:7], 0, v[2:3]
	v_cmp_le_i64_e32 vcc, s[10:11], v[2:3]
	s_or_b64 s[12:13], s[2:3], vcc
	s_waitcnt lgkmcnt(0)
	v_add_f32_e32 v2, v9, v10
	s_nor_b64 s[14:15], s[8:9], s[12:13]
	s_and_saveexec_b64 s[12:13], s[14:15]
	s_cbranch_execz .LBB197_142
; %bb.141:
	v_bfe_u32 v3, v2, 16, 1
	s_movk_i32 s14, 0x7fff
	v_add3_u32 v3, v2, v3, s14
	v_cmp_o_f32_e32 vcc, v2, v2
	v_mov_b32_e32 v9, 0x7fc0
	v_lshl_add_u64 v[10:11], s[6:7], 0, v[0:1]
	v_cndmask_b32_sdwa v3, v9, v3, vcc dst_sel:DWORD dst_unused:UNUSED_PAD src0_sel:DWORD src1_sel:WORD_1
	v_lshl_add_u64 v[10:11], v[10:11], 1, s[4:5]
	global_store_short v[10:11], v3, off offset:32
.LBB197_142:
	s_or_b64 exec, exec, s[12:13]
	v_cmp_gt_u32_e32 vcc, 32, v0
	s_and_b64 exec, exec, vcc
	s_cbranch_execz .LBB197_152
; %bb.143:
	s_and_saveexec_b64 s[12:13], s[0:1]
; %bb.144:
	v_lshlrev_b32_e32 v2, 2, v0
	v_lshlrev_b32_e32 v3, 2, v4
	v_add3_u32 v2, 0, v2, v3
	ds_read_b32 v2, v2 offset:128
; %bb.145:
	s_or_b64 exec, exec, s[12:13]
	s_waitcnt lgkmcnt(0)
	ds_bpermute_b32 v3, v5, v2
	v_add_u32_e32 v9, 32, v0
	s_waitcnt lgkmcnt(0)
	v_add_f32_e32 v2, v2, v3
	ds_bpermute_b32 v3, v6, v2
	s_waitcnt lgkmcnt(0)
	v_add_f32_e32 v2, v2, v3
	ds_bpermute_b32 v3, v7, v2
	;; [unrolled: 3-line block ×3, first 2 shown]
	v_mov_b32_e32 v3, s7
	v_or_b32_e32 v2, s6, v9
	v_cmp_le_i64_e32 vcc, s[10:11], v[2:3]
	s_or_b64 s[12:13], s[2:3], vcc
	s_waitcnt lgkmcnt(0)
	v_add_f32_e32 v2, v10, v11
	s_nor_b64 s[14:15], s[8:9], s[12:13]
	s_and_saveexec_b64 s[12:13], s[14:15]
	s_cbranch_execz .LBB197_147
; %bb.146:
	v_bfe_u32 v3, v2, 16, 1
	s_movk_i32 s14, 0x7fff
	v_add3_u32 v3, v2, v3, s14
	v_cmp_o_f32_e32 vcc, v2, v2
	v_mov_b32_e32 v9, 0x7fc0
	v_lshl_add_u64 v[10:11], s[6:7], 0, v[0:1]
	v_cndmask_b32_sdwa v3, v9, v3, vcc dst_sel:DWORD dst_unused:UNUSED_PAD src0_sel:DWORD src1_sel:WORD_1
	v_lshl_add_u64 v[10:11], v[10:11], 1, s[4:5]
	global_store_short v[10:11], v3, off offset:64
.LBB197_147:
	s_or_b64 exec, exec, s[12:13]
	v_cmp_gt_u32_e32 vcc, 16, v0
	s_and_b64 exec, exec, vcc
	s_cbranch_execz .LBB197_152
; %bb.148:
	s_and_saveexec_b64 s[12:13], s[0:1]
; %bb.149:
	v_lshlrev_b32_e32 v2, 2, v0
	v_lshlrev_b32_e32 v3, 2, v4
	v_add3_u32 v2, 0, v2, v3
	ds_read_b32 v2, v2 offset:192
; %bb.150:
	s_or_b64 exec, exec, s[12:13]
	s_waitcnt lgkmcnt(0)
	ds_bpermute_b32 v3, v5, v2
	v_add_u32_e32 v4, 48, v0
	v_or_b32_e32 v4, s6, v4
	v_mov_b32_e32 v5, s7
	v_cmp_le_i64_e32 vcc, s[10:11], v[4:5]
	s_waitcnt lgkmcnt(0)
	v_add_f32_e32 v2, v2, v3
	ds_bpermute_b32 v3, v6, v2
	s_or_b64 s[0:1], s[2:3], vcc
	s_nor_b64 s[0:1], s[8:9], s[0:1]
	s_waitcnt lgkmcnt(0)
	v_add_f32_e32 v2, v2, v3
	ds_bpermute_b32 v3, v7, v2
	s_waitcnt lgkmcnt(0)
	v_add_f32_e32 v2, v2, v3
	ds_bpermute_b32 v3, v8, v2
	s_and_saveexec_b64 s[2:3], s[0:1]
	s_xor_b64 s[2:3], exec, s[2:3]
	s_cbranch_execz .LBB197_152
; %bb.151:
	s_waitcnt lgkmcnt(0)
	v_add_f32_e32 v2, v2, v3
	v_bfe_u32 v3, v2, 16, 1
	s_movk_i32 s0, 0x7fff
	v_add3_u32 v3, v2, v3, s0
	v_cmp_o_f32_e32 vcc, v2, v2
	v_mov_b32_e32 v2, 0x7fc0
	v_lshl_add_u64 v[0:1], s[6:7], 0, v[0:1]
	v_cndmask_b32_sdwa v2, v2, v3, vcc dst_sel:DWORD dst_unused:UNUSED_PAD src0_sel:DWORD src1_sel:WORD_1
	v_lshl_add_u64 v[0:1], v[0:1], 1, s[4:5]
	global_store_short v[0:1], v2, off offset:96
.LBB197_152:
	s_endpgm
	.section	.rodata,"a",@progbits
	.p2align	6, 0x0
	.amdhsa_kernel _ZN2at6native12_GLOBAL__N_135GammaBetaBackwardCUDAKernelTemplateIN3c108BFloat16EfLj64ELj16ELj256ELb0ELb0ELb1EEEvllPKT_S7_PKT0_SA_PS5_SB_
		.amdhsa_group_segment_fixed_size 0
		.amdhsa_private_segment_fixed_size 184
		.amdhsa_kernarg_size 320
		.amdhsa_user_sgpr_count 2
		.amdhsa_user_sgpr_dispatch_ptr 0
		.amdhsa_user_sgpr_queue_ptr 0
		.amdhsa_user_sgpr_kernarg_segment_ptr 1
		.amdhsa_user_sgpr_dispatch_id 0
		.amdhsa_user_sgpr_kernarg_preload_length 0
		.amdhsa_user_sgpr_kernarg_preload_offset 0
		.amdhsa_user_sgpr_private_segment_size 0
		.amdhsa_uses_dynamic_stack 0
		.amdhsa_enable_private_segment 1
		.amdhsa_system_sgpr_workgroup_id_x 1
		.amdhsa_system_sgpr_workgroup_id_y 1
		.amdhsa_system_sgpr_workgroup_id_z 0
		.amdhsa_system_sgpr_workgroup_info 0
		.amdhsa_system_vgpr_workitem_id 1
		.amdhsa_next_free_vgpr 128
		.amdhsa_next_free_sgpr 66
		.amdhsa_accum_offset 128
		.amdhsa_reserve_vcc 1
		.amdhsa_float_round_mode_32 0
		.amdhsa_float_round_mode_16_64 0
		.amdhsa_float_denorm_mode_32 3
		.amdhsa_float_denorm_mode_16_64 3
		.amdhsa_dx10_clamp 1
		.amdhsa_ieee_mode 1
		.amdhsa_fp16_overflow 0
		.amdhsa_tg_split 0
		.amdhsa_exception_fp_ieee_invalid_op 0
		.amdhsa_exception_fp_denorm_src 0
		.amdhsa_exception_fp_ieee_div_zero 0
		.amdhsa_exception_fp_ieee_overflow 0
		.amdhsa_exception_fp_ieee_underflow 0
		.amdhsa_exception_fp_ieee_inexact 0
		.amdhsa_exception_int_div_zero 0
	.end_amdhsa_kernel
	.section	.text._ZN2at6native12_GLOBAL__N_135GammaBetaBackwardCUDAKernelTemplateIN3c108BFloat16EfLj64ELj16ELj256ELb0ELb0ELb1EEEvllPKT_S7_PKT0_SA_PS5_SB_,"axG",@progbits,_ZN2at6native12_GLOBAL__N_135GammaBetaBackwardCUDAKernelTemplateIN3c108BFloat16EfLj64ELj16ELj256ELb0ELb0ELb1EEEvllPKT_S7_PKT0_SA_PS5_SB_,comdat
.Lfunc_end197:
	.size	_ZN2at6native12_GLOBAL__N_135GammaBetaBackwardCUDAKernelTemplateIN3c108BFloat16EfLj64ELj16ELj256ELb0ELb0ELb1EEEvllPKT_S7_PKT0_SA_PS5_SB_, .Lfunc_end197-_ZN2at6native12_GLOBAL__N_135GammaBetaBackwardCUDAKernelTemplateIN3c108BFloat16EfLj64ELj16ELj256ELb0ELb0ELb1EEEvllPKT_S7_PKT0_SA_PS5_SB_
                                        ; -- End function
	.set _ZN2at6native12_GLOBAL__N_135GammaBetaBackwardCUDAKernelTemplateIN3c108BFloat16EfLj64ELj16ELj256ELb0ELb0ELb1EEEvllPKT_S7_PKT0_SA_PS5_SB_.num_vgpr, 128
	.set _ZN2at6native12_GLOBAL__N_135GammaBetaBackwardCUDAKernelTemplateIN3c108BFloat16EfLj64ELj16ELj256ELb0ELb0ELb1EEEvllPKT_S7_PKT0_SA_PS5_SB_.num_agpr, 0
	.set _ZN2at6native12_GLOBAL__N_135GammaBetaBackwardCUDAKernelTemplateIN3c108BFloat16EfLj64ELj16ELj256ELb0ELb0ELb1EEEvllPKT_S7_PKT0_SA_PS5_SB_.numbered_sgpr, 66
	.set _ZN2at6native12_GLOBAL__N_135GammaBetaBackwardCUDAKernelTemplateIN3c108BFloat16EfLj64ELj16ELj256ELb0ELb0ELb1EEEvllPKT_S7_PKT0_SA_PS5_SB_.num_named_barrier, 0
	.set _ZN2at6native12_GLOBAL__N_135GammaBetaBackwardCUDAKernelTemplateIN3c108BFloat16EfLj64ELj16ELj256ELb0ELb0ELb1EEEvllPKT_S7_PKT0_SA_PS5_SB_.private_seg_size, 184
	.set _ZN2at6native12_GLOBAL__N_135GammaBetaBackwardCUDAKernelTemplateIN3c108BFloat16EfLj64ELj16ELj256ELb0ELb0ELb1EEEvllPKT_S7_PKT0_SA_PS5_SB_.uses_vcc, 1
	.set _ZN2at6native12_GLOBAL__N_135GammaBetaBackwardCUDAKernelTemplateIN3c108BFloat16EfLj64ELj16ELj256ELb0ELb0ELb1EEEvllPKT_S7_PKT0_SA_PS5_SB_.uses_flat_scratch, 0
	.set _ZN2at6native12_GLOBAL__N_135GammaBetaBackwardCUDAKernelTemplateIN3c108BFloat16EfLj64ELj16ELj256ELb0ELb0ELb1EEEvllPKT_S7_PKT0_SA_PS5_SB_.has_dyn_sized_stack, 0
	.set _ZN2at6native12_GLOBAL__N_135GammaBetaBackwardCUDAKernelTemplateIN3c108BFloat16EfLj64ELj16ELj256ELb0ELb0ELb1EEEvllPKT_S7_PKT0_SA_PS5_SB_.has_recursion, 0
	.set _ZN2at6native12_GLOBAL__N_135GammaBetaBackwardCUDAKernelTemplateIN3c108BFloat16EfLj64ELj16ELj256ELb0ELb0ELb1EEEvllPKT_S7_PKT0_SA_PS5_SB_.has_indirect_call, 0
	.section	.AMDGPU.csdata,"",@progbits
; Kernel info:
; codeLenInByte = 13380
; TotalNumSgprs: 72
; NumVgprs: 128
; NumAgprs: 0
; TotalNumVgprs: 128
; ScratchSize: 184
; MemoryBound: 0
; FloatMode: 240
; IeeeMode: 1
; LDSByteSize: 0 bytes/workgroup (compile time only)
; SGPRBlocks: 8
; VGPRBlocks: 15
; NumSGPRsForWavesPerEU: 72
; NumVGPRsForWavesPerEU: 128
; AccumOffset: 128
; Occupancy: 4
; WaveLimiterHint : 0
; COMPUTE_PGM_RSRC2:SCRATCH_EN: 1
; COMPUTE_PGM_RSRC2:USER_SGPR: 2
; COMPUTE_PGM_RSRC2:TRAP_HANDLER: 0
; COMPUTE_PGM_RSRC2:TGID_X_EN: 1
; COMPUTE_PGM_RSRC2:TGID_Y_EN: 1
; COMPUTE_PGM_RSRC2:TGID_Z_EN: 0
; COMPUTE_PGM_RSRC2:TIDIG_COMP_CNT: 1
; COMPUTE_PGM_RSRC3_GFX90A:ACCUM_OFFSET: 31
; COMPUTE_PGM_RSRC3_GFX90A:TG_SPLIT: 0
	.section	.text._ZN2at6native12_GLOBAL__N_135GammaBetaBackwardCUDAKernelTemplateIN3c108BFloat16EfLj32ELj1ELj32ELb1ELb1ELb1EEEvllPKT_S7_PKT0_SA_PS5_SB_,"axG",@progbits,_ZN2at6native12_GLOBAL__N_135GammaBetaBackwardCUDAKernelTemplateIN3c108BFloat16EfLj32ELj1ELj32ELb1ELb1ELb1EEEvllPKT_S7_PKT0_SA_PS5_SB_,comdat
	.globl	_ZN2at6native12_GLOBAL__N_135GammaBetaBackwardCUDAKernelTemplateIN3c108BFloat16EfLj32ELj1ELj32ELb1ELb1ELb1EEEvllPKT_S7_PKT0_SA_PS5_SB_ ; -- Begin function _ZN2at6native12_GLOBAL__N_135GammaBetaBackwardCUDAKernelTemplateIN3c108BFloat16EfLj32ELj1ELj32ELb1ELb1ELb1EEEvllPKT_S7_PKT0_SA_PS5_SB_
	.p2align	8
	.type	_ZN2at6native12_GLOBAL__N_135GammaBetaBackwardCUDAKernelTemplateIN3c108BFloat16EfLj32ELj1ELj32ELb1ELb1ELb1EEEvllPKT_S7_PKT0_SA_PS5_SB_,@function
_ZN2at6native12_GLOBAL__N_135GammaBetaBackwardCUDAKernelTemplateIN3c108BFloat16EfLj32ELj1ELj32ELb1ELb1ELb1EEEvllPKT_S7_PKT0_SA_PS5_SB_: ; @_ZN2at6native12_GLOBAL__N_135GammaBetaBackwardCUDAKernelTemplateIN3c108BFloat16EfLj32ELj1ELj32ELb1ELb1ELb1EEEvllPKT_S7_PKT0_SA_PS5_SB_
; %bb.0:
	s_load_dwordx4 s[8:11], s[0:1], 0x0
	s_load_dwordx2 s[16:17], s[0:1], 0x30
	s_lshl_b32 s18, s3, 5
	s_mov_b32 s19, 0
	v_mov_b64_e32 v[2:3], s[18:19]
	s_waitcnt lgkmcnt(0)
	v_cmp_le_i64_e32 vcc, s[8:9], v[2:3]
	s_mov_b32 s6, s3
	v_mov_b32_e32 v13, 0
	v_bfe_u32 v2, v0, 10, 10
	s_cbranch_vccnz .LBB198_7
; %bb.1:
	s_load_dword s3, s[0:1], 0x4c
	s_load_dword s7, s[0:1], 0x44
	s_load_dwordx4 s[12:15], s[0:1], 0x10
	s_load_dwordx2 s[22:23], s[0:1], 0x28
	v_and_b32_e32 v1, 0x3ff, v0
	s_waitcnt lgkmcnt(0)
	s_and_b32 s3, s3, 0xffff
	v_mad_u32_u24 v3, v2, s3, v1
	v_lshlrev_b32_e32 v12, 5, v2
	v_mov_b32_e32 v13, 0
	v_lshl_or_b32 v8, s2, 5, v1
	v_mbcnt_lo_u32_b32 v1, -1, 0
	v_and_b32_e32 v4, 63, v3
	v_mov_b32_e32 v5, v13
	v_mbcnt_hi_u32_b32 v1, -1, v1
	s_lshl_b32 s20, s7, 5
	v_lshl_add_u64 v[10:11], v[12:13], 0, s[18:19]
	v_cmp_gt_u32_e64 s[4:5], 32, v4
	v_mov_b32_e32 v9, v13
	v_lshlrev_b32_e32 v1, 2, v1
	v_lshl_add_u64 v[4:5], v[10:11], 0, v[4:5]
	v_mul_lo_u32 v12, s11, v10
	v_mul_lo_u32 v44, s10, v11
	v_mad_u64_u32 v[10:11], s[24:25], s10, v10, 0
	s_mul_i32 s3, s11, s20
	s_mul_hi_u32 s7, s10, s20
	v_and_b32_e32 v1, 0x100, v1
	s_mov_b32 s21, s19
	v_add3_u32 v11, v11, v44, v12
	v_lshlrev_b64 v[8:9], 1, v[8:9]
	s_add_i32 s25, s7, s3
	s_mul_i32 s24, s10, s20
	v_or_b32_e32 v3, 4, v1
	v_or_b32_e32 v14, 8, v1
	;; [unrolled: 1-line block ×31, first 2 shown]
	v_lshl_add_u64 v[6:7], v[4:5], 2, s[22:23]
	s_lshl_b64 s[22:23], s[20:21], 2
	v_lshl_add_u64 v[8:9], v[10:11], 1, v[8:9]
	s_lshl_b64 s[24:25], s[24:25], 1
	s_lshl_b64 s[26:27], s[10:11], 1
	v_mov_b64_e32 v[10:11], s[8:9]
	s_branch .LBB198_4
.LBB198_2:                              ;   in Loop: Header=BB198_4 Depth=1
	s_or_b64 exec, exec, s[30:31]
.LBB198_3:                              ;   in Loop: Header=BB198_4 Depth=1
	s_or_b64 exec, exec, s[28:29]
	v_lshl_add_u64 v[44:45], s[12:13], 0, v[8:9]
	v_lshl_add_u64 v[46:47], s[14:15], 0, v[8:9]
	global_load_ushort v48, v[44:45], off
	global_load_ushort v49, v[46:47], off
	v_lshl_add_u64 v[44:45], v[44:45], 0, s[26:27]
	v_lshl_add_u64 v[46:47], v[46:47], 0, s[26:27]
	global_load_ushort v50, v[44:45], off
	global_load_ushort v51, v[46:47], off
	;; [unrolled: 4-line block ×6, first 2 shown]
	s_waitcnt vmcnt(12)
	ds_bpermute_b32 v60, v1, v12
	v_lshl_add_u64 v[44:45], v[44:45], 0, s[26:27]
	v_lshl_add_u64 v[46:47], v[46:47], 0, s[26:27]
	s_add_u32 s18, s18, s20
	s_addc_u32 s19, s19, 0
	v_cmp_lt_i64_e32 vcc, s[18:19], v[10:11]
	v_lshl_add_u64 v[6:7], v[6:7], 0, s[22:23]
	v_lshl_add_u64 v[4:5], v[4:5], 0, s[20:21]
	v_lshl_add_u64 v[8:9], v[8:9], 0, s[24:25]
	s_and_b64 vcc, exec, vcc
	s_waitcnt vmcnt(11)
	v_lshlrev_b32_e32 v48, 16, v48
	s_waitcnt vmcnt(10)
	v_lshlrev_b32_e32 v49, 16, v49
	v_mul_f32_e32 v48, v48, v49
	ds_bpermute_b32 v49, v3, v12
	s_waitcnt vmcnt(9)
	v_lshlrev_b32_e32 v50, 16, v50
	s_waitcnt vmcnt(8)
	v_lshlrev_b32_e32 v51, 16, v51
	s_waitcnt lgkmcnt(1)
	v_fmac_f32_e32 v13, v48, v60
	v_mul_f32_e32 v50, v50, v51
	global_load_ushort v51, v[44:45], off
	s_waitcnt lgkmcnt(0)
	v_fmac_f32_e32 v13, v50, v49
	global_load_ushort v49, v[46:47], off
	ds_bpermute_b32 v48, v14, v12
	ds_bpermute_b32 v60, v15, v12
	v_lshl_add_u64 v[44:45], v[44:45], 0, s[26:27]
	v_lshl_add_u64 v[46:47], v[46:47], 0, s[26:27]
	s_waitcnt vmcnt(9)
	v_lshlrev_b32_e32 v52, 16, v52
	s_waitcnt vmcnt(8)
	v_lshlrev_b32_e32 v53, 16, v53
	global_load_ushort v50, v[44:45], off
	v_mul_f32_e32 v52, v52, v53
	global_load_ushort v53, v[46:47], off
	s_waitcnt vmcnt(9)
	v_lshlrev_b32_e32 v54, 16, v54
	s_waitcnt vmcnt(8)
	v_lshlrev_b32_e32 v55, 16, v55
	s_waitcnt lgkmcnt(1)
	v_fmac_f32_e32 v13, v52, v48
	v_mul_f32_e32 v54, v54, v55
	v_lshl_add_u64 v[44:45], v[44:45], 0, s[26:27]
	s_waitcnt lgkmcnt(0)
	v_fmac_f32_e32 v13, v54, v60
	ds_bpermute_b32 v60, v16, v12
	v_lshl_add_u64 v[46:47], v[46:47], 0, s[26:27]
	global_load_ushort v48, v[44:45], off
	global_load_ushort v52, v[46:47], off
	v_lshl_add_u64 v[44:45], v[44:45], 0, s[26:27]
	s_waitcnt vmcnt(9)
	v_lshlrev_b32_e32 v56, 16, v56
	s_waitcnt vmcnt(8)
	v_lshlrev_b32_e32 v57, 16, v57
	v_lshl_add_u64 v[46:47], v[46:47], 0, s[26:27]
	global_load_ushort v55, v[44:45], off
	v_mul_f32_e32 v56, v56, v57
	v_lshl_add_u64 v[44:45], v[44:45], 0, s[26:27]
	global_load_ushort v54, v[46:47], off
	v_lshl_add_u64 v[46:47], v[46:47], 0, s[26:27]
	s_waitcnt lgkmcnt(0)
	v_fmac_f32_e32 v13, v56, v60
	global_load_ushort v56, v[44:45], off
	global_load_ushort v60, v[46:47], off
	ds_bpermute_b32 v57, v17, v12
	s_waitcnt vmcnt(11)
	v_lshlrev_b32_e32 v58, 16, v58
	s_waitcnt vmcnt(10)
	v_lshlrev_b32_e32 v59, 16, v59
	v_lshl_add_u64 v[44:45], v[44:45], 0, s[26:27]
	v_lshl_add_u64 v[46:47], v[46:47], 0, s[26:27]
	v_mul_f32_e32 v58, v58, v59
	global_load_ushort v59, v[44:45], off
	s_waitcnt lgkmcnt(0)
	v_fmac_f32_e32 v13, v58, v57
	global_load_ushort v57, v[46:47], off
	ds_bpermute_b32 v58, v18, v12
	v_lshl_add_u64 v[44:45], v[44:45], 0, s[26:27]
	v_lshl_add_u64 v[46:47], v[46:47], 0, s[26:27]
	s_waitcnt vmcnt(11)
	v_lshlrev_b32_e32 v51, 16, v51
	s_waitcnt vmcnt(10)
	v_lshlrev_b32_e32 v49, 16, v49
	v_mul_f32_e32 v49, v51, v49
	s_waitcnt lgkmcnt(0)
	v_fmac_f32_e32 v13, v49, v58
	ds_bpermute_b32 v58, v19, v12
	global_load_ushort v51, v[44:45], off
	global_load_ushort v49, v[46:47], off
	v_lshl_add_u64 v[44:45], v[44:45], 0, s[26:27]
	s_waitcnt vmcnt(11)
	v_lshlrev_b32_e32 v50, 16, v50
	v_lshl_add_u64 v[46:47], v[46:47], 0, s[26:27]
	s_waitcnt vmcnt(10)
	v_lshlrev_b32_e32 v53, 16, v53
	v_mul_f32_e32 v50, v50, v53
	s_waitcnt lgkmcnt(0)
	v_fmac_f32_e32 v13, v50, v58
	ds_bpermute_b32 v58, v20, v12
	global_load_ushort v53, v[44:45], off
	global_load_ushort v50, v[46:47], off
	v_lshl_add_u64 v[44:45], v[44:45], 0, s[26:27]
	v_lshl_add_u64 v[46:47], v[46:47], 0, s[26:27]
	s_waitcnt vmcnt(11)
	v_lshlrev_b32_e32 v48, 16, v48
	s_waitcnt vmcnt(10)
	v_lshlrev_b32_e32 v52, 16, v52
	v_mul_f32_e32 v48, v48, v52
	s_waitcnt lgkmcnt(0)
	v_fmac_f32_e32 v13, v48, v58
	ds_bpermute_b32 v58, v21, v12
	global_load_ushort v52, v[44:45], off
	s_waitcnt vmcnt(10)
	v_lshlrev_b32_e32 v55, 16, v55
	global_load_ushort v48, v[46:47], off
	v_lshl_add_u64 v[44:45], v[44:45], 0, s[26:27]
	s_waitcnt vmcnt(10)
	v_lshlrev_b32_e32 v54, 16, v54
	v_mul_f32_e32 v54, v55, v54
	s_waitcnt vmcnt(9)
	v_lshlrev_b32_e32 v56, 16, v56
	s_waitcnt vmcnt(8)
	v_lshlrev_b32_e32 v60, 16, v60
	v_mul_f32_e32 v56, v56, v60
	ds_bpermute_b32 v60, v22, v12
	v_lshl_add_u64 v[46:47], v[46:47], 0, s[26:27]
	global_load_ushort v55, v[44:45], off
	s_waitcnt lgkmcnt(1)
	v_fmac_f32_e32 v13, v54, v58
	global_load_ushort v54, v[46:47], off
	v_lshl_add_u64 v[44:45], v[44:45], 0, s[26:27]
	global_load_ushort v58, v[44:45], off
	s_waitcnt vmcnt(10)
	v_lshlrev_b32_e32 v59, 16, v59
	s_waitcnt vmcnt(9)
	v_lshlrev_b32_e32 v57, 16, v57
	v_lshl_add_u64 v[46:47], v[46:47], 0, s[26:27]
	s_waitcnt lgkmcnt(0)
	v_fmac_f32_e32 v13, v56, v60
	ds_bpermute_b32 v60, v23, v12
	v_lshl_add_u64 v[44:45], v[44:45], 0, s[26:27]
	global_load_ushort v56, v[46:47], off
	v_mul_f32_e32 v57, v59, v57
	global_load_ushort v59, v[44:45], off
	v_lshl_add_u64 v[46:47], v[46:47], 0, s[26:27]
	s_waitcnt lgkmcnt(0)
	v_fmac_f32_e32 v13, v57, v60
	global_load_ushort v57, v[46:47], off
	ds_bpermute_b32 v60, v24, v12
	v_lshl_add_u64 v[46:47], v[46:47], 0, s[26:27]
	v_lshl_add_u64 v[44:45], v[44:45], 0, s[26:27]
	global_load_ushort v61, v[44:45], off
	v_lshl_add_u64 v[44:45], v[44:45], 0, s[26:27]
	s_waitcnt vmcnt(12)
	v_lshlrev_b32_e32 v51, 16, v51
	s_waitcnt vmcnt(11)
	v_lshlrev_b32_e32 v49, 16, v49
	v_mul_f32_e32 v49, v51, v49
	s_waitcnt lgkmcnt(0)
	v_fmac_f32_e32 v13, v49, v60
	ds_bpermute_b32 v49, v25, v12
	global_load_ushort v60, v[46:47], off
	v_lshl_add_u64 v[46:47], v[46:47], 0, s[26:27]
	global_load_ushort v62, v[46:47], off
	v_lshl_add_u64 v[46:47], v[46:47], 0, s[26:27]
	s_waitcnt vmcnt(12)
	v_lshlrev_b32_e32 v53, 16, v53
	s_waitcnt vmcnt(11)
	v_lshlrev_b32_e32 v50, 16, v50
	v_mul_f32_e32 v50, v53, v50
	s_waitcnt lgkmcnt(0)
	v_fmac_f32_e32 v13, v50, v49
	ds_bpermute_b32 v49, v26, v12
	ds_bpermute_b32 v50, v27, v12
	global_load_ushort v53, v[44:45], off
	v_lshl_add_u64 v[44:45], v[44:45], 0, s[26:27]
	s_waitcnt vmcnt(11)
	v_lshlrev_b32_e32 v52, 16, v52
	s_waitcnt vmcnt(10)
	v_lshlrev_b32_e32 v48, 16, v48
	v_mul_f32_e32 v48, v52, v48
	s_waitcnt lgkmcnt(1)
	v_fmac_f32_e32 v13, v48, v49
	v_lshl_add_u64 v[48:49], v[44:45], 0, s[26:27]
	s_waitcnt vmcnt(9)
	v_lshlrev_b32_e32 v55, 16, v55
	s_waitcnt vmcnt(8)
	v_lshlrev_b32_e32 v54, 16, v54
	v_mul_f32_e32 v51, v55, v54
	s_waitcnt lgkmcnt(0)
	v_fmac_f32_e32 v13, v51, v50
	v_lshl_add_u64 v[50:51], v[46:47], 0, s[26:27]
	global_load_ushort v52, v[44:45], off
	global_load_ushort v54, v[48:49], off
	;; [unrolled: 1-line block ×4, first 2 shown]
	s_waitcnt vmcnt(11)
	v_lshlrev_b32_e32 v58, 16, v58
	v_lshl_add_u64 v[44:45], v[48:49], 0, s[26:27]
	s_waitcnt vmcnt(10)
	v_lshlrev_b32_e32 v46, 16, v56
	v_mul_f32_e32 v48, v58, v46
	s_waitcnt vmcnt(9)
	v_lshlrev_b32_e32 v56, 16, v59
	ds_bpermute_b32 v59, v28, v12
	ds_bpermute_b32 v58, v29, v12
	s_waitcnt vmcnt(8)
	v_lshlrev_b32_e32 v57, 16, v57
	v_lshl_add_u64 v[46:47], v[50:51], 0, s[26:27]
	v_mul_f32_e32 v50, v56, v57
	s_waitcnt lgkmcnt(1)
	v_fmac_f32_e32 v13, v48, v59
	v_lshl_add_u64 v[48:49], v[44:45], 0, s[26:27]
	s_waitcnt lgkmcnt(0)
	v_fmac_f32_e32 v13, v50, v58
	v_lshl_add_u64 v[50:51], v[46:47], 0, s[26:27]
	global_load_ushort v58, v[44:45], off
	global_load_ushort v59, v[48:49], off
	global_load_ushort v64, v[46:47], off
	global_load_ushort v65, v[50:51], off
	ds_bpermute_b32 v57, v30, v12
	s_waitcnt vmcnt(11)
	v_lshlrev_b32_e32 v46, 16, v61
	v_lshl_add_u64 v[44:45], v[48:49], 0, s[26:27]
	s_waitcnt vmcnt(10)
	v_lshlrev_b32_e32 v47, 16, v60
	ds_bpermute_b32 v60, v31, v12
	s_waitcnt vmcnt(9)
	v_lshlrev_b32_e32 v56, 16, v62
	v_mul_f32_e32 v48, v46, v47
	v_lshl_add_u64 v[46:47], v[50:51], 0, s[26:27]
	s_waitcnt lgkmcnt(1)
	v_fmac_f32_e32 v13, v48, v57
	v_lshl_add_u64 v[48:49], v[44:45], 0, s[26:27]
	ds_bpermute_b32 v51, v33, v12
	s_waitcnt vmcnt(8)
	v_lshlrev_b32_e32 v53, 16, v53
	v_mul_f32_e32 v50, v53, v56
	s_waitcnt lgkmcnt(1)
	v_fmac_f32_e32 v13, v50, v60
	ds_bpermute_b32 v50, v32, v12
	global_load_ushort v60, v[48:49], off
	global_load_ushort v61, v[44:45], off
	s_waitcnt vmcnt(9)
	v_lshlrev_b32_e32 v52, 16, v52
	s_waitcnt vmcnt(8)
	v_lshlrev_b32_e32 v53, 16, v54
	;; [unrolled: 2-line block ×4, first 2 shown]
	v_pk_mul_f32 v[52:53], v[52:53], v[54:55]
	v_lshl_add_u64 v[54:55], v[46:47], 0, s[26:27]
	global_load_ushort v62, v[54:55], off
	global_load_ushort v63, v[46:47], off
	s_waitcnt lgkmcnt(0)
	v_pk_mul_f32 v[50:51], v[52:53], v[50:51]
	v_lshl_add_u64 v[52:53], v[48:49], 0, s[26:27]
	v_add_f32_e32 v13, v13, v50
	v_lshl_add_u64 v[56:57], v[54:55], 0, s[26:27]
	v_lshl_add_u64 v[44:45], v[52:53], 0, s[26:27]
	;; [unrolled: 1-line block ×3, first 2 shown]
	v_add_f32_e32 v13, v13, v51
	v_lshl_add_u64 v[54:55], v[44:45], 0, s[26:27]
	s_waitcnt vmcnt(7)
	v_lshlrev_b32_e32 v48, 16, v58
	s_waitcnt vmcnt(6)
	v_lshlrev_b32_e32 v49, 16, v59
	;; [unrolled: 2-line block ×4, first 2 shown]
	v_pk_mul_f32 v[48:49], v[48:49], v[50:51]
	ds_bpermute_b32 v50, v34, v12
	ds_bpermute_b32 v51, v35, v12
	global_load_ushort v58, v[44:45], off
	global_load_ushort v59, v[52:53], off
	s_nop 0
	global_load_ushort v52, v[46:47], off
	global_load_ushort v53, v[56:57], off
	v_lshl_add_u64 v[44:45], v[46:47], 0, s[26:27]
	v_lshl_add_u64 v[46:47], v[54:55], 0, s[26:27]
	s_waitcnt lgkmcnt(0)
	v_pk_mul_f32 v[48:49], v[48:49], v[50:51]
	v_lshl_add_u64 v[50:51], v[46:47], 0, s[26:27]
	global_load_ushort v56, v[46:47], off
	global_load_ushort v57, v[54:55], off
	v_lshl_add_u64 v[46:47], v[50:51], 0, s[26:27]
	global_load_ushort v54, v[46:47], off
	global_load_ushort v55, v[44:45], off
	;; [unrolled: 3-line block ×3, first 2 shown]
	v_lshl_add_u64 v[44:45], v[44:45], 0, s[26:27]
	global_load_ushort v50, v[44:45], off
	v_lshl_add_u64 v[44:45], v[44:45], 0, s[26:27]
	global_load_ushort v51, v[44:45], off
	v_add_f32_e32 v13, v13, v48
	v_add_f32_e32 v13, v13, v49
	ds_bpermute_b32 v48, v36, v12
	ds_bpermute_b32 v49, v37, v12
	s_waitcnt vmcnt(15)
	v_lshlrev_b32_e32 v45, 16, v60
	s_waitcnt vmcnt(14)
	v_lshlrev_b32_e32 v44, 16, v61
	;; [unrolled: 2-line block ×4, first 2 shown]
	v_pk_mul_f32 v[44:45], v[44:45], v[46:47]
	s_waitcnt vmcnt(11)
	v_lshlrev_b32_e32 v47, 16, v58
	s_waitcnt lgkmcnt(0)
	v_pk_mul_f32 v[44:45], v[44:45], v[48:49]
	s_waitcnt vmcnt(10)
	v_lshlrev_b32_e32 v46, 16, v59
	v_add_f32_e32 v13, v13, v44
	v_add_f32_e32 v13, v13, v45
	ds_bpermute_b32 v44, v38, v12
	ds_bpermute_b32 v45, v39, v12
	s_waitcnt vmcnt(8)
	v_lshlrev_b32_e32 v48, 16, v53
	v_lshlrev_b32_e32 v49, 16, v52
	v_pk_mul_f32 v[46:47], v[46:47], v[48:49]
	s_waitcnt vmcnt(4)
	v_lshlrev_b32_e32 v48, 16, v55
	s_waitcnt lgkmcnt(0)
	v_pk_mul_f32 v[44:45], v[46:47], v[44:45]
	v_lshlrev_b32_e32 v46, 16, v57
	v_add_f32_e32 v13, v13, v44
	v_add_f32_e32 v13, v13, v45
	ds_bpermute_b32 v44, v40, v12
	ds_bpermute_b32 v45, v41, v12
	v_lshlrev_b32_e32 v47, 16, v56
	s_waitcnt vmcnt(2)
	v_lshlrev_b32_e32 v49, 16, v65
	v_pk_mul_f32 v[46:47], v[46:47], v[48:49]
	s_waitcnt lgkmcnt(0)
	v_pk_mul_f32 v[44:45], v[46:47], v[44:45]
	s_waitcnt vmcnt(1)
	v_lshlrev_b32_e32 v46, 16, v50
	v_add_f32_e32 v13, v13, v44
	v_add_f32_e32 v48, v13, v45
	ds_bpermute_b32 v44, v42, v12
	ds_bpermute_b32 v45, v43, v12
	v_lshlrev_b32_e32 v12, 16, v64
	v_lshlrev_b32_e32 v13, 16, v54
	s_waitcnt vmcnt(0)
	v_lshlrev_b32_e32 v47, 16, v51
	v_pk_mul_f32 v[12:13], v[12:13], v[46:47]
	s_waitcnt lgkmcnt(0)
	v_pk_mul_f32 v[12:13], v[12:13], v[44:45]
	s_nop 0
	v_add_f32_e32 v12, v48, v12
	v_add_f32_e32 v13, v12, v13
	s_cbranch_vccz .LBB198_7
.LBB198_4:                              ; =>This Inner Loop Header: Depth=1
	v_mov_b32_e32 v12, 0
	s_and_saveexec_b64 s[28:29], s[4:5]
	s_cbranch_execz .LBB198_3
; %bb.5:                                ;   in Loop: Header=BB198_4 Depth=1
	v_cmp_gt_i64_e32 vcc, s[8:9], v[4:5]
	v_mov_b32_e32 v12, 0
	s_and_saveexec_b64 s[30:31], vcc
	s_cbranch_execz .LBB198_2
; %bb.6:                                ;   in Loop: Header=BB198_4 Depth=1
	global_load_dword v12, v[6:7], off
	s_branch .LBB198_2
.LBB198_7:
	s_cmp_eq_u64 s[16:17], 0
	s_cbranch_scc1 .LBB198_9
; %bb.8:
	s_load_dword s0, s[0:1], 0x4c
	v_mov_b32_e32 v3, 0
	v_mov_b32_e32 v1, s6
	v_cmp_o_f32_e32 vcc, v13, v13
	s_mov_b32 s3, 0
	s_waitcnt lgkmcnt(0)
	s_lshr_b32 s0, s0, 16
	v_mad_u64_u32 v[4:5], s[0:1], s0, v1, v[2:3]
	v_bfe_u32 v1, v13, 16, 1
	s_movk_i32 s0, 0x7fff
	v_add3_u32 v1, v13, v1, s0
	v_lshrrev_b32_e32 v1, 16, v1
	v_mov_b32_e32 v2, 0x7fc0
	v_cndmask_b32_e32 v6, v2, v1, vcc
	v_mul_lo_u32 v1, v5, s10
	v_mul_lo_u32 v2, v4, s11
	v_mad_u64_u32 v[4:5], s[0:1], v4, s10, 0
	v_add3_u32 v5, v5, v2, v1
	v_lshl_add_u64 v[4:5], v[4:5], 1, s[16:17]
	s_lshl_b64 s[0:1], s[2:3], 6
	v_and_b32_e32 v0, 0x3ff, v0
	v_lshl_add_u64 v[4:5], v[4:5], 0, s[0:1]
	v_lshlrev_b32_e32 v2, 1, v0
	v_lshl_add_u64 v[0:1], v[4:5], 0, v[2:3]
	global_store_short v[0:1], v6, off
.LBB198_9:
	s_endpgm
	.section	.rodata,"a",@progbits
	.p2align	6, 0x0
	.amdhsa_kernel _ZN2at6native12_GLOBAL__N_135GammaBetaBackwardCUDAKernelTemplateIN3c108BFloat16EfLj32ELj1ELj32ELb1ELb1ELb1EEEvllPKT_S7_PKT0_SA_PS5_SB_
		.amdhsa_group_segment_fixed_size 0
		.amdhsa_private_segment_fixed_size 0
		.amdhsa_kernarg_size 320
		.amdhsa_user_sgpr_count 2
		.amdhsa_user_sgpr_dispatch_ptr 0
		.amdhsa_user_sgpr_queue_ptr 0
		.amdhsa_user_sgpr_kernarg_segment_ptr 1
		.amdhsa_user_sgpr_dispatch_id 0
		.amdhsa_user_sgpr_kernarg_preload_length 0
		.amdhsa_user_sgpr_kernarg_preload_offset 0
		.amdhsa_user_sgpr_private_segment_size 0
		.amdhsa_uses_dynamic_stack 0
		.amdhsa_enable_private_segment 0
		.amdhsa_system_sgpr_workgroup_id_x 1
		.amdhsa_system_sgpr_workgroup_id_y 1
		.amdhsa_system_sgpr_workgroup_id_z 0
		.amdhsa_system_sgpr_workgroup_info 0
		.amdhsa_system_vgpr_workitem_id 1
		.amdhsa_next_free_vgpr 66
		.amdhsa_next_free_sgpr 32
		.amdhsa_accum_offset 68
		.amdhsa_reserve_vcc 1
		.amdhsa_float_round_mode_32 0
		.amdhsa_float_round_mode_16_64 0
		.amdhsa_float_denorm_mode_32 3
		.amdhsa_float_denorm_mode_16_64 3
		.amdhsa_dx10_clamp 1
		.amdhsa_ieee_mode 1
		.amdhsa_fp16_overflow 0
		.amdhsa_tg_split 0
		.amdhsa_exception_fp_ieee_invalid_op 0
		.amdhsa_exception_fp_denorm_src 0
		.amdhsa_exception_fp_ieee_div_zero 0
		.amdhsa_exception_fp_ieee_overflow 0
		.amdhsa_exception_fp_ieee_underflow 0
		.amdhsa_exception_fp_ieee_inexact 0
		.amdhsa_exception_int_div_zero 0
	.end_amdhsa_kernel
	.section	.text._ZN2at6native12_GLOBAL__N_135GammaBetaBackwardCUDAKernelTemplateIN3c108BFloat16EfLj32ELj1ELj32ELb1ELb1ELb1EEEvllPKT_S7_PKT0_SA_PS5_SB_,"axG",@progbits,_ZN2at6native12_GLOBAL__N_135GammaBetaBackwardCUDAKernelTemplateIN3c108BFloat16EfLj32ELj1ELj32ELb1ELb1ELb1EEEvllPKT_S7_PKT0_SA_PS5_SB_,comdat
.Lfunc_end198:
	.size	_ZN2at6native12_GLOBAL__N_135GammaBetaBackwardCUDAKernelTemplateIN3c108BFloat16EfLj32ELj1ELj32ELb1ELb1ELb1EEEvllPKT_S7_PKT0_SA_PS5_SB_, .Lfunc_end198-_ZN2at6native12_GLOBAL__N_135GammaBetaBackwardCUDAKernelTemplateIN3c108BFloat16EfLj32ELj1ELj32ELb1ELb1ELb1EEEvllPKT_S7_PKT0_SA_PS5_SB_
                                        ; -- End function
	.set _ZN2at6native12_GLOBAL__N_135GammaBetaBackwardCUDAKernelTemplateIN3c108BFloat16EfLj32ELj1ELj32ELb1ELb1ELb1EEEvllPKT_S7_PKT0_SA_PS5_SB_.num_vgpr, 66
	.set _ZN2at6native12_GLOBAL__N_135GammaBetaBackwardCUDAKernelTemplateIN3c108BFloat16EfLj32ELj1ELj32ELb1ELb1ELb1EEEvllPKT_S7_PKT0_SA_PS5_SB_.num_agpr, 0
	.set _ZN2at6native12_GLOBAL__N_135GammaBetaBackwardCUDAKernelTemplateIN3c108BFloat16EfLj32ELj1ELj32ELb1ELb1ELb1EEEvllPKT_S7_PKT0_SA_PS5_SB_.numbered_sgpr, 32
	.set _ZN2at6native12_GLOBAL__N_135GammaBetaBackwardCUDAKernelTemplateIN3c108BFloat16EfLj32ELj1ELj32ELb1ELb1ELb1EEEvllPKT_S7_PKT0_SA_PS5_SB_.num_named_barrier, 0
	.set _ZN2at6native12_GLOBAL__N_135GammaBetaBackwardCUDAKernelTemplateIN3c108BFloat16EfLj32ELj1ELj32ELb1ELb1ELb1EEEvllPKT_S7_PKT0_SA_PS5_SB_.private_seg_size, 0
	.set _ZN2at6native12_GLOBAL__N_135GammaBetaBackwardCUDAKernelTemplateIN3c108BFloat16EfLj32ELj1ELj32ELb1ELb1ELb1EEEvllPKT_S7_PKT0_SA_PS5_SB_.uses_vcc, 1
	.set _ZN2at6native12_GLOBAL__N_135GammaBetaBackwardCUDAKernelTemplateIN3c108BFloat16EfLj32ELj1ELj32ELb1ELb1ELb1EEEvllPKT_S7_PKT0_SA_PS5_SB_.uses_flat_scratch, 0
	.set _ZN2at6native12_GLOBAL__N_135GammaBetaBackwardCUDAKernelTemplateIN3c108BFloat16EfLj32ELj1ELj32ELb1ELb1ELb1EEEvllPKT_S7_PKT0_SA_PS5_SB_.has_dyn_sized_stack, 0
	.set _ZN2at6native12_GLOBAL__N_135GammaBetaBackwardCUDAKernelTemplateIN3c108BFloat16EfLj32ELj1ELj32ELb1ELb1ELb1EEEvllPKT_S7_PKT0_SA_PS5_SB_.has_recursion, 0
	.set _ZN2at6native12_GLOBAL__N_135GammaBetaBackwardCUDAKernelTemplateIN3c108BFloat16EfLj32ELj1ELj32ELb1ELb1ELb1EEEvllPKT_S7_PKT0_SA_PS5_SB_.has_indirect_call, 0
	.section	.AMDGPU.csdata,"",@progbits
; Kernel info:
; codeLenInByte = 2932
; TotalNumSgprs: 38
; NumVgprs: 66
; NumAgprs: 0
; TotalNumVgprs: 66
; ScratchSize: 0
; MemoryBound: 0
; FloatMode: 240
; IeeeMode: 1
; LDSByteSize: 0 bytes/workgroup (compile time only)
; SGPRBlocks: 4
; VGPRBlocks: 8
; NumSGPRsForWavesPerEU: 38
; NumVGPRsForWavesPerEU: 66
; AccumOffset: 68
; Occupancy: 7
; WaveLimiterHint : 0
; COMPUTE_PGM_RSRC2:SCRATCH_EN: 0
; COMPUTE_PGM_RSRC2:USER_SGPR: 2
; COMPUTE_PGM_RSRC2:TRAP_HANDLER: 0
; COMPUTE_PGM_RSRC2:TGID_X_EN: 1
; COMPUTE_PGM_RSRC2:TGID_Y_EN: 1
; COMPUTE_PGM_RSRC2:TGID_Z_EN: 0
; COMPUTE_PGM_RSRC2:TIDIG_COMP_CNT: 1
; COMPUTE_PGM_RSRC3_GFX90A:ACCUM_OFFSET: 16
; COMPUTE_PGM_RSRC3_GFX90A:TG_SPLIT: 0
	.section	.text._ZN2at6native12_GLOBAL__N_135GammaBetaBackwardCUDAKernelTemplateIN3c108BFloat16EfLj32ELj1ELj32ELb1ELb0ELb1EEEvllPKT_S7_PKT0_SA_PS5_SB_,"axG",@progbits,_ZN2at6native12_GLOBAL__N_135GammaBetaBackwardCUDAKernelTemplateIN3c108BFloat16EfLj32ELj1ELj32ELb1ELb0ELb1EEEvllPKT_S7_PKT0_SA_PS5_SB_,comdat
	.globl	_ZN2at6native12_GLOBAL__N_135GammaBetaBackwardCUDAKernelTemplateIN3c108BFloat16EfLj32ELj1ELj32ELb1ELb0ELb1EEEvllPKT_S7_PKT0_SA_PS5_SB_ ; -- Begin function _ZN2at6native12_GLOBAL__N_135GammaBetaBackwardCUDAKernelTemplateIN3c108BFloat16EfLj32ELj1ELj32ELb1ELb0ELb1EEEvllPKT_S7_PKT0_SA_PS5_SB_
	.p2align	8
	.type	_ZN2at6native12_GLOBAL__N_135GammaBetaBackwardCUDAKernelTemplateIN3c108BFloat16EfLj32ELj1ELj32ELb1ELb0ELb1EEEvllPKT_S7_PKT0_SA_PS5_SB_,@function
_ZN2at6native12_GLOBAL__N_135GammaBetaBackwardCUDAKernelTemplateIN3c108BFloat16EfLj32ELj1ELj32ELb1ELb0ELb1EEEvllPKT_S7_PKT0_SA_PS5_SB_: ; @_ZN2at6native12_GLOBAL__N_135GammaBetaBackwardCUDAKernelTemplateIN3c108BFloat16EfLj32ELj1ELj32ELb1ELb0ELb1EEEvllPKT_S7_PKT0_SA_PS5_SB_
; %bb.0:
	s_load_dwordx8 s[12:19], s[0:1], 0x0
	s_load_dwordx2 s[10:11], s[0:1], 0x28
	s_mov_b32 s8, s3
	s_lshl_b32 s3, s2, 5
	s_mov_b32 s21, 0
	s_lshl_b32 s20, s8, 5
	v_mov_b32_e32 v129, v0
	s_or_b32 s4, s3, 31
	v_mov_b64_e32 v[0:1], s[20:21]
	v_mov_b32_e32 v2, s4
	v_mov_b32_e32 v3, 0
	s_waitcnt lgkmcnt(0)
	v_cmp_gt_i64_e64 s[4:5], s[12:13], v[0:1]
	v_cmp_le_i64_e32 vcc, s[14:15], v[2:3]
	s_nop 0
	v_cndmask_b32_e64 v0, 0, 1, s[4:5]
	v_cmp_ne_u32_e64 s[4:5], 1, v0
	s_cbranch_vccz .LBB199_145
; %bb.1:
	s_and_b64 vcc, exec, s[4:5]
	s_cbranch_vccnz .LBB199_147
; %bb.2:
	v_mov_b32_e32 v2, 0
	v_bfe_u32 v181, v129, 10, 10
	v_and_b32_e32 v180, 0x3ff, v129
	v_lshlrev_b32_e32 v36, 5, v181
	v_mov_b32_e32 v37, v2
	v_add_u32_e32 v0, s3, v180
	v_mov_b32_e32 v1, v2
	v_lshl_add_u64 v[4:5], v[36:37], 0, s[20:21]
	v_cmp_gt_i64_e64 s[6:7], s[14:15], v[0:1]
	v_lshlrev_b64 v[38:39], 1, v[0:1]
	v_mul_lo_u32 v3, s15, v4
	v_mul_lo_u32 v8, s14, v5
	v_mad_u64_u32 v[0:1], s[26:27], s14, v4, 0
	v_add3_u32 v1, v1, v8, v3
	v_lshlrev_b64 v[0:1], 1, v[0:1]
	v_lshl_add_u64 v[40:41], s[16:17], 0, v[0:1]
	v_lshl_add_u64 v[42:43], s[18:19], 0, v[0:1]
	v_lshl_add_u64 v[0:1], v[4:5], 0, 31
	v_mul_lo_u32 v6, s15, v0
	v_mul_lo_u32 v7, s14, v1
	v_mad_u64_u32 v[0:1], s[30:31], s14, v0, 0
	v_add3_u32 v1, v1, v7, v6
	v_lshlrev_b64 v[0:1], 1, v[0:1]
	v_lshl_add_u64 v[44:45], s[16:17], 0, v[0:1]
	v_lshl_add_u64 v[46:47], s[18:19], 0, v[0:1]
	v_lshl_add_u64 v[0:1], v[4:5], 0, 30
	;; [unrolled: 8-line block ×22, first 2 shown]
	v_mul_lo_u32 v6, s15, v0
	v_mul_lo_u32 v7, s14, v1
	v_mad_u64_u32 v[0:1], s[30:31], s14, v0, 0
	v_add3_u32 v1, v1, v7, v6
	v_lshlrev_b64 v[0:1], 1, v[0:1]
	v_mov_b32_e32 v206, v129
	v_lshl_add_u64 v[128:129], s[16:17], 0, v[0:1]
	v_lshl_add_u64 v[130:131], s[18:19], 0, v[0:1]
	v_lshl_add_u64 v[0:1], v[4:5], 0, 9
	v_mul_lo_u32 v6, s15, v0
	v_mul_lo_u32 v7, s14, v1
	v_mad_u64_u32 v[0:1], s[30:31], s14, v0, 0
	v_add3_u32 v1, v1, v7, v6
	v_lshlrev_b64 v[0:1], 1, v[0:1]
	v_lshl_add_u64 v[132:133], s[16:17], 0, v[0:1]
	v_lshl_add_u64 v[134:135], s[18:19], 0, v[0:1]
	v_lshl_add_u64 v[0:1], v[4:5], 0, 8
	v_mul_lo_u32 v6, s15, v0
	v_mul_lo_u32 v7, s14, v1
	v_mad_u64_u32 v[0:1], s[30:31], s14, v0, 0
	v_add3_u32 v1, v1, v7, v6
	v_lshlrev_b64 v[0:1], 1, v[0:1]
	;; [unrolled: 8-line block ×7, first 2 shown]
	v_lshl_add_u64 v[154:155], s[16:17], 0, v[6:7]
	v_lshl_add_u64 v[156:157], s[18:19], 0, v[6:7]
	;; [unrolled: 1-line block ×3, first 2 shown]
	s_load_dword s9, s[0:1], 0x44
	v_mul_lo_u32 v5, s15, v6
	v_mul_lo_u32 v9, s14, v7
	v_mad_u64_u32 v[6:7], s[30:31], s14, v6, 0
	v_add3_u32 v7, v7, v9, v5
	v_lshlrev_b64 v[6:7], 1, v[6:7]
	v_lshl_add_u64 v[158:159], s[16:17], 0, v[6:7]
	v_lshl_add_u64 v[160:161], s[18:19], 0, v[6:7]
	v_mov_b64_e32 v[6:7], s[14:15]
	s_add_u32 s24, s0, 64
	v_mad_u64_u32 v[4:5], s[30:31], s14, v4, v[6:7]
	s_addc_u32 s25, s1, 0
	s_waitcnt lgkmcnt(0)
	s_lshl_b32 s22, s9, 5
	v_add3_u32 v5, v3, v5, v8
	v_mbcnt_lo_u32_b32 v3, -1, 0
	s_mul_i32 s9, s15, s22
	s_mul_hi_u32 s26, s14, s22
	v_mbcnt_hi_u32_b32 v3, -1, v3
	s_add_i32 s27, s26, s9
	s_mul_i32 s26, s14, s22
	v_lshlrev_b64 v[4:5], 1, v[4:5]
	v_lshlrev_b32_e32 v3, 2, v3
	s_mov_b32 s23, 0
	s_lshl_b64 s[26:27], s[26:27], 1
	s_mov_b64 s[28:29], 31
	v_lshl_add_u64 v[162:163], s[16:17], 0, v[4:5]
	v_lshl_add_u64 v[164:165], s[18:19], 0, v[4:5]
	v_and_b32_e32 v182, 0x100, v3
	s_mov_b64 s[30:31], s[20:21]
	v_mov_b32_e32 v183, 0
.LBB199_3:                              ; =>This Inner Loop Header: Depth=1
	s_add_u32 s34, s20, s28
	s_addc_u32 s35, 0, s29
	v_mov_b64_e32 v[4:5], s[12:13]
	v_cmp_ge_i64_e32 vcc, s[34:35], v[4:5]
	v_lshl_add_u64 v[166:167], s[20:21], 0, v[36:37]
	s_mov_b64 s[34:35], -1
	s_and_b64 vcc, exec, vcc
                                        ; implicit-def: $vgpr4_vgpr5_vgpr6_vgpr7_vgpr8_vgpr9_vgpr10_vgpr11_vgpr12_vgpr13_vgpr14_vgpr15_vgpr16_vgpr17_vgpr18_vgpr19_vgpr20_vgpr21_vgpr22_vgpr23_vgpr24_vgpr25_vgpr26_vgpr27_vgpr28_vgpr29_vgpr30_vgpr31_vgpr32_vgpr33_vgpr34_vgpr35
                                        ; implicit-def: $vgpr3
                                        ; implicit-def: $vgpr203
                                        ; implicit-def: $vgpr4
	s_cbranch_vccz .LBB199_73
; %bb.4:                                ;   in Loop: Header=BB199_3 Depth=1
	s_load_dword s9, s[24:25], 0xc
	v_mov_b32_e32 v185, 0
	v_mov_b32_e32 v184, 0
	s_waitcnt lgkmcnt(0)
	s_and_b32 s9, s9, 0xffff
	v_mad_u32_u24 v3, v181, s9, v180
	v_and_b32_e32 v4, 63, v3
	v_cmp_gt_u32_e32 vcc, 32, v4
	s_and_saveexec_b64 s[34:35], vcc
	s_cbranch_execz .LBB199_8
; %bb.5:                                ;   in Loop: Header=BB199_3 Depth=1
	v_mov_b32_e32 v5, v2
	v_lshl_add_u64 v[4:5], v[166:167], 0, v[4:5]
	v_cmp_gt_i64_e32 vcc, s[12:13], v[4:5]
	v_mov_b32_e32 v184, 0
	s_and_saveexec_b64 s[36:37], vcc
	s_cbranch_execz .LBB199_7
; %bb.6:                                ;   in Loop: Header=BB199_3 Depth=1
	v_lshl_add_u64 v[4:5], v[4:5], 2, s[10:11]
	global_load_dword v184, v[4:5], off
.LBB199_7:                              ;   in Loop: Header=BB199_3 Depth=1
	s_or_b64 exec, exec, s[36:37]
.LBB199_8:                              ;   in Loop: Header=BB199_3 Depth=1
	s_or_b64 exec, exec, s[34:35]
	v_mov_b32_e32 v4, v2
	v_mov_b32_e32 v5, v2
	;; [unrolled: 1-line block ×30, first 2 shown]
	v_cmp_gt_i64_e32 vcc, s[12:13], v[166:167]
	v_mov_b32_e32 v3, v2
	v_mov_b64_e32 v[34:35], v[32:33]
	s_and_b64 s[36:37], s[6:7], vcc
	v_mov_b64_e32 v[32:33], v[30:31]
	v_mov_b64_e32 v[30:31], v[28:29]
	;; [unrolled: 1-line block ×15, first 2 shown]
	s_and_saveexec_b64 s[34:35], s[36:37]
	s_cbranch_execz .LBB199_10
; %bb.9:                                ;   in Loop: Header=BB199_3 Depth=1
	v_lshl_add_u64 v[4:5], v[40:41], 0, v[38:39]
	global_load_ushort v3, v[4:5], off
	v_lshl_add_u64 v[4:5], v[42:43], 0, v[38:39]
	global_load_ushort v168, v[4:5], off
	v_mov_b32_e32 v5, v2
	v_mov_b32_e32 v6, v2
	v_mov_b32_e32 v7, v2
	v_mov_b32_e32 v8, v2
	v_mov_b32_e32 v9, v2
	v_mov_b32_e32 v10, v2
	v_mov_b32_e32 v11, v2
	v_mov_b32_e32 v12, v2
	v_mov_b32_e32 v13, v2
	v_mov_b32_e32 v14, v2
	v_mov_b32_e32 v15, v2
	v_mov_b32_e32 v16, v2
	v_mov_b32_e32 v17, v2
	v_mov_b32_e32 v18, v2
	v_mov_b32_e32 v19, v2
	v_mov_b32_e32 v20, v2
	v_mov_b32_e32 v21, v2
	v_mov_b32_e32 v22, v2
	v_mov_b32_e32 v23, v2
	v_mov_b32_e32 v24, v2
	v_mov_b32_e32 v25, v2
	v_mov_b32_e32 v26, v2
	v_mov_b32_e32 v27, v2
	v_mov_b32_e32 v28, v2
	v_mov_b32_e32 v29, v2
	v_mov_b32_e32 v30, v2
	v_mov_b32_e32 v31, v2
	v_mov_b32_e32 v32, v2
	v_mov_b32_e32 v33, v2
	v_mov_b32_e32 v34, v2
	v_mov_b32_e32 v35, v2
	s_waitcnt vmcnt(1)
	v_lshlrev_b32_e32 v4, 16, v3
	s_waitcnt vmcnt(0)
	v_lshlrev_b32_e32 v185, 16, v168
.LBB199_10:                             ;   in Loop: Header=BB199_3 Depth=1
	s_or_b64 exec, exec, s[34:35]
	v_lshl_add_u64 v[168:169], v[166:167], 0, 1
	v_cmp_gt_i64_e32 vcc, s[12:13], v[168:169]
	s_and_b64 s[36:37], s[6:7], vcc
	v_mov_b32_e32 v3, 0
	v_mov_b32_e32 v186, 0
	s_and_saveexec_b64 s[34:35], s[36:37]
	s_cbranch_execz .LBB199_12
; %bb.11:                               ;   in Loop: Header=BB199_3 Depth=1
	v_lshl_add_u64 v[168:169], v[162:163], 0, v[38:39]
	global_load_ushort v5, v[168:169], off
	v_lshl_add_u64 v[168:169], v[164:165], 0, v[38:39]
	global_load_ushort v168, v[168:169], off
	s_waitcnt vmcnt(1)
	v_lshlrev_b32_e32 v5, 16, v5
	s_waitcnt vmcnt(0)
	v_lshlrev_b32_e32 v186, 16, v168
.LBB199_12:                             ;   in Loop: Header=BB199_3 Depth=1
	s_or_b64 exec, exec, s[34:35]
	v_lshl_add_u64 v[168:169], v[166:167], 0, 2
	v_cmp_gt_i64_e32 vcc, s[12:13], v[168:169]
	s_and_b64 s[36:37], s[6:7], vcc
	s_and_saveexec_b64 s[34:35], s[36:37]
	s_cbranch_execz .LBB199_14
; %bb.13:                               ;   in Loop: Header=BB199_3 Depth=1
	v_lshl_add_u64 v[168:169], v[158:159], 0, v[38:39]
	global_load_ushort v3, v[168:169], off
	v_lshl_add_u64 v[168:169], v[160:161], 0, v[38:39]
	global_load_ushort v168, v[168:169], off
	s_waitcnt vmcnt(1)
	v_lshlrev_b32_e32 v6, 16, v3
	s_waitcnt vmcnt(0)
	v_lshlrev_b32_e32 v3, 16, v168
.LBB199_14:                             ;   in Loop: Header=BB199_3 Depth=1
	s_or_b64 exec, exec, s[34:35]
	v_lshl_add_u64 v[168:169], v[166:167], 0, 3
	v_cmp_gt_i64_e32 vcc, s[12:13], v[168:169]
	s_and_b64 s[36:37], s[6:7], vcc
	v_mov_b32_e32 v187, 0
	v_mov_b32_e32 v188, 0
	s_and_saveexec_b64 s[34:35], s[36:37]
	s_cbranch_execz .LBB199_16
; %bb.15:                               ;   in Loop: Header=BB199_3 Depth=1
	v_lshl_add_u64 v[168:169], v[154:155], 0, v[38:39]
	global_load_ushort v7, v[168:169], off
	v_lshl_add_u64 v[168:169], v[156:157], 0, v[38:39]
	global_load_ushort v168, v[168:169], off
	s_waitcnt vmcnt(1)
	v_lshlrev_b32_e32 v7, 16, v7
	s_waitcnt vmcnt(0)
	v_lshlrev_b32_e32 v188, 16, v168
.LBB199_16:                             ;   in Loop: Header=BB199_3 Depth=1
	s_or_b64 exec, exec, s[34:35]
	v_lshl_add_u64 v[168:169], v[166:167], 0, 4
	v_cmp_gt_i64_e32 vcc, s[12:13], v[168:169]
	s_and_b64 s[36:37], s[6:7], vcc
	s_and_saveexec_b64 s[34:35], s[36:37]
	s_cbranch_execz .LBB199_18
; %bb.17:                               ;   in Loop: Header=BB199_3 Depth=1
	v_lshl_add_u64 v[168:169], v[150:151], 0, v[38:39]
	global_load_ushort v8, v[168:169], off
	v_lshl_add_u64 v[168:169], v[152:153], 0, v[38:39]
	global_load_ushort v168, v[168:169], off
	s_waitcnt vmcnt(1)
	v_lshlrev_b32_e32 v8, 16, v8
	s_waitcnt vmcnt(0)
	v_lshlrev_b32_e32 v187, 16, v168
.LBB199_18:                             ;   in Loop: Header=BB199_3 Depth=1
	;; [unrolled: 34-line block ×15, first 2 shown]
	s_or_b64 exec, exec, s[34:35]
	v_lshl_add_u64 v[204:205], v[166:167], 0, 31
	v_cmp_gt_i64_e32 vcc, s[12:13], v[204:205]
	s_and_b64 s[36:37], s[6:7], vcc
	v_mov_b32_e32 v203, 0
	s_and_saveexec_b64 s[34:35], s[36:37]
	s_cbranch_execz .LBB199_72
; %bb.71:                               ;   in Loop: Header=BB199_3 Depth=1
	v_lshl_add_u64 v[204:205], v[44:45], 0, v[38:39]
	global_load_ushort v35, v[204:205], off
	v_lshl_add_u64 v[204:205], v[46:47], 0, v[38:39]
	global_load_ushort v203, v[204:205], off
	s_waitcnt vmcnt(1)
	v_lshlrev_b32_e32 v35, 16, v35
	s_waitcnt vmcnt(0)
	v_lshlrev_b32_e32 v203, 16, v203
.LBB199_72:                             ;   in Loop: Header=BB199_3 Depth=1
	s_or_b64 exec, exec, s[34:35]
	s_waitcnt vmcnt(0)
	ds_bpermute_b32 v204, v182, v184
	ds_bpermute_b32 v205, v182, v184 offset:4
	v_mul_f32_e32 v4, v185, v4
	ds_bpermute_b32 v185, v182, v184 offset:8
	v_mul_f32_e32 v5, v186, v5
	s_waitcnt lgkmcnt(2)
	v_fma_f32 v186, v4, v204, v183
	ds_bpermute_b32 v4, v182, v184 offset:12
	s_waitcnt lgkmcnt(2)
	v_fmac_f32_e32 v186, v5, v205
	v_mul_f32_e32 v3, v3, v6
	s_waitcnt lgkmcnt(1)
	v_fmac_f32_e32 v186, v3, v185
	ds_bpermute_b32 v3, v182, v184 offset:16
	v_mul_f32_e32 v5, v188, v7
	s_waitcnt lgkmcnt(1)
	v_fmac_f32_e32 v186, v5, v4
	ds_bpermute_b32 v4, v182, v184 offset:20
	v_mul_f32_e32 v5, v187, v8
	s_waitcnt lgkmcnt(1)
	v_fmac_f32_e32 v186, v5, v3
	ds_bpermute_b32 v3, v182, v184 offset:24
	v_mul_f32_e32 v5, v190, v9
	s_waitcnt lgkmcnt(1)
	v_fmac_f32_e32 v186, v5, v4
	ds_bpermute_b32 v4, v182, v184 offset:28
	v_mul_f32_e32 v5, v189, v10
	s_waitcnt lgkmcnt(1)
	v_fmac_f32_e32 v186, v5, v3
	ds_bpermute_b32 v3, v182, v184 offset:32
	v_mul_f32_e32 v5, v192, v11
	s_waitcnt lgkmcnt(1)
	v_fmac_f32_e32 v186, v5, v4
	ds_bpermute_b32 v4, v182, v184 offset:36
	v_mul_f32_e32 v5, v191, v12
	s_waitcnt lgkmcnt(1)
	v_fmac_f32_e32 v186, v5, v3
	ds_bpermute_b32 v3, v182, v184 offset:40
	v_mul_f32_e32 v5, v194, v13
	s_waitcnt lgkmcnt(1)
	v_fmac_f32_e32 v186, v5, v4
	ds_bpermute_b32 v4, v182, v184 offset:44
	v_mul_f32_e32 v5, v193, v14
	s_waitcnt lgkmcnt(1)
	v_fmac_f32_e32 v186, v5, v3
	ds_bpermute_b32 v3, v182, v184 offset:48
	v_mul_f32_e32 v5, v196, v15
	s_waitcnt lgkmcnt(1)
	v_fmac_f32_e32 v186, v5, v4
	ds_bpermute_b32 v4, v182, v184 offset:52
	v_mul_f32_e32 v5, v195, v16
	s_waitcnt lgkmcnt(1)
	v_fmac_f32_e32 v186, v5, v3
	ds_bpermute_b32 v3, v182, v184 offset:56
	v_mul_f32_e32 v5, v198, v17
	s_waitcnt lgkmcnt(1)
	v_fmac_f32_e32 v186, v5, v4
	ds_bpermute_b32 v4, v182, v184 offset:60
	v_mul_f32_e32 v5, v197, v18
	s_waitcnt lgkmcnt(1)
	v_fmac_f32_e32 v186, v5, v3
	ds_bpermute_b32 v3, v182, v184 offset:64
	v_mul_f32_e32 v5, v200, v19
	s_waitcnt lgkmcnt(1)
	v_fmac_f32_e32 v186, v5, v4
	ds_bpermute_b32 v4, v182, v184 offset:68
	v_mul_f32_e32 v5, v199, v20
	ds_bpermute_b32 v6, v182, v184 offset:72
	s_waitcnt lgkmcnt(2)
	v_fmac_f32_e32 v186, v5, v3
	v_mul_f32_e32 v3, v202, v21
	s_waitcnt lgkmcnt(1)
	v_fmac_f32_e32 v186, v3, v4
	ds_bpermute_b32 v4, v182, v184 offset:76
	ds_bpermute_b32 v5, v182, v184 offset:80
	v_mul_f32_e32 v3, v201, v22
	s_waitcnt lgkmcnt(2)
	v_fmac_f32_e32 v186, v3, v6
	v_mov_b32_e32 v6, v23
	v_mov_b32_e32 v7, v24
	v_pk_mul_f32 v[6:7], v[168:169], v[6:7]
	s_mov_b64 s[34:35], 0
	s_waitcnt lgkmcnt(0)
	v_pk_mul_f32 v[4:5], v[6:7], v[4:5]
	ds_bpermute_b32 v6, v182, v184 offset:84
	ds_bpermute_b32 v7, v182, v184 offset:88
	v_add_f32_e32 v3, v186, v4
	v_add_f32_e32 v3, v3, v5
	v_mov_b32_e32 v4, v25
	v_mov_b32_e32 v5, v26
	v_pk_mul_f32 v[4:5], v[170:171], v[4:5]
	s_waitcnt lgkmcnt(0)
	v_pk_mul_f32 v[4:5], v[4:5], v[6:7]
	ds_bpermute_b32 v6, v182, v184 offset:92
	ds_bpermute_b32 v7, v182, v184 offset:96
	v_add_f32_e32 v3, v3, v4
	v_add_f32_e32 v3, v3, v5
	v_mov_b32_e32 v4, v27
	v_mov_b32_e32 v5, v28
	v_pk_mul_f32 v[4:5], v[172:173], v[4:5]
	;; [unrolled: 9-line block ×5, first 2 shown]
	ds_bpermute_b32 v4, v182, v184 offset:124
	s_waitcnt lgkmcnt(1)
	v_pk_mul_f32 v[6:7], v[8:9], v[6:7]
	s_nop 0
	v_add_f32_e32 v3, v3, v6
	v_add_f32_e32 v3, v3, v7
.LBB199_73:                             ;   in Loop: Header=BB199_3 Depth=1
	s_and_b64 vcc, exec, s[34:35]
	s_cbranch_vccz .LBB199_141
; %bb.74:                               ;   in Loop: Header=BB199_3 Depth=1
	s_load_dword s9, s[24:25], 0x0
	v_mov_b32_e32 v179, 0
	v_mov_b32_e32 v178, 0
	s_waitcnt lgkmcnt(0)
	s_cmp_lt_u32 s2, s9
	s_cselect_b32 s9, 12, 18
	s_add_u32 s34, s24, s9
	s_addc_u32 s35, s25, 0
	global_load_ushort v3, v2, s[34:35]
	s_waitcnt vmcnt(0)
	v_mad_u32_u24 v3, v181, v3, v180
	v_and_b32_e32 v4, 63, v3
	v_cmp_gt_u32_e32 vcc, 32, v4
	s_and_saveexec_b64 s[34:35], vcc
	s_cbranch_execz .LBB199_78
; %bb.75:                               ;   in Loop: Header=BB199_3 Depth=1
	v_mov_b32_e32 v5, v2
	v_lshl_add_u64 v[4:5], v[166:167], 0, v[4:5]
	v_cmp_gt_i64_e32 vcc, s[12:13], v[4:5]
	v_mov_b32_e32 v178, 0
	s_and_saveexec_b64 s[36:37], vcc
	s_cbranch_execz .LBB199_77
; %bb.76:                               ;   in Loop: Header=BB199_3 Depth=1
	v_lshl_add_u64 v[4:5], v[4:5], 2, s[10:11]
	global_load_dword v178, v[4:5], off
.LBB199_77:                             ;   in Loop: Header=BB199_3 Depth=1
	s_or_b64 exec, exec, s[36:37]
.LBB199_78:                             ;   in Loop: Header=BB199_3 Depth=1
	s_or_b64 exec, exec, s[34:35]
	v_mov_b32_e32 v4, v2
	v_mov_b32_e32 v5, v2
	v_mov_b32_e32 v6, v2
	v_mov_b32_e32 v7, v2
	v_mov_b32_e32 v8, v2
	v_mov_b32_e32 v9, v2
	v_mov_b32_e32 v10, v2
	v_mov_b32_e32 v11, v2
	v_mov_b32_e32 v12, v2
	v_mov_b32_e32 v13, v2
	v_mov_b32_e32 v14, v2
	v_mov_b32_e32 v15, v2
	v_mov_b32_e32 v16, v2
	v_mov_b32_e32 v17, v2
	v_mov_b32_e32 v18, v2
	v_mov_b32_e32 v19, v2
	v_mov_b32_e32 v20, v2
	v_mov_b32_e32 v21, v2
	v_mov_b32_e32 v22, v2
	v_mov_b32_e32 v23, v2
	v_mov_b32_e32 v24, v2
	v_mov_b32_e32 v25, v2
	v_mov_b32_e32 v26, v2
	v_mov_b32_e32 v27, v2
	v_mov_b32_e32 v28, v2
	v_mov_b32_e32 v29, v2
	v_mov_b32_e32 v30, v2
	v_mov_b32_e32 v31, v2
	v_mov_b32_e32 v32, v2
	v_mov_b32_e32 v33, v2
	v_mov_b32_e32 v3, v2
	v_mov_b64_e32 v[34:35], v[32:33]
	v_mov_b64_e32 v[32:33], v[30:31]
	;; [unrolled: 1-line block ×16, first 2 shown]
	s_and_saveexec_b64 s[34:35], s[6:7]
	s_cbranch_execz .LBB199_80
; %bb.79:                               ;   in Loop: Header=BB199_3 Depth=1
	v_lshl_add_u64 v[4:5], v[40:41], 0, v[38:39]
	global_load_ushort v3, v[4:5], off
	v_lshl_add_u64 v[4:5], v[42:43], 0, v[38:39]
	global_load_ushort v166, v[4:5], off
	v_mov_b32_e32 v5, v2
	v_mov_b32_e32 v6, v2
	;; [unrolled: 1-line block ×31, first 2 shown]
	s_waitcnt vmcnt(1)
	v_lshlrev_b32_e32 v4, 16, v3
	s_waitcnt vmcnt(0)
	v_lshlrev_b32_e32 v179, 16, v166
.LBB199_80:                             ;   in Loop: Header=BB199_3 Depth=1
	s_or_b64 exec, exec, s[34:35]
	v_mov_b32_e32 v3, 0
	v_mov_b32_e32 v184, 0
	s_and_saveexec_b64 s[34:35], s[6:7]
	s_cbranch_execz .LBB199_82
; %bb.81:                               ;   in Loop: Header=BB199_3 Depth=1
	v_lshl_add_u64 v[166:167], v[162:163], 0, v[38:39]
	global_load_ushort v5, v[166:167], off
	v_lshl_add_u64 v[166:167], v[164:165], 0, v[38:39]
	global_load_ushort v166, v[166:167], off
	s_waitcnt vmcnt(1)
	v_lshlrev_b32_e32 v5, 16, v5
	s_waitcnt vmcnt(0)
	v_lshlrev_b32_e32 v184, 16, v166
.LBB199_82:                             ;   in Loop: Header=BB199_3 Depth=1
	s_or_b64 exec, exec, s[34:35]
	s_and_saveexec_b64 s[34:35], s[6:7]
	s_cbranch_execz .LBB199_84
; %bb.83:                               ;   in Loop: Header=BB199_3 Depth=1
	v_lshl_add_u64 v[166:167], v[158:159], 0, v[38:39]
	global_load_ushort v3, v[166:167], off
	v_lshl_add_u64 v[166:167], v[160:161], 0, v[38:39]
	global_load_ushort v166, v[166:167], off
	s_waitcnt vmcnt(1)
	v_lshlrev_b32_e32 v6, 16, v3
	s_waitcnt vmcnt(0)
	v_lshlrev_b32_e32 v3, 16, v166
.LBB199_84:                             ;   in Loop: Header=BB199_3 Depth=1
	s_or_b64 exec, exec, s[34:35]
	v_mov_b32_e32 v185, 0
	v_mov_b32_e32 v186, 0
	s_and_saveexec_b64 s[34:35], s[6:7]
	s_cbranch_execz .LBB199_86
; %bb.85:                               ;   in Loop: Header=BB199_3 Depth=1
	v_lshl_add_u64 v[166:167], v[154:155], 0, v[38:39]
	global_load_ushort v7, v[166:167], off
	v_lshl_add_u64 v[166:167], v[156:157], 0, v[38:39]
	global_load_ushort v166, v[166:167], off
	s_waitcnt vmcnt(1)
	v_lshlrev_b32_e32 v7, 16, v7
	s_waitcnt vmcnt(0)
	v_lshlrev_b32_e32 v186, 16, v166
.LBB199_86:                             ;   in Loop: Header=BB199_3 Depth=1
	s_or_b64 exec, exec, s[34:35]
	s_and_saveexec_b64 s[34:35], s[6:7]
	s_cbranch_execz .LBB199_88
; %bb.87:                               ;   in Loop: Header=BB199_3 Depth=1
	v_lshl_add_u64 v[166:167], v[150:151], 0, v[38:39]
	global_load_ushort v8, v[166:167], off
	v_lshl_add_u64 v[166:167], v[152:153], 0, v[38:39]
	global_load_ushort v166, v[166:167], off
	s_waitcnt vmcnt(1)
	v_lshlrev_b32_e32 v8, 16, v8
	s_waitcnt vmcnt(0)
	v_lshlrev_b32_e32 v185, 16, v166
.LBB199_88:                             ;   in Loop: Header=BB199_3 Depth=1
	;; [unrolled: 28-line block ×4, first 2 shown]
	s_or_b64 exec, exec, s[34:35]
	v_mov_b32_e32 v191, 0
	v_mov_b32_e32 v192, 0
	s_and_saveexec_b64 s[34:35], s[6:7]
	s_cbranch_execz .LBB199_98
; %bb.97:                               ;   in Loop: Header=BB199_3 Depth=1
	v_lshl_add_u64 v[166:167], v[132:133], 0, v[38:39]
	global_load_ushort v13, v[166:167], off
	v_lshl_add_u64 v[166:167], v[134:135], 0, v[38:39]
	global_load_ushort v166, v[166:167], off
	s_waitcnt vmcnt(1)
	v_lshlrev_b32_e32 v13, 16, v13
	s_waitcnt vmcnt(0)
	v_lshlrev_b32_e32 v192, 16, v166
.LBB199_98:                             ;   in Loop: Header=BB199_3 Depth=1
	s_or_b64 exec, exec, s[34:35]
	s_and_saveexec_b64 s[34:35], s[6:7]
	s_cbranch_execz .LBB199_100
; %bb.99:                               ;   in Loop: Header=BB199_3 Depth=1
	v_lshl_add_u64 v[166:167], v[128:129], 0, v[38:39]
	global_load_ushort v14, v[166:167], off
	v_lshl_add_u64 v[166:167], v[130:131], 0, v[38:39]
	global_load_ushort v166, v[166:167], off
	s_waitcnt vmcnt(1)
	v_lshlrev_b32_e32 v14, 16, v14
	s_waitcnt vmcnt(0)
	v_lshlrev_b32_e32 v191, 16, v166
.LBB199_100:                            ;   in Loop: Header=BB199_3 Depth=1
	s_or_b64 exec, exec, s[34:35]
	v_mov_b32_e32 v193, 0
	v_mov_b32_e32 v194, 0
	s_and_saveexec_b64 s[34:35], s[6:7]
	s_cbranch_execz .LBB199_102
; %bb.101:                              ;   in Loop: Header=BB199_3 Depth=1
	v_lshl_add_u64 v[166:167], v[124:125], 0, v[38:39]
	global_load_ushort v15, v[166:167], off
	v_lshl_add_u64 v[166:167], v[126:127], 0, v[38:39]
	global_load_ushort v166, v[166:167], off
	s_waitcnt vmcnt(1)
	v_lshlrev_b32_e32 v15, 16, v15
	s_waitcnt vmcnt(0)
	v_lshlrev_b32_e32 v194, 16, v166
.LBB199_102:                            ;   in Loop: Header=BB199_3 Depth=1
	s_or_b64 exec, exec, s[34:35]
	s_and_saveexec_b64 s[34:35], s[6:7]
	s_cbranch_execz .LBB199_104
; %bb.103:                              ;   in Loop: Header=BB199_3 Depth=1
	v_lshl_add_u64 v[166:167], v[120:121], 0, v[38:39]
	global_load_ushort v16, v[166:167], off
	v_lshl_add_u64 v[166:167], v[122:123], 0, v[38:39]
	global_load_ushort v166, v[166:167], off
	s_waitcnt vmcnt(1)
	v_lshlrev_b32_e32 v16, 16, v16
	s_waitcnt vmcnt(0)
	v_lshlrev_b32_e32 v193, 16, v166
.LBB199_104:                            ;   in Loop: Header=BB199_3 Depth=1
	s_or_b64 exec, exec, s[34:35]
	v_mov_b32_e32 v195, 0
	v_mov_b32_e32 v196, 0
	s_and_saveexec_b64 s[34:35], s[6:7]
	s_cbranch_execz .LBB199_106
; %bb.105:                              ;   in Loop: Header=BB199_3 Depth=1
	v_lshl_add_u64 v[166:167], v[116:117], 0, v[38:39]
	global_load_ushort v17, v[166:167], off
	v_lshl_add_u64 v[166:167], v[118:119], 0, v[38:39]
	global_load_ushort v166, v[166:167], off
	s_waitcnt vmcnt(1)
	v_lshlrev_b32_e32 v17, 16, v17
	s_waitcnt vmcnt(0)
	v_lshlrev_b32_e32 v196, 16, v166
.LBB199_106:                            ;   in Loop: Header=BB199_3 Depth=1
	s_or_b64 exec, exec, s[34:35]
	s_and_saveexec_b64 s[34:35], s[6:7]
	s_cbranch_execz .LBB199_108
; %bb.107:                              ;   in Loop: Header=BB199_3 Depth=1
	v_lshl_add_u64 v[166:167], v[112:113], 0, v[38:39]
	global_load_ushort v18, v[166:167], off
	v_lshl_add_u64 v[166:167], v[114:115], 0, v[38:39]
	global_load_ushort v166, v[166:167], off
	s_waitcnt vmcnt(1)
	v_lshlrev_b32_e32 v18, 16, v18
	s_waitcnt vmcnt(0)
	v_lshlrev_b32_e32 v195, 16, v166
.LBB199_108:                            ;   in Loop: Header=BB199_3 Depth=1
	;; [unrolled: 28-line block ×9, first 2 shown]
	s_or_b64 exec, exec, s[34:35]
	v_mov_b32_e32 v177, 0
	v_mov_b32_e32 v176, 0
	s_and_saveexec_b64 s[34:35], s[6:7]
	s_cbranch_execnz .LBB199_143
; %bb.137:                              ;   in Loop: Header=BB199_3 Depth=1
	s_or_b64 exec, exec, s[34:35]
	s_and_saveexec_b64 s[34:35], s[6:7]
	s_cbranch_execnz .LBB199_144
.LBB199_138:                            ;   in Loop: Header=BB199_3 Depth=1
	s_or_b64 exec, exec, s[34:35]
	v_mov_b32_e32 v203, 0
	s_and_saveexec_b64 s[34:35], s[6:7]
	s_cbranch_execz .LBB199_140
.LBB199_139:                            ;   in Loop: Header=BB199_3 Depth=1
	v_lshl_add_u64 v[202:203], v[44:45], 0, v[38:39]
	global_load_ushort v35, v[202:203], off
	v_lshl_add_u64 v[202:203], v[46:47], 0, v[38:39]
	global_load_ushort v201, v[202:203], off
	s_waitcnt vmcnt(1)
	v_lshlrev_b32_e32 v35, 16, v35
	s_waitcnt vmcnt(0)
	v_lshlrev_b32_e32 v203, 16, v201
.LBB199_140:                            ;   in Loop: Header=BB199_3 Depth=1
	s_or_b64 exec, exec, s[34:35]
	s_waitcnt vmcnt(0)
	ds_bpermute_b32 v201, v182, v178
	ds_bpermute_b32 v202, v182, v178 offset:4
	v_mul_f32_e32 v4, v179, v4
	ds_bpermute_b32 v179, v182, v178 offset:8
	v_mul_f32_e32 v5, v184, v5
	s_waitcnt lgkmcnt(2)
	v_fmac_f32_e32 v183, v4, v201
	ds_bpermute_b32 v4, v182, v178 offset:12
	s_waitcnt lgkmcnt(2)
	v_fmac_f32_e32 v183, v5, v202
	v_mul_f32_e32 v3, v3, v6
	s_waitcnt lgkmcnt(1)
	v_fmac_f32_e32 v183, v3, v179
	ds_bpermute_b32 v3, v182, v178 offset:16
	v_mul_f32_e32 v5, v186, v7
	s_waitcnt lgkmcnt(1)
	v_fmac_f32_e32 v183, v5, v4
	ds_bpermute_b32 v4, v182, v178 offset:20
	;; [unrolled: 4-line block ×14, first 2 shown]
	v_mul_f32_e32 v5, v197, v20
	ds_bpermute_b32 v6, v182, v178 offset:72
	s_waitcnt lgkmcnt(2)
	v_fmac_f32_e32 v183, v5, v3
	v_mul_f32_e32 v3, v200, v21
	s_waitcnt lgkmcnt(1)
	v_fmac_f32_e32 v183, v3, v4
	ds_bpermute_b32 v4, v182, v178 offset:76
	ds_bpermute_b32 v5, v182, v178 offset:80
	v_mul_f32_e32 v3, v199, v22
	s_waitcnt lgkmcnt(2)
	v_fmac_f32_e32 v183, v3, v6
	v_mov_b32_e32 v6, v23
	v_mov_b32_e32 v7, v24
	v_pk_mul_f32 v[6:7], v[166:167], v[6:7]
	v_mov_b32_e32 v8, v33
	s_waitcnt lgkmcnt(0)
	v_pk_mul_f32 v[4:5], v[6:7], v[4:5]
	ds_bpermute_b32 v6, v182, v178 offset:84
	ds_bpermute_b32 v7, v182, v178 offset:88
	v_add_f32_e32 v3, v183, v4
	v_add_f32_e32 v3, v3, v5
	v_mov_b32_e32 v4, v25
	v_mov_b32_e32 v5, v26
	v_pk_mul_f32 v[4:5], v[168:169], v[4:5]
	v_mov_b32_e32 v9, v34
	s_waitcnt lgkmcnt(0)
	v_pk_mul_f32 v[4:5], v[4:5], v[6:7]
	ds_bpermute_b32 v6, v182, v178 offset:92
	ds_bpermute_b32 v7, v182, v178 offset:96
	v_add_f32_e32 v3, v3, v4
	v_add_f32_e32 v3, v3, v5
	v_mov_b32_e32 v4, v27
	v_mov_b32_e32 v5, v28
	v_pk_mul_f32 v[4:5], v[170:171], v[4:5]
	v_pk_mul_f32 v[8:9], v[176:177], v[8:9]
	s_waitcnt lgkmcnt(0)
	v_pk_mul_f32 v[4:5], v[4:5], v[6:7]
	ds_bpermute_b32 v6, v182, v178 offset:100
	ds_bpermute_b32 v7, v182, v178 offset:104
	v_add_f32_e32 v3, v3, v4
	v_add_f32_e32 v3, v3, v5
	v_mov_b32_e32 v4, v29
	v_mov_b32_e32 v5, v30
	v_pk_mul_f32 v[4:5], v[172:173], v[4:5]
	s_waitcnt lgkmcnt(0)
	v_pk_mul_f32 v[4:5], v[4:5], v[6:7]
	ds_bpermute_b32 v6, v182, v178 offset:108
	ds_bpermute_b32 v7, v182, v178 offset:112
	v_add_f32_e32 v3, v3, v4
	v_add_f32_e32 v3, v3, v5
	v_mov_b32_e32 v4, v31
	v_mov_b32_e32 v5, v32
	v_pk_mul_f32 v[4:5], v[174:175], v[4:5]
	s_waitcnt lgkmcnt(0)
	v_pk_mul_f32 v[4:5], v[4:5], v[6:7]
	ds_bpermute_b32 v6, v182, v178 offset:116
	ds_bpermute_b32 v7, v182, v178 offset:120
	v_add_f32_e32 v3, v3, v4
	ds_bpermute_b32 v4, v182, v178 offset:124
	v_add_f32_e32 v3, v3, v5
	s_waitcnt lgkmcnt(1)
	v_pk_mul_f32 v[6:7], v[8:9], v[6:7]
	s_nop 0
	v_add_f32_e32 v3, v3, v6
	v_add_f32_e32 v3, v3, v7
.LBB199_141:                            ;   in Loop: Header=BB199_3 Depth=1
	v_mul_f32_e32 v5, v203, v35
	s_add_u32 s30, s30, s22
	s_waitcnt lgkmcnt(0)
	v_fmac_f32_e32 v3, v5, v4
	s_addc_u32 s31, s31, 0
	v_mov_b64_e32 v[4:5], s[12:13]
	s_add_u32 s28, s28, s22
	v_cmp_lt_i64_e32 vcc, s[30:31], v[4:5]
	v_lshl_add_u64 v[40:41], v[40:41], 0, s[26:27]
	v_lshl_add_u64 v[42:43], v[42:43], 0, s[26:27]
	;; [unrolled: 1-line block ×65, first 2 shown]
	s_addc_u32 s29, 0, s29
	s_cbranch_vccz .LBB199_146
; %bb.142:                              ;   in Loop: Header=BB199_3 Depth=1
	v_mov_b32_e32 v183, v3
	s_branch .LBB199_3
.LBB199_143:                            ;   in Loop: Header=BB199_3 Depth=1
	v_lshl_add_u64 v[202:203], v[52:53], 0, v[38:39]
	global_load_ushort v33, v[202:203], off
	v_lshl_add_u64 v[202:203], v[54:55], 0, v[38:39]
	global_load_ushort v176, v[202:203], off
	s_waitcnt vmcnt(1)
	v_lshlrev_b32_e32 v33, 16, v33
	s_waitcnt vmcnt(0)
	v_lshlrev_b32_e32 v176, 16, v176
	s_or_b64 exec, exec, s[34:35]
	s_and_saveexec_b64 s[34:35], s[6:7]
	s_cbranch_execz .LBB199_138
.LBB199_144:                            ;   in Loop: Header=BB199_3 Depth=1
	v_lshl_add_u64 v[202:203], v[48:49], 0, v[38:39]
	global_load_ushort v34, v[202:203], off
	v_lshl_add_u64 v[202:203], v[50:51], 0, v[38:39]
	global_load_ushort v177, v[202:203], off
	s_waitcnt vmcnt(1)
	v_lshlrev_b32_e32 v34, 16, v34
	s_waitcnt vmcnt(0)
	v_lshlrev_b32_e32 v177, 16, v177
	s_or_b64 exec, exec, s[34:35]
	v_mov_b32_e32 v203, 0
	s_and_saveexec_b64 s[34:35], s[6:7]
	s_cbranch_execnz .LBB199_139
	s_branch .LBB199_140
.LBB199_145:
                                        ; implicit-def: $vgpr3
	s_load_dwordx2 s[6:7], s[0:1], 0x30
	s_branch .LBB199_148
.LBB199_146:
	v_mov_b32_e32 v129, v206
.LBB199_147:
	s_load_dwordx2 s[6:7], s[0:1], 0x30
	s_cbranch_execnz .LBB199_228
.LBB199_148:
	s_and_b64 vcc, exec, s[4:5]
	v_mov_b32_e32 v3, 0
	s_cbranch_vccnz .LBB199_228
; %bb.149:
	v_mov_b32_e32 v2, 0
	v_bfe_u32 v18, v129, 10, 10
	v_lshlrev_b32_e32 v0, 6, v18
	v_mov_b32_e32 v1, v2
	v_lshl_add_u64 v[0:1], s[20:21], 1, v[0:1]
	v_lshl_add_u64 v[8:9], v[0:1], 0, 2
	v_mov_b64_e32 v[4:5], s[16:17]
	v_mov_b64_e32 v[6:7], s[18:19]
	v_mad_u64_u32 v[90:91], s[4:5], s14, v8, v[4:5]
	v_mul_lo_u32 v3, s14, v9
	v_mul_lo_u32 v9, s15, v8
	v_lshl_add_u64 v[10:11], v[0:1], 0, 4
	v_lshl_add_u64 v[14:15], v[0:1], 0, 8
	v_mad_u64_u32 v[96:97], s[4:5], s14, v8, v[6:7]
	v_add3_u32 v91, v9, v91, v3
	v_mad_u64_u32 v[92:93], s[4:5], s14, v10, v[4:5]
	v_mul_lo_u32 v16, s15, v10
	v_add3_u32 v97, v9, v97, v3
	v_mad_u64_u32 v[98:99], s[4:5], s14, v14, v[4:5]
	v_mad_u64_u32 v[100:101], s[4:5], s14, v10, v[6:7]
	v_mul_lo_u32 v3, s14, v15
	v_mul_lo_u32 v10, s15, v14
	v_lshl_add_u64 v[8:9], v[0:1], 0, 10
	v_mad_u64_u32 v[104:105], s[4:5], s14, v14, v[6:7]
	v_add3_u32 v99, v10, v99, v3
	v_add3_u32 v105, v10, v105, v3
	v_mul_lo_u32 v3, s14, v9
	v_mul_lo_u32 v9, s15, v8
	v_mad_u64_u32 v[106:107], s[4:5], s14, v8, v[4:5]
	v_mad_u64_u32 v[108:109], s[4:5], s14, v8, v[6:7]
	v_add3_u32 v107, v9, v107, v3
	v_add3_u32 v109, v9, v109, v3
	v_lshl_add_u64 v[8:9], v[0:1], 0, 12
	v_mul_lo_u32 v3, s14, v9
	v_mul_lo_u32 v9, s15, v8
	v_mad_u64_u32 v[110:111], s[4:5], s14, v8, v[4:5]
	v_mad_u64_u32 v[112:113], s[4:5], s14, v8, v[6:7]
	v_add3_u32 v111, v9, v111, v3
	v_add3_u32 v113, v9, v113, v3
	v_lshl_add_u64 v[8:9], v[0:1], 0, 14
	;; [unrolled: 7-line block ×4, first 2 shown]
	v_mul_lo_u32 v3, s14, v9
	v_mul_lo_u32 v9, s15, v8
	v_mad_u64_u32 v[122:123], s[4:5], s14, v8, v[4:5]
	v_mad_u64_u32 v[124:125], s[4:5], s14, v8, v[6:7]
	v_mul_lo_u32 v11, s14, v11
	v_add3_u32 v123, v9, v123, v3
	v_add3_u32 v125, v9, v125, v3
	v_lshl_add_u64 v[8:9], v[0:1], 0, 20
	v_add3_u32 v93, v16, v93, v11
	v_add3_u32 v101, v16, v101, v11
	v_mul_lo_u32 v3, s14, v9
	v_mul_lo_u32 v9, s15, v8
	v_mad_u64_u32 v[10:11], s[4:5], s14, v8, v[6:7]
	v_mad_u64_u32 v[126:127], s[4:5], s14, v8, v[4:5]
	v_add3_u32 v11, v9, v11, v3
	v_add3_u32 v127, v9, v127, v3
	v_accvgpr_write_b32 a41, v11
	v_lshl_add_u64 v[8:9], v[0:1], 0, 22
	v_accvgpr_write_b32 a40, v10
	v_mul_lo_u32 v3, s14, v9
	v_mul_lo_u32 v9, s15, v8
	v_mad_u64_u32 v[10:11], s[4:5], s14, v8, v[4:5]
	v_add3_u32 v11, v9, v11, v3
	v_accvgpr_write_b32 a43, v11
	v_accvgpr_write_b32 a42, v10
	v_mad_u64_u32 v[10:11], s[4:5], s14, v8, v[6:7]
	v_add3_u32 v11, v9, v11, v3
	v_accvgpr_write_b32 a45, v11
	v_lshl_add_u64 v[8:9], v[0:1], 0, 24
	v_accvgpr_write_b32 a44, v10
	v_mul_lo_u32 v3, s14, v9
	v_mul_lo_u32 v9, s15, v8
	v_mad_u64_u32 v[10:11], s[4:5], s14, v8, v[4:5]
	v_add3_u32 v11, v9, v11, v3
	v_accvgpr_write_b32 a47, v11
	v_accvgpr_write_b32 a46, v10
	v_mad_u64_u32 v[10:11], s[4:5], s14, v8, v[6:7]
	;; [unrolled: 11-line block ×13, first 2 shown]
	v_add3_u32 v11, v9, v11, v3
	v_accvgpr_write_b32 a93, v11
	v_lshl_add_u64 v[8:9], v[0:1], 0, 48
	v_accvgpr_write_b32 a92, v10
	v_mul_lo_u32 v3, s14, v9
	v_mul_lo_u32 v9, s15, v8
	v_mad_u64_u32 v[10:11], s[4:5], s14, v8, v[4:5]
	v_mad_u64_u32 v[130:131], s[4:5], s14, v8, v[6:7]
	v_add3_u32 v11, v9, v11, v3
	v_add3_u32 v131, v9, v131, v3
	v_lshl_add_u64 v[8:9], v[0:1], 0, 50
	v_mul_lo_u32 v3, s14, v9
	v_mul_lo_u32 v9, s15, v8
	v_mad_u64_u32 v[132:133], s[4:5], s14, v8, v[4:5]
	v_mad_u64_u32 v[134:135], s[4:5], s14, v8, v[6:7]
	v_add3_u32 v133, v9, v133, v3
	v_add3_u32 v135, v9, v135, v3
	v_lshl_add_u64 v[8:9], v[0:1], 0, 52
	;; [unrolled: 7-line block ×5, first 2 shown]
	v_mul_lo_u32 v3, s14, v9
	v_mul_lo_u32 v9, s15, v8
	v_mad_u64_u32 v[148:149], s[4:5], s14, v8, v[4:5]
	v_mad_u64_u32 v[150:151], s[4:5], s14, v8, v[6:7]
	v_lshl_add_u64 v[12:13], v[0:1], 0, 6
	v_add3_u32 v149, v9, v149, v3
	v_add3_u32 v151, v9, v151, v3
	v_lshl_add_u64 v[8:9], v[0:1], 0, 60
	v_lshl_add_u64 v[0:1], v[0:1], 0, 62
	v_lshlrev_b32_e32 v160, 5, v18
	v_mov_b32_e32 v161, v2
	v_mad_u64_u32 v[102:103], s[4:5], s14, v12, v[6:7]
	v_mad_u64_u32 v[154:155], s[4:5], s14, v8, v[6:7]
	;; [unrolled: 1-line block ×4, first 2 shown]
	v_mul_lo_u32 v1, s14, v1
	v_mul_lo_u32 v0, s15, v0
	v_lshl_add_u64 v[6:7], v[160:161], 0, s[20:21]
	v_mul_lo_u32 v3, s14, v9
	v_mul_lo_u32 v9, s15, v8
	v_mad_u64_u32 v[152:153], s[4:5], s14, v8, v[4:5]
	v_add3_u32 v157, v0, v157, v1
	v_add3_u32 v159, v0, v159, v1
	v_lshl_add_u64 v[0:1], v[6:7], 0, 31
	v_mad_u64_u32 v[94:95], s[4:5], s14, v12, v[4:5]
	v_add3_u32 v153, v9, v153, v3
	v_add3_u32 v155, v9, v155, v3
	v_mul_lo_u32 v3, s15, v0
	v_mul_lo_u32 v4, s14, v1
	v_mad_u64_u32 v[0:1], s[4:5], s14, v0, 0
	v_add3_u32 v1, v1, v4, v3
	v_lshl_add_u64 v[4:5], v[6:7], 0, 30
	v_mul_lo_u32 v3, s15, v4
	v_mul_lo_u32 v8, s14, v5
	v_mad_u64_u32 v[4:5], s[4:5], s14, v4, 0
	v_accvgpr_write_b32 a95, v11
	v_add3_u32 v5, v5, v8, v3
	v_lshl_add_u64 v[8:9], v[6:7], 0, 29
	v_accvgpr_write_b32 a94, v10
	v_mul_lo_u32 v3, s15, v8
	v_mul_lo_u32 v10, s14, v9
	v_mad_u64_u32 v[8:9], s[4:5], s14, v8, 0
	v_add3_u32 v9, v9, v10, v3
	v_lshl_add_u64 v[10:11], v[6:7], 0, 28
	v_mul_lo_u32 v13, s14, v13
	v_mul_lo_u32 v17, s15, v12
	;; [unrolled: 1-line block ×4, first 2 shown]
	v_mad_u64_u32 v[10:11], s[4:5], s14, v10, 0
	v_add3_u32 v95, v17, v95, v13
	v_add3_u32 v103, v17, v103, v13
	;; [unrolled: 1-line block ×3, first 2 shown]
	v_lshl_add_u64 v[12:13], v[6:7], 0, 27
	v_mul_lo_u32 v3, s15, v12
	v_mul_lo_u32 v14, s14, v13
	v_mad_u64_u32 v[12:13], s[4:5], s14, v12, 0
	v_add3_u32 v13, v13, v14, v3
	v_lshl_add_u64 v[14:15], v[6:7], 0, 26
	v_mul_lo_u32 v3, s15, v14
	v_mul_lo_u32 v16, s14, v15
	v_mad_u64_u32 v[14:15], s[4:5], s14, v14, 0
	v_add3_u32 v15, v15, v16, v3
	v_lshl_add_u64 v[16:17], v[6:7], 0, 25
	v_accvgpr_write_b32 a0, v18
	v_mul_lo_u32 v3, s15, v16
	v_mul_lo_u32 v18, s14, v17
	v_mad_u64_u32 v[16:17], s[4:5], s14, v16, 0
	v_add3_u32 v17, v17, v18, v3
	v_lshl_add_u64 v[18:19], v[6:7], 0, 24
	v_mul_lo_u32 v3, s15, v18
	v_mul_lo_u32 v20, s14, v19
	v_mad_u64_u32 v[18:19], s[4:5], s14, v18, 0
	v_add3_u32 v19, v19, v20, v3
	v_lshl_add_u64 v[20:21], v[6:7], 0, 23
	;; [unrolled: 5-line block ×15, first 2 shown]
	v_mul_lo_u32 v3, s15, v46
	v_mul_lo_u32 v48, s14, v47
	v_mad_u64_u32 v[46:47], s[4:5], s14, v46, 0
	v_lshlrev_b64 v[0:1], 1, v[0:1]
	v_add3_u32 v47, v47, v48, v3
	v_lshl_add_u64 v[48:49], v[6:7], 0, 9
	v_lshl_add_u64 v[168:169], s[16:17], 0, v[0:1]
	v_lshl_add_u64 v[170:171], s[18:19], 0, v[0:1]
	v_lshlrev_b64 v[0:1], 1, v[4:5]
	v_mul_lo_u32 v3, s15, v48
	v_mul_lo_u32 v50, s14, v49
	v_mad_u64_u32 v[48:49], s[4:5], s14, v48, 0
	v_lshl_add_u64 v[172:173], s[16:17], 0, v[0:1]
	v_lshl_add_u64 v[174:175], s[18:19], 0, v[0:1]
	v_lshlrev_b64 v[0:1], 1, v[8:9]
	v_add3_u32 v49, v49, v50, v3
	v_lshl_add_u64 v[50:51], v[6:7], 0, 8
	v_lshl_add_u64 v[176:177], s[16:17], 0, v[0:1]
	v_lshl_add_u64 v[178:179], s[18:19], 0, v[0:1]
	v_lshlrev_b64 v[0:1], 1, v[10:11]
	v_mul_lo_u32 v3, s15, v50
	v_mul_lo_u32 v52, s14, v51
	v_mad_u64_u32 v[50:51], s[4:5], s14, v50, 0
	v_lshl_add_u64 v[180:181], s[16:17], 0, v[0:1]
	v_lshl_add_u64 v[182:183], s[18:19], 0, v[0:1]
	;; [unrolled: 11-line block ×8, first 2 shown]
	v_lshlrev_b64 v[0:1], 1, v[36:37]
	v_add3_u32 v63, v63, v64, v3
	v_mov_b64_e32 v[64:65], s[14:15]
	v_lshl_add_u64 v[232:233], s[16:17], 0, v[0:1]
	v_lshl_add_u64 v[234:235], s[18:19], 0, v[0:1]
	v_lshlrev_b64 v[0:1], 1, v[38:39]
	v_mad_u64_u32 v[66:67], s[4:5], s14, v6, v[64:65]
	v_mul_lo_u32 v3, s15, v6
	v_mul_lo_u32 v64, s14, v7
	v_mad_u64_u32 v[6:7], s[4:5], s14, v6, 0
	v_lshl_add_u64 v[236:237], s[16:17], 0, v[0:1]
	v_lshl_add_u64 v[238:239], s[18:19], 0, v[0:1]
	v_lshlrev_b64 v[0:1], 1, v[40:41]
	s_load_dword s4, s[0:1], 0x44
	v_lshl_add_u64 v[240:241], s[16:17], 0, v[0:1]
	v_lshl_add_u64 v[242:243], s[18:19], 0, v[0:1]
	v_lshlrev_b64 v[0:1], 1, v[42:43]
	v_lshlrev_b64 v[4:5], 1, v[50:51]
	v_lshl_add_u64 v[244:245], s[16:17], 0, v[0:1]
	v_lshl_add_u64 v[246:247], s[18:19], 0, v[0:1]
	v_lshlrev_b64 v[0:1], 1, v[44:45]
	v_lshl_add_u64 v[38:39], s[16:17], 0, v[4:5]
	v_lshl_add_u64 v[40:41], s[18:19], 0, v[4:5]
	v_lshlrev_b64 v[4:5], 1, v[52:53]
	v_lshl_add_u64 v[248:249], s[16:17], 0, v[0:1]
	v_lshl_add_u64 v[250:251], s[18:19], 0, v[0:1]
	v_lshlrev_b64 v[0:1], 1, v[46:47]
	v_lshl_add_u64 v[42:43], s[16:17], 0, v[4:5]
	v_lshl_add_u64 v[44:45], s[18:19], 0, v[4:5]
	v_lshlrev_b64 v[4:5], 1, v[54:55]
	v_lshl_add_u64 v[252:253], s[16:17], 0, v[0:1]
	v_lshl_add_u64 v[254:255], s[18:19], 0, v[0:1]
	v_lshlrev_b64 v[0:1], 1, v[48:49]
	v_lshl_add_u64 v[46:47], s[16:17], 0, v[4:5]
	v_lshl_add_u64 v[48:49], s[18:19], 0, v[4:5]
	v_lshlrev_b64 v[4:5], 1, v[56:57]
	v_add3_u32 v7, v7, v64, v3
	v_add3_u32 v67, v3, v67, v64
	v_and_b32_e32 v3, 0x3ff, v129
	s_add_u32 s22, s0, 64
	v_lshl_add_u64 v[50:51], s[16:17], 0, v[4:5]
	v_lshl_add_u64 v[52:53], s[18:19], 0, v[4:5]
	v_lshlrev_b64 v[4:5], 1, v[58:59]
	v_accvgpr_write_b32 a1, v3
	v_add_u32_e32 v64, s3, v3
	s_addc_u32 s23, s1, 0
	s_waitcnt lgkmcnt(0)
	s_lshl_b32 s4, s4, 5
	v_lshl_add_u64 v[54:55], s[16:17], 0, v[4:5]
	v_lshl_add_u64 v[56:57], s[18:19], 0, v[4:5]
	v_lshlrev_b64 v[4:5], 1, v[60:61]
	v_mbcnt_lo_u32_b32 v3, -1, 0
	v_mov_b32_e32 v65, v2
	s_mul_i32 s3, s15, s4
	s_mul_hi_u32 s9, s14, s4
	v_lshl_add_u64 v[58:59], s[16:17], 0, v[4:5]
	v_lshl_add_u64 v[60:61], s[18:19], 0, v[4:5]
	v_lshlrev_b64 v[4:5], 1, v[62:63]
	v_mbcnt_hi_u32_b32 v3, -1, v3
	v_lshlrev_b64 v[162:163], 1, v[64:65]
	v_lshlrev_b64 v[6:7], 1, v[6:7]
	s_add_i32 s25, s9, s3
	s_mul_i32 s24, s14, s4
	v_lshl_add_u64 v[62:63], s[16:17], 0, v[4:5]
	v_lshl_add_u64 v[64:65], s[18:19], 0, v[4:5]
	v_lshlrev_b64 v[4:5], 1, v[66:67]
	v_lshlrev_b32_e32 v3, 2, v3
	s_mov_b32 s5, 0
	s_lshl_b64 s[24:25], s[24:25], 1
	v_lshl_add_u64 v[164:165], s[16:17], 0, v[6:7]
	v_lshl_add_u64 v[166:167], s[18:19], 0, v[6:7]
	s_mov_b64 s[26:27], 31
	v_lshl_add_u64 v[36:37], s[16:17], 0, v[0:1]
	v_lshl_add_u64 v[0:1], s[18:19], 0, v[0:1]
	v_lshl_add_u64 v[66:67], s[16:17], 0, v[4:5]
	v_lshl_add_u64 v[68:69], s[18:19], 0, v[4:5]
	v_and_b32_e32 v84, 0x100, v3
	s_mov_b64 s[16:17], s[20:21]
	v_mov_b32_e32 v85, 0
.LBB199_150:                            ; =>This Inner Loop Header: Depth=1
	s_add_u32 s18, s20, s26
	s_addc_u32 s19, 0, s27
	v_mov_b64_e32 v[4:5], s[12:13]
	v_cmp_ge_i64_e32 vcc, s[18:19], v[4:5]
	v_lshl_add_u64 v[70:71], s[20:21], 0, v[160:161]
	s_mov_b64 s[18:19], -1
                                        ; implicit-def: $vgpr3
	s_cbranch_vccz .LBB199_220
; %bb.151:                              ;   in Loop: Header=BB199_150 Depth=1
	s_load_dword s3, s[22:23], 0xc
	v_accvgpr_read_b32 v3, a0
	v_accvgpr_read_b32 v4, a1
	v_mov_b32_e32 v128, 0
	v_mov_b32_e32 v86, 0
	s_waitcnt lgkmcnt(0)
	s_and_b32 s3, s3, 0xffff
	v_mad_u32_u24 v3, v3, s3, v4
	v_and_b32_e32 v4, 63, v3
	v_cmp_gt_u32_e32 vcc, 32, v4
	s_and_saveexec_b64 s[18:19], vcc
	s_cbranch_execz .LBB199_155
; %bb.152:                              ;   in Loop: Header=BB199_150 Depth=1
	v_mov_b32_e32 v5, v2
	v_lshl_add_u64 v[4:5], v[70:71], 0, v[4:5]
	v_cmp_gt_i64_e32 vcc, s[12:13], v[4:5]
	v_mov_b32_e32 v86, 0
	s_and_saveexec_b64 s[28:29], vcc
	s_cbranch_execz .LBB199_154
; %bb.153:                              ;   in Loop: Header=BB199_150 Depth=1
	v_lshl_add_u64 v[4:5], v[4:5], 2, s[10:11]
	global_load_dword v86, v[4:5], off
.LBB199_154:                            ;   in Loop: Header=BB199_150 Depth=1
	s_or_b64 exec, exec, s[28:29]
.LBB199_155:                            ;   in Loop: Header=BB199_150 Depth=1
	s_or_b64 exec, exec, s[18:19]
	v_mov_b32_e32 v4, v2
	v_mov_b32_e32 v5, v2
	;; [unrolled: 1-line block ×31, first 2 shown]
	v_mov_b64_e32 v[34:35], v[32:33]
	v_cmp_gt_i64_e32 vcc, s[12:13], v[70:71]
	v_mov_b64_e32 v[32:33], v[30:31]
	v_mov_b64_e32 v[30:31], v[28:29]
	;; [unrolled: 1-line block ×15, first 2 shown]
	s_and_saveexec_b64 s[18:19], vcc
	s_cbranch_execz .LBB199_157
; %bb.156:                              ;   in Loop: Header=BB199_150 Depth=1
	v_lshl_add_u64 v[4:5], v[164:165], 0, v[162:163]
	global_load_ushort v3, v[4:5], off
	v_lshl_add_u64 v[4:5], v[166:167], 0, v[162:163]
	global_load_ushort v72, v[4:5], off
	v_mov_b32_e32 v5, v2
	v_mov_b32_e32 v6, v2
	;; [unrolled: 1-line block ×31, first 2 shown]
	s_waitcnt vmcnt(1)
	v_lshlrev_b32_e32 v4, 16, v3
	s_waitcnt vmcnt(0)
	v_lshlrev_b32_e32 v128, 16, v72
.LBB199_157:                            ;   in Loop: Header=BB199_150 Depth=1
	s_or_b64 exec, exec, s[18:19]
	v_lshl_add_u64 v[72:73], v[70:71], 0, 1
	v_cmp_gt_i64_e32 vcc, s[12:13], v[72:73]
	v_accvgpr_write_b32 a2, 0
	v_accvgpr_write_b32 a3, 0
	s_and_saveexec_b64 s[18:19], vcc
	s_cbranch_execz .LBB199_159
; %bb.158:                              ;   in Loop: Header=BB199_150 Depth=1
	v_lshl_add_u64 v[72:73], v[66:67], 0, v[162:163]
	global_load_ushort v3, v[72:73], off
	v_lshl_add_u64 v[72:73], v[68:69], 0, v[162:163]
	global_load_ushort v72, v[72:73], off
	s_waitcnt vmcnt(1)
	v_lshlrev_b32_e32 v5, 16, v3
	s_waitcnt vmcnt(0)
	v_lshlrev_b32_e32 v3, 16, v72
	v_accvgpr_write_b32 a3, v3
.LBB199_159:                            ;   in Loop: Header=BB199_150 Depth=1
	s_or_b64 exec, exec, s[18:19]
	v_lshl_add_u64 v[72:73], v[70:71], 0, 2
	v_cmp_gt_i64_e32 vcc, s[12:13], v[72:73]
	s_and_saveexec_b64 s[18:19], vcc
	s_cbranch_execz .LBB199_161
; %bb.160:                              ;   in Loop: Header=BB199_150 Depth=1
	v_lshl_add_u64 v[72:73], v[62:63], 0, v[162:163]
	global_load_ushort v3, v[72:73], off
	v_lshl_add_u64 v[72:73], v[64:65], 0, v[162:163]
	global_load_ushort v72, v[72:73], off
	s_waitcnt vmcnt(1)
	v_lshlrev_b32_e32 v6, 16, v3
	s_waitcnt vmcnt(0)
	v_lshlrev_b32_e32 v3, 16, v72
	v_accvgpr_write_b32 a2, v3
.LBB199_161:                            ;   in Loop: Header=BB199_150 Depth=1
	s_or_b64 exec, exec, s[18:19]
	v_lshl_add_u64 v[72:73], v[70:71], 0, 3
	v_cmp_gt_i64_e32 vcc, s[12:13], v[72:73]
	v_accvgpr_write_b32 a4, 0
	v_accvgpr_write_b32 a5, 0
	s_and_saveexec_b64 s[18:19], vcc
	s_cbranch_execz .LBB199_163
; %bb.162:                              ;   in Loop: Header=BB199_150 Depth=1
	v_lshl_add_u64 v[72:73], v[58:59], 0, v[162:163]
	global_load_ushort v3, v[72:73], off
	v_lshl_add_u64 v[72:73], v[60:61], 0, v[162:163]
	global_load_ushort v72, v[72:73], off
	s_waitcnt vmcnt(1)
	v_lshlrev_b32_e32 v7, 16, v3
	s_waitcnt vmcnt(0)
	v_lshlrev_b32_e32 v3, 16, v72
	v_accvgpr_write_b32 a5, v3
.LBB199_163:                            ;   in Loop: Header=BB199_150 Depth=1
	s_or_b64 exec, exec, s[18:19]
	v_lshl_add_u64 v[72:73], v[70:71], 0, 4
	v_cmp_gt_i64_e32 vcc, s[12:13], v[72:73]
	s_and_saveexec_b64 s[18:19], vcc
	s_cbranch_execz .LBB199_165
; %bb.164:                              ;   in Loop: Header=BB199_150 Depth=1
	v_lshl_add_u64 v[72:73], v[54:55], 0, v[162:163]
	global_load_ushort v3, v[72:73], off
	v_lshl_add_u64 v[72:73], v[56:57], 0, v[162:163]
	global_load_ushort v72, v[72:73], off
	s_waitcnt vmcnt(1)
	v_lshlrev_b32_e32 v8, 16, v3
	s_waitcnt vmcnt(0)
	v_lshlrev_b32_e32 v3, 16, v72
	v_accvgpr_write_b32 a4, v3
.LBB199_165:                            ;   in Loop: Header=BB199_150 Depth=1
	;; [unrolled: 34-line block ×8, first 2 shown]
	s_or_b64 exec, exec, s[18:19]
	v_lshl_add_u64 v[72:73], v[70:71], 0, 17
	v_cmp_gt_i64_e32 vcc, s[12:13], v[72:73]
	v_accvgpr_write_b32 a17, 0
	v_mov_b32_e32 v87, 0
	s_and_saveexec_b64 s[18:19], vcc
	s_cbranch_execz .LBB199_191
; %bb.190:                              ;   in Loop: Header=BB199_150 Depth=1
	v_lshl_add_u64 v[72:73], v[224:225], 0, v[162:163]
	global_load_ushort v3, v[72:73], off
	v_lshl_add_u64 v[72:73], v[226:227], 0, v[162:163]
	global_load_ushort v72, v[72:73], off
	s_waitcnt vmcnt(1)
	v_lshlrev_b32_e32 v21, 16, v3
	s_waitcnt vmcnt(0)
	v_lshlrev_b32_e32 v87, 16, v72
.LBB199_191:                            ;   in Loop: Header=BB199_150 Depth=1
	s_or_b64 exec, exec, s[18:19]
	v_lshl_add_u64 v[72:73], v[70:71], 0, 18
	v_cmp_gt_i64_e32 vcc, s[12:13], v[72:73]
	s_and_saveexec_b64 s[18:19], vcc
	s_cbranch_execz .LBB199_193
; %bb.192:                              ;   in Loop: Header=BB199_150 Depth=1
	v_lshl_add_u64 v[72:73], v[220:221], 0, v[162:163]
	global_load_ushort v3, v[72:73], off
	v_lshl_add_u64 v[72:73], v[222:223], 0, v[162:163]
	global_load_ushort v72, v[72:73], off
	s_waitcnt vmcnt(1)
	v_lshlrev_b32_e32 v22, 16, v3
	s_waitcnt vmcnt(0)
	v_lshlrev_b32_e32 v3, 16, v72
	v_accvgpr_write_b32 a17, v3
.LBB199_193:                            ;   in Loop: Header=BB199_150 Depth=1
	s_or_b64 exec, exec, s[18:19]
	v_lshl_add_u64 v[72:73], v[70:71], 0, 19
	v_cmp_gt_i64_e32 vcc, s[12:13], v[72:73]
	v_mov_b32_e32 v72, 0
	v_mov_b32_e32 v3, 0
	s_and_saveexec_b64 s[18:19], vcc
	s_cbranch_execz .LBB199_195
; %bb.194:                              ;   in Loop: Header=BB199_150 Depth=1
	v_lshl_add_u64 v[74:75], v[216:217], 0, v[162:163]
	global_load_ushort v3, v[74:75], off
	v_lshl_add_u64 v[74:75], v[218:219], 0, v[162:163]
	global_load_ushort v73, v[74:75], off
	s_waitcnt vmcnt(1)
	v_lshlrev_b32_e32 v23, 16, v3
	s_waitcnt vmcnt(0)
	v_lshlrev_b32_e32 v3, 16, v73
.LBB199_195:                            ;   in Loop: Header=BB199_150 Depth=1
	s_or_b64 exec, exec, s[18:19]
	v_lshl_add_u64 v[74:75], v[70:71], 0, 20
	v_cmp_gt_i64_e32 vcc, s[12:13], v[74:75]
	s_and_saveexec_b64 s[18:19], vcc
	s_cbranch_execz .LBB199_197
; %bb.196:                              ;   in Loop: Header=BB199_150 Depth=1
	v_lshl_add_u64 v[72:73], v[212:213], 0, v[162:163]
	global_load_ushort v24, v[72:73], off
	v_lshl_add_u64 v[72:73], v[214:215], 0, v[162:163]
	global_load_ushort v72, v[72:73], off
	s_waitcnt vmcnt(1)
	v_lshlrev_b32_e32 v24, 16, v24
	s_waitcnt vmcnt(0)
	v_lshlrev_b32_e32 v72, 16, v72
.LBB199_197:                            ;   in Loop: Header=BB199_150 Depth=1
	s_or_b64 exec, exec, s[18:19]
	v_lshl_add_u64 v[74:75], v[70:71], 0, 21
	v_cmp_gt_i64_e32 vcc, s[12:13], v[74:75]
	v_mov_b32_e32 v74, 0
	v_mov_b32_e32 v73, 0
	s_and_saveexec_b64 s[18:19], vcc
	s_cbranch_execz .LBB199_199
; %bb.198:                              ;   in Loop: Header=BB199_150 Depth=1
	v_lshl_add_u64 v[76:77], v[208:209], 0, v[162:163]
	global_load_ushort v25, v[76:77], off
	v_lshl_add_u64 v[76:77], v[210:211], 0, v[162:163]
	global_load_ushort v73, v[76:77], off
	s_waitcnt vmcnt(1)
	v_lshlrev_b32_e32 v25, 16, v25
	s_waitcnt vmcnt(0)
	v_lshlrev_b32_e32 v73, 16, v73
.LBB199_199:                            ;   in Loop: Header=BB199_150 Depth=1
	s_or_b64 exec, exec, s[18:19]
	v_lshl_add_u64 v[76:77], v[70:71], 0, 22
	v_cmp_gt_i64_e32 vcc, s[12:13], v[76:77]
	s_and_saveexec_b64 s[18:19], vcc
	s_cbranch_execz .LBB199_201
; %bb.200:                              ;   in Loop: Header=BB199_150 Depth=1
	v_lshl_add_u64 v[74:75], v[204:205], 0, v[162:163]
	global_load_ushort v26, v[74:75], off
	v_lshl_add_u64 v[74:75], v[206:207], 0, v[162:163]
	global_load_ushort v74, v[74:75], off
	s_waitcnt vmcnt(1)
	v_lshlrev_b32_e32 v26, 16, v26
	s_waitcnt vmcnt(0)
	v_lshlrev_b32_e32 v74, 16, v74
.LBB199_201:                            ;   in Loop: Header=BB199_150 Depth=1
	;; [unrolled: 32-line block ×6, first 2 shown]
	s_or_b64 exec, exec, s[18:19]
	v_lshl_add_u64 v[88:89], v[70:71], 0, 31
	v_cmp_gt_i64_e32 vcc, s[12:13], v[88:89]
	v_mov_b32_e32 v83, 0
	s_and_saveexec_b64 s[18:19], vcc
	s_cbranch_execz .LBB199_219
; %bb.218:                              ;   in Loop: Header=BB199_150 Depth=1
	v_lshl_add_u64 v[88:89], v[168:169], 0, v[162:163]
	global_load_ushort v35, v[88:89], off
	v_lshl_add_u64 v[88:89], v[170:171], 0, v[162:163]
	global_load_ushort v83, v[88:89], off
	s_waitcnt vmcnt(1)
	v_lshlrev_b32_e32 v35, 16, v35
	s_waitcnt vmcnt(0)
	v_lshlrev_b32_e32 v83, 16, v83
.LBB199_219:                            ;   in Loop: Header=BB199_150 Depth=1
	s_or_b64 exec, exec, s[18:19]
	s_waitcnt vmcnt(0)
	ds_bpermute_b32 v88, v84, v86
	v_mul_f32_e32 v4, v128, v4
	v_accvgpr_read_b32 v89, a3
	v_mul_f32_e32 v5, v89, v5
	v_mul_f32_e32 v3, v3, v23
	s_waitcnt lgkmcnt(0)
	v_fma_f32 v88, v4, v88, v85
	ds_bpermute_b32 v4, v84, v86 offset:4
	s_mov_b64 s[18:19], 0
	s_waitcnt lgkmcnt(0)
	v_fmac_f32_e32 v88, v5, v4
	ds_bpermute_b32 v4, v84, v86 offset:8
	v_accvgpr_read_b32 v5, a2
	v_mul_f32_e32 v5, v5, v6
	s_waitcnt lgkmcnt(0)
	v_fmac_f32_e32 v88, v5, v4
	ds_bpermute_b32 v4, v84, v86 offset:12
	v_accvgpr_read_b32 v5, a5
	v_mul_f32_e32 v5, v5, v7
	v_pk_mul_f32 v[6:7], v[72:73], v[24:25]
	s_waitcnt lgkmcnt(0)
	v_fmac_f32_e32 v88, v5, v4
	ds_bpermute_b32 v4, v84, v86 offset:16
	v_accvgpr_read_b32 v5, a4
	v_mul_f32_e32 v5, v5, v8
	s_waitcnt lgkmcnt(0)
	v_fmac_f32_e32 v88, v5, v4
	ds_bpermute_b32 v4, v84, v86 offset:20
	v_accvgpr_read_b32 v5, a7
	v_mul_f32_e32 v5, v5, v9
	;; [unrolled: 5-line block ×13, first 2 shown]
	s_waitcnt lgkmcnt(0)
	v_fmac_f32_e32 v88, v5, v4
	ds_bpermute_b32 v4, v84, v86 offset:68
	v_mul_f32_e32 v5, v87, v21
	s_waitcnt lgkmcnt(0)
	v_fmac_f32_e32 v88, v5, v4
	ds_bpermute_b32 v4, v84, v86 offset:72
	v_accvgpr_read_b32 v5, a17
	v_mul_f32_e32 v5, v5, v22
	s_waitcnt lgkmcnt(0)
	v_fmac_f32_e32 v88, v5, v4
	ds_bpermute_b32 v4, v84, v86 offset:76
	ds_bpermute_b32 v5, v84, v86 offset:84
	s_waitcnt lgkmcnt(1)
	v_fmac_f32_e32 v88, v3, v4
	ds_bpermute_b32 v4, v84, v86 offset:80
	s_waitcnt lgkmcnt(0)
	v_pk_mul_f32 v[4:5], v[6:7], v[4:5]
	s_nop 0
	v_add_f32_e32 v3, v88, v4
	v_add_f32_e32 v3, v3, v5
	ds_bpermute_b32 v4, v84, v86 offset:88
	ds_bpermute_b32 v5, v84, v86 offset:92
	v_pk_mul_f32 v[6:7], v[74:75], v[26:27]
	s_waitcnt lgkmcnt(0)
	v_pk_mul_f32 v[4:5], v[6:7], v[4:5]
	s_nop 0
	v_add_f32_e32 v3, v3, v4
	v_add_f32_e32 v3, v3, v5
	ds_bpermute_b32 v4, v84, v86 offset:96
	ds_bpermute_b32 v5, v84, v86 offset:100
	v_pk_mul_f32 v[6:7], v[76:77], v[28:29]
	;; [unrolled: 8-line block ×5, first 2 shown]
	s_waitcnt lgkmcnt(0)
	v_pk_mul_f32 v[4:5], v[6:7], v[4:5]
	s_nop 0
	v_add_f32_e32 v3, v3, v4
	v_add_f32_e32 v3, v3, v5
.LBB199_220:                            ;   in Loop: Header=BB199_150 Depth=1
	s_and_b64 vcc, exec, s[18:19]
	s_cbranch_vccz .LBB199_226
; %bb.221:                              ;   in Loop: Header=BB199_150 Depth=1
	s_load_dword s3, s[22:23], 0x0
	v_accvgpr_read_b32 v4, a0
	v_accvgpr_read_b32 v5, a1
	s_waitcnt lgkmcnt(0)
	s_cmp_lt_u32 s2, s3
	s_cselect_b32 s3, 12, 18
	s_add_u32 s18, s22, s3
	s_addc_u32 s19, s23, 0
	global_load_ushort v3, v2, s[18:19]
	s_waitcnt vmcnt(0)
	v_mad_u32_u24 v3, v4, v3, v5
	v_and_b32_e32 v4, 63, v3
	v_cmp_gt_u32_e32 vcc, 32, v4
	v_mov_b32_e32 v3, 0
	s_and_saveexec_b64 s[18:19], vcc
	s_cbranch_execz .LBB199_225
; %bb.222:                              ;   in Loop: Header=BB199_150 Depth=1
	v_mov_b32_e32 v5, v2
	v_lshl_add_u64 v[4:5], v[70:71], 0, v[4:5]
	v_cmp_gt_i64_e32 vcc, s[12:13], v[4:5]
	v_mov_b32_e32 v3, 0
	s_and_saveexec_b64 s[28:29], vcc
	s_cbranch_execz .LBB199_224
; %bb.223:                              ;   in Loop: Header=BB199_150 Depth=1
	v_lshl_add_u64 v[4:5], v[4:5], 2, s[10:11]
	global_load_dword v3, v[4:5], off
.LBB199_224:                            ;   in Loop: Header=BB199_150 Depth=1
	s_or_b64 exec, exec, s[28:29]
.LBB199_225:                            ;   in Loop: Header=BB199_150 Depth=1
	s_or_b64 exec, exec, s[18:19]
	v_lshl_add_u64 v[4:5], v[164:165], 0, v[162:163]
	global_load_ushort v6, v[4:5], off
	v_lshl_add_u64 v[4:5], v[166:167], 0, v[162:163]
	global_load_ushort v7, v[4:5], off
	;; [unrolled: 2-line block ×21, first 2 shown]
	v_accvgpr_read_b32 v4, a40
	v_accvgpr_read_b32 v5, a41
	v_lshl_add_u64 v[4:5], v[4:5], 0, v[162:163]
	global_load_ushort v27, v[4:5], off
	v_accvgpr_read_b32 v4, a42
	v_accvgpr_read_b32 v5, a43
	v_lshl_add_u64 v[4:5], v[4:5], 0, v[162:163]
	global_load_ushort v28, v[4:5], off
	;; [unrolled: 4-line block ×19, first 2 shown]
	v_accvgpr_write_b32 a2, v90
	v_accvgpr_write_b32 a4, v92
	;; [unrolled: 1-line block ×3, first 2 shown]
	s_waitcnt vmcnt(37)
	v_lshlrev_b32_e32 v90, 16, v8
	s_waitcnt vmcnt(36)
	v_lshlrev_b32_e32 v91, 16, v9
	v_accvgpr_write_b32 a5, v93
	s_waitcnt vmcnt(35)
	v_lshlrev_b32_e32 v92, 16, v10
	s_waitcnt vmcnt(34)
	v_lshlrev_b32_e32 v93, 16, v11
	v_accvgpr_write_b32 a38, v126
	v_accvgpr_read_b32 v8, a82
	v_accvgpr_read_b32 v10, a84
	v_lshlrev_b32_e32 v88, 16, v6
	v_lshlrev_b32_e32 v89, 16, v7
	v_accvgpr_write_b32 a39, v127
	v_accvgpr_read_b32 v6, a80
	v_accvgpr_read_b32 v9, a83
	;; [unrolled: 1-line block ×4, first 2 shown]
	v_lshl_add_u64 v[8:9], v[8:9], 0, v[162:163]
	v_lshl_add_u64 v[10:11], v[10:11], 0, v[162:163]
	;; [unrolled: 1-line block ×3, first 2 shown]
	v_accvgpr_write_b32 a6, v94
	v_accvgpr_write_b32 a8, v96
	;; [unrolled: 1-line block ×4, first 2 shown]
	s_waitcnt vmcnt(33)
	v_lshlrev_b32_e32 v94, 16, v12
	s_waitcnt vmcnt(32)
	v_lshlrev_b32_e32 v95, 16, v13
	v_accvgpr_write_b32 a9, v97
	s_waitcnt vmcnt(31)
	v_lshlrev_b32_e32 v96, 16, v14
	s_waitcnt vmcnt(30)
	v_lshlrev_b32_e32 v97, 16, v15
	v_accvgpr_write_b32 a11, v99
	s_waitcnt vmcnt(29)
	v_lshlrev_b32_e32 v98, 16, v16
	s_waitcnt vmcnt(28)
	v_lshlrev_b32_e32 v99, 16, v17
	v_accvgpr_write_b32 a12, v100
	v_accvgpr_read_b32 v12, a86
	v_accvgpr_read_b32 v14, a88
	;; [unrolled: 1-line block ×3, first 2 shown]
	v_accvgpr_write_b32 a13, v101
	s_waitcnt vmcnt(27)
	v_lshlrev_b32_e32 v100, 16, v18
	s_waitcnt vmcnt(26)
	v_lshlrev_b32_e32 v101, 16, v19
	v_accvgpr_read_b32 v13, a87
	v_accvgpr_read_b32 v15, a89
	v_accvgpr_read_b32 v17, a91
	v_accvgpr_read_b32 v18, a92
	v_lshl_add_u64 v[12:13], v[12:13], 0, v[162:163]
	v_lshl_add_u64 v[14:15], v[14:15], 0, v[162:163]
	;; [unrolled: 1-line block ×3, first 2 shown]
	v_accvgpr_read_b32 v19, a93
	v_lshl_add_u64 v[18:19], v[18:19], 0, v[162:163]
	v_accvgpr_write_b32 a14, v102
	v_accvgpr_write_b32 a15, v103
	s_waitcnt vmcnt(25)
	v_lshlrev_b32_e32 v102, 16, v20
	s_waitcnt vmcnt(24)
	v_lshlrev_b32_e32 v103, 16, v21
	v_accvgpr_write_b32 a18, v106
	v_accvgpr_read_b32 v20, a94
	v_accvgpr_write_b32 a16, v104
	v_accvgpr_write_b32 a19, v107
	s_waitcnt vmcnt(21)
	v_lshlrev_b32_e32 v106, 16, v24
	s_waitcnt vmcnt(20)
	v_lshlrev_b32_e32 v107, 16, v25
	v_accvgpr_write_b32 a20, v108
	v_accvgpr_read_b32 v21, a95
	v_lshl_add_u64 v[24:25], v[132:133], 0, v[162:163]
	v_accvgpr_write_b32 a17, v105
	v_lshlrev_b32_e32 v104, 16, v22
	v_lshlrev_b32_e32 v105, 16, v23
	v_accvgpr_write_b32 a21, v109
	s_waitcnt vmcnt(19)
	v_lshlrev_b32_e32 v108, 16, v26
	s_waitcnt vmcnt(18)
	v_lshlrev_b32_e32 v109, 16, v27
	v_lshl_add_u64 v[20:21], v[20:21], 0, v[162:163]
	v_lshl_add_u64 v[22:23], v[130:131], 0, v[162:163]
	;; [unrolled: 1-line block ×3, first 2 shown]
	v_accvgpr_write_b32 a26, v114
	v_accvgpr_write_b32 a22, v110
	;; [unrolled: 1-line block ×4, first 2 shown]
	s_waitcnt vmcnt(13)
	v_lshlrev_b32_e32 v114, 16, v32
	s_waitcnt vmcnt(12)
	v_lshlrev_b32_e32 v115, 16, v33
	v_accvgpr_write_b32 a28, v116
	v_lshl_add_u64 v[32:33], v[140:141], 0, v[162:163]
	s_waitcnt vmcnt(0)
	v_lshlrev_b32_e32 v127, 16, v4
	v_accvgpr_read_b32 v4, a78
	v_accvgpr_read_b32 v5, a79
	v_lshl_add_u64 v[4:5], v[4:5], 0, v[162:163]
	global_load_ushort v8, v[8:9], off
	s_nop 0
	global_load_ushort v9, v[4:5], off
	s_nop 0
	;; [unrolled: 2-line block ×8, first 2 shown]
	global_load_ushort v15, v[24:25], off
	global_load_ushort v17, v[20:21], off
	;; [unrolled: 1-line block ×4, first 2 shown]
	ds_bpermute_b32 v128, v84, v3
	v_accvgpr_write_b32 a23, v111
	v_lshlrev_b32_e32 v110, 16, v28
	v_lshlrev_b32_e32 v111, 16, v29
	v_accvgpr_write_b32 a25, v113
	v_lshlrev_b32_e32 v112, 16, v30
	v_lshlrev_b32_e32 v113, 16, v31
	v_accvgpr_write_b32 a29, v117
	v_lshlrev_b32_e32 v116, 16, v34
	v_lshlrev_b32_e32 v117, 16, v35
	v_lshl_add_u64 v[28:29], v[136:137], 0, v[162:163]
	v_lshl_add_u64 v[30:31], v[138:139], 0, v[162:163]
	;; [unrolled: 1-line block ×3, first 2 shown]
	global_load_ushort v20, v[32:33], off
	global_load_ushort v21, v[28:29], off
	;; [unrolled: 1-line block ×4, first 2 shown]
	v_mul_f32_e32 v88, v88, v89
	s_waitcnt lgkmcnt(0)
	v_fmac_f32_e32 v85, v88, v128
	ds_bpermute_b32 v88, v84, v3 offset:4
	v_accvgpr_write_b32 a34, v122
	v_mul_f32_e32 v89, v90, v91
	ds_bpermute_b32 v90, v84, v3 offset:8
	v_accvgpr_write_b32 a30, v118
	v_accvgpr_write_b32 a32, v120
	;; [unrolled: 1-line block ×3, first 2 shown]
	v_lshlrev_b32_e32 v122, 16, v74
	v_lshlrev_b32_e32 v123, 16, v75
	v_accvgpr_write_b32 a36, v124
	v_lshl_add_u64 v[74:75], v[148:149], 0, v[162:163]
	v_accvgpr_write_b32 a31, v119
	v_lshlrev_b32_e32 v118, 16, v70
	v_lshlrev_b32_e32 v119, 16, v71
	v_accvgpr_write_b32 a33, v121
	v_lshlrev_b32_e32 v120, 16, v72
	v_lshlrev_b32_e32 v121, 16, v73
	;; [unrolled: 3-line block ×3, first 2 shown]
	v_lshl_add_u64 v[70:71], v[144:145], 0, v[162:163]
	v_lshl_add_u64 v[72:73], v[146:147], 0, v[162:163]
	;; [unrolled: 1-line block ×3, first 2 shown]
	global_load_ushort v24, v[74:75], off
	global_load_ushort v25, v[70:71], off
	;; [unrolled: 1-line block ×4, first 2 shown]
	s_waitcnt lgkmcnt(1)
	v_fmac_f32_e32 v85, v89, v88
	v_mul_f32_e32 v4, v92, v93
	s_waitcnt lgkmcnt(0)
	v_fmac_f32_e32 v85, v4, v90
	ds_bpermute_b32 v4, v84, v3 offset:12
	ds_bpermute_b32 v6, v84, v3 offset:16
	v_lshl_add_u64 v[82:83], v[156:157], 0, v[162:163]
	v_lshlrev_b32_e32 v126, 16, v78
	v_lshl_add_u64 v[78:79], v[152:153], 0, v[162:163]
	v_lshl_add_u64 v[80:81], v[154:155], 0, v[162:163]
	;; [unrolled: 1-line block ×3, first 2 shown]
	v_mul_f32_e32 v5, v94, v95
	global_load_ushort v28, v[82:83], off
	global_load_ushort v29, v[78:79], off
	global_load_ushort v30, v[86:87], off
	global_load_ushort v31, v[80:81], off
	s_waitcnt lgkmcnt(1)
	v_fmac_f32_e32 v85, v5, v4
	v_mul_f32_e32 v4, v96, v97
	s_waitcnt lgkmcnt(0)
	v_fmac_f32_e32 v85, v4, v6
	ds_bpermute_b32 v4, v84, v3 offset:20
	ds_bpermute_b32 v6, v84, v3 offset:24
	v_mul_f32_e32 v5, v98, v99
	ds_bpermute_b32 v7, v84, v3 offset:76
	v_accvgpr_read_b32 v93, a5
	s_waitcnt lgkmcnt(2)
	v_fmac_f32_e32 v85, v5, v4
	v_mul_f32_e32 v4, v100, v101
	s_waitcnt lgkmcnt(1)
	v_fmac_f32_e32 v85, v4, v6
	ds_bpermute_b32 v4, v84, v3 offset:28
	ds_bpermute_b32 v6, v84, v3 offset:32
	v_mul_f32_e32 v5, v102, v103
	v_accvgpr_read_b32 v91, a3
	v_accvgpr_read_b32 v95, a7
	s_waitcnt lgkmcnt(1)
	v_fmac_f32_e32 v85, v5, v4
	v_mul_f32_e32 v4, v104, v105
	s_waitcnt lgkmcnt(0)
	v_fmac_f32_e32 v85, v4, v6
	ds_bpermute_b32 v4, v84, v3 offset:36
	ds_bpermute_b32 v6, v84, v3 offset:40
	v_mul_f32_e32 v5, v106, v107
	v_accvgpr_read_b32 v97, a9
	;; [unrolled: 10-line block ×3, first 2 shown]
	v_accvgpr_read_b32 v103, a15
	s_waitcnt lgkmcnt(1)
	v_fmac_f32_e32 v85, v5, v4
	ds_bpermute_b32 v4, v84, v3 offset:52
	v_mul_f32_e32 v5, v112, v113
	s_waitcnt lgkmcnt(1)
	v_fmac_f32_e32 v85, v5, v6
	ds_bpermute_b32 v5, v84, v3 offset:56
	v_mul_f32_e32 v6, v114, v115
	;; [unrolled: 4-line block ×4, first 2 shown]
	s_waitcnt lgkmcnt(1)
	v_fmac_f32_e32 v85, v6, v4
	v_mul_f32_e32 v4, v120, v121
	ds_bpermute_b32 v6, v84, v3 offset:68
	s_waitcnt lgkmcnt(1)
	v_fmac_f32_e32 v85, v4, v5
	ds_bpermute_b32 v4, v84, v3 offset:72
	v_mul_f32_e32 v5, v122, v123
	v_accvgpr_read_b32 v105, a17
	s_waitcnt lgkmcnt(1)
	v_fmac_f32_e32 v85, v5, v6
	v_mul_f32_e32 v5, v124, v125
	s_waitcnt lgkmcnt(0)
	v_fmac_f32_e32 v85, v5, v4
	v_mul_f32_e32 v4, v126, v127
	v_fmac_f32_e32 v85, v4, v7
	ds_bpermute_b32 v4, v84, v3 offset:80
	ds_bpermute_b32 v5, v84, v3 offset:84
	s_waitcnt vmcnt(23)
	v_lshlrev_b32_e32 v7, 16, v8
	s_waitcnt vmcnt(22)
	v_lshlrev_b32_e32 v6, 16, v9
	;; [unrolled: 2-line block ×4, first 2 shown]
	v_pk_mul_f32 v[6:7], v[6:7], v[8:9]
	s_waitcnt vmcnt(17)
	v_lshlrev_b32_e32 v9, 16, v13
	s_waitcnt lgkmcnt(0)
	v_pk_mul_f32 v[4:5], v[6:7], v[4:5]
	v_lshlrev_b32_e32 v7, 16, v16
	v_add_f32_e32 v4, v85, v4
	v_add_f32_e32 v10, v4, v5
	ds_bpermute_b32 v4, v84, v3 offset:88
	ds_bpermute_b32 v5, v84, v3 offset:92
	v_lshlrev_b32_e32 v6, 16, v12
	s_waitcnt vmcnt(16)
	v_lshlrev_b32_e32 v8, 16, v14
	v_pk_mul_f32 v[6:7], v[6:7], v[8:9]
	s_waitcnt vmcnt(13)
	v_lshlrev_b32_e32 v9, 16, v18
	s_waitcnt lgkmcnt(0)
	v_pk_mul_f32 v[4:5], v[6:7], v[4:5]
	v_lshlrev_b32_e32 v7, 16, v15
	v_add_f32_e32 v4, v10, v4
	v_add_f32_e32 v10, v4, v5
	ds_bpermute_b32 v4, v84, v3 offset:96
	ds_bpermute_b32 v5, v84, v3 offset:100
	v_lshlrev_b32_e32 v6, 16, v17
	s_waitcnt vmcnt(12)
	v_lshlrev_b32_e32 v8, 16, v19
	;; [unrolled: 13-line block ×5, first 2 shown]
	v_pk_mul_f32 v[6:7], v[6:7], v[8:9]
	v_accvgpr_read_b32 v107, a19
	s_waitcnt lgkmcnt(0)
	v_pk_mul_f32 v[4:5], v[6:7], v[4:5]
	v_accvgpr_read_b32 v109, a21
	v_accvgpr_read_b32 v111, a23
	;; [unrolled: 1-line block ×10, first 2 shown]
	v_add_f32_e32 v3, v10, v4
	v_accvgpr_read_b32 v92, a4
	v_accvgpr_read_b32 v90, a2
	;; [unrolled: 1-line block ×19, first 2 shown]
	v_add_f32_e32 v3, v3, v5
.LBB199_226:                            ;   in Loop: Header=BB199_150 Depth=1
	s_add_u32 s16, s16, s4
	s_addc_u32 s17, s17, 0
	v_mov_b64_e32 v[4:5], s[12:13]
	v_cmp_ge_i64_e32 vcc, s[16:17], v[4:5]
	v_accvgpr_read_b32 v4, a42
	v_accvgpr_read_b32 v5, a43
	v_lshl_add_u64 v[4:5], v[4:5], 0, s[24:25]
	v_accvgpr_write_b32 a43, v5
	v_accvgpr_write_b32 a42, v4
	v_accvgpr_read_b32 v4, a46
	v_accvgpr_read_b32 v5, a47
	v_lshl_add_u64 v[4:5], v[4:5], 0, s[24:25]
	v_accvgpr_write_b32 a47, v5
	v_accvgpr_write_b32 a46, v4
	;; [unrolled: 5-line block ×27, first 2 shown]
	v_accvgpr_read_b32 v4, a92
	v_accvgpr_read_b32 v5, a93
	s_add_u32 s26, s26, s4
	v_lshl_add_u64 v[164:165], v[164:165], 0, s[24:25]
	v_lshl_add_u64 v[166:167], v[166:167], 0, s[24:25]
	v_lshl_add_u64 v[160:161], v[160:161], 0, s[4:5]
	v_lshl_add_u64 v[90:91], v[90:91], 0, s[24:25]
	v_lshl_add_u64 v[92:93], v[92:93], 0, s[24:25]
	v_lshl_add_u64 v[94:95], v[94:95], 0, s[24:25]
	v_lshl_add_u64 v[98:99], v[98:99], 0, s[24:25]
	v_lshl_add_u64 v[106:107], v[106:107], 0, s[24:25]
	v_lshl_add_u64 v[110:111], v[110:111], 0, s[24:25]
	v_lshl_add_u64 v[114:115], v[114:115], 0, s[24:25]
	v_lshl_add_u64 v[118:119], v[118:119], 0, s[24:25]
	v_lshl_add_u64 v[122:123], v[122:123], 0, s[24:25]
	v_lshl_add_u64 v[126:127], v[126:127], 0, s[24:25]
	v_lshl_add_u64 v[132:133], v[132:133], 0, s[24:25]
	v_lshl_add_u64 v[136:137], v[136:137], 0, s[24:25]
	v_lshl_add_u64 v[140:141], v[140:141], 0, s[24:25]
	v_lshl_add_u64 v[144:145], v[144:145], 0, s[24:25]
	v_lshl_add_u64 v[148:149], v[148:149], 0, s[24:25]
	v_lshl_add_u64 v[152:153], v[152:153], 0, s[24:25]
	v_lshl_add_u64 v[156:157], v[156:157], 0, s[24:25]
	v_lshl_add_u64 v[96:97], v[96:97], 0, s[24:25]
	v_lshl_add_u64 v[100:101], v[100:101], 0, s[24:25]
	v_lshl_add_u64 v[102:103], v[102:103], 0, s[24:25]
	v_lshl_add_u64 v[104:105], v[104:105], 0, s[24:25]
	v_lshl_add_u64 v[108:109], v[108:109], 0, s[24:25]
	v_lshl_add_u64 v[112:113], v[112:113], 0, s[24:25]
	v_lshl_add_u64 v[116:117], v[116:117], 0, s[24:25]
	v_lshl_add_u64 v[120:121], v[120:121], 0, s[24:25]
	v_lshl_add_u64 v[124:125], v[124:125], 0, s[24:25]
	v_lshl_add_u64 v[4:5], v[4:5], 0, s[24:25]
	v_lshl_add_u64 v[130:131], v[130:131], 0, s[24:25]
	v_lshl_add_u64 v[134:135], v[134:135], 0, s[24:25]
	v_lshl_add_u64 v[138:139], v[138:139], 0, s[24:25]
	v_lshl_add_u64 v[142:143], v[142:143], 0, s[24:25]
	v_lshl_add_u64 v[146:147], v[146:147], 0, s[24:25]
	v_lshl_add_u64 v[150:151], v[150:151], 0, s[24:25]
	v_lshl_add_u64 v[154:155], v[154:155], 0, s[24:25]
	v_lshl_add_u64 v[158:159], v[158:159], 0, s[24:25]
	v_lshl_add_u64 v[168:169], v[168:169], 0, s[24:25]
	v_lshl_add_u64 v[170:171], v[170:171], 0, s[24:25]
	v_lshl_add_u64 v[172:173], v[172:173], 0, s[24:25]
	v_lshl_add_u64 v[174:175], v[174:175], 0, s[24:25]
	v_lshl_add_u64 v[176:177], v[176:177], 0, s[24:25]
	v_lshl_add_u64 v[178:179], v[178:179], 0, s[24:25]
	v_lshl_add_u64 v[180:181], v[180:181], 0, s[24:25]
	v_lshl_add_u64 v[182:183], v[182:183], 0, s[24:25]
	v_lshl_add_u64 v[184:185], v[184:185], 0, s[24:25]
	v_lshl_add_u64 v[186:187], v[186:187], 0, s[24:25]
	v_lshl_add_u64 v[188:189], v[188:189], 0, s[24:25]
	v_lshl_add_u64 v[190:191], v[190:191], 0, s[24:25]
	v_lshl_add_u64 v[192:193], v[192:193], 0, s[24:25]
	v_lshl_add_u64 v[194:195], v[194:195], 0, s[24:25]
	v_lshl_add_u64 v[196:197], v[196:197], 0, s[24:25]
	v_lshl_add_u64 v[198:199], v[198:199], 0, s[24:25]
	v_lshl_add_u64 v[200:201], v[200:201], 0, s[24:25]
	v_lshl_add_u64 v[202:203], v[202:203], 0, s[24:25]
	v_lshl_add_u64 v[204:205], v[204:205], 0, s[24:25]
	v_lshl_add_u64 v[206:207], v[206:207], 0, s[24:25]
	v_lshl_add_u64 v[208:209], v[208:209], 0, s[24:25]
	v_lshl_add_u64 v[210:211], v[210:211], 0, s[24:25]
	v_lshl_add_u64 v[212:213], v[212:213], 0, s[24:25]
	v_lshl_add_u64 v[214:215], v[214:215], 0, s[24:25]
	v_lshl_add_u64 v[216:217], v[216:217], 0, s[24:25]
	v_lshl_add_u64 v[218:219], v[218:219], 0, s[24:25]
	v_lshl_add_u64 v[220:221], v[220:221], 0, s[24:25]
	v_lshl_add_u64 v[222:223], v[222:223], 0, s[24:25]
	v_lshl_add_u64 v[224:225], v[224:225], 0, s[24:25]
	v_lshl_add_u64 v[226:227], v[226:227], 0, s[24:25]
	v_lshl_add_u64 v[228:229], v[228:229], 0, s[24:25]
	v_lshl_add_u64 v[230:231], v[230:231], 0, s[24:25]
	v_lshl_add_u64 v[232:233], v[232:233], 0, s[24:25]
	v_lshl_add_u64 v[234:235], v[234:235], 0, s[24:25]
	v_lshl_add_u64 v[236:237], v[236:237], 0, s[24:25]
	v_lshl_add_u64 v[238:239], v[238:239], 0, s[24:25]
	v_lshl_add_u64 v[240:241], v[240:241], 0, s[24:25]
	v_lshl_add_u64 v[242:243], v[242:243], 0, s[24:25]
	v_lshl_add_u64 v[244:245], v[244:245], 0, s[24:25]
	v_lshl_add_u64 v[246:247], v[246:247], 0, s[24:25]
	v_lshl_add_u64 v[248:249], v[248:249], 0, s[24:25]
	v_lshl_add_u64 v[250:251], v[250:251], 0, s[24:25]
	v_lshl_add_u64 v[252:253], v[252:253], 0, s[24:25]
	v_lshl_add_u64 v[254:255], v[254:255], 0, s[24:25]
	v_lshl_add_u64 v[36:37], v[36:37], 0, s[24:25]
	v_lshl_add_u64 v[0:1], v[0:1], 0, s[24:25]
	v_lshl_add_u64 v[38:39], v[38:39], 0, s[24:25]
	v_lshl_add_u64 v[40:41], v[40:41], 0, s[24:25]
	v_lshl_add_u64 v[42:43], v[42:43], 0, s[24:25]
	v_lshl_add_u64 v[44:45], v[44:45], 0, s[24:25]
	v_lshl_add_u64 v[46:47], v[46:47], 0, s[24:25]
	v_lshl_add_u64 v[48:49], v[48:49], 0, s[24:25]
	v_lshl_add_u64 v[50:51], v[50:51], 0, s[24:25]
	v_lshl_add_u64 v[52:53], v[52:53], 0, s[24:25]
	v_lshl_add_u64 v[54:55], v[54:55], 0, s[24:25]
	v_lshl_add_u64 v[56:57], v[56:57], 0, s[24:25]
	v_lshl_add_u64 v[58:59], v[58:59], 0, s[24:25]
	v_lshl_add_u64 v[60:61], v[60:61], 0, s[24:25]
	v_lshl_add_u64 v[62:63], v[62:63], 0, s[24:25]
	v_lshl_add_u64 v[64:65], v[64:65], 0, s[24:25]
	v_lshl_add_u64 v[66:67], v[66:67], 0, s[24:25]
	v_lshl_add_u64 v[68:69], v[68:69], 0, s[24:25]
	s_addc_u32 s27, 0, s27
	s_cbranch_vccnz .LBB199_228
; %bb.227:                              ;   in Loop: Header=BB199_150 Depth=1
	v_accvgpr_write_b32 a93, v5
	v_accvgpr_write_b32 a92, v4
	v_mov_b32_e32 v85, v3
	s_branch .LBB199_150
.LBB199_228:
	s_mov_b32 s3, 0
	s_lshl_b64 s[2:3], s[2:3], 5
	v_and_b32_e32 v0, 0x3ff, v129
	v_or_b32_e32 v0, s2, v0
	v_mov_b32_e32 v1, s3
	s_waitcnt lgkmcnt(0)
	s_cmp_lg_u64 s[6:7], 0
	v_cmp_gt_i64_e32 vcc, s[14:15], v[0:1]
	s_cselect_b64 s[2:3], -1, 0
	s_and_b64 s[2:3], vcc, s[2:3]
	s_and_saveexec_b64 s[4:5], s[2:3]
	s_cbranch_execz .LBB199_230
; %bb.229:
	s_load_dword s0, s[0:1], 0x4c
	v_bfe_u32 v4, v129, 10, 10
	v_mov_b32_e32 v5, 0
	v_mov_b32_e32 v2, s8
	v_cmp_o_f32_e32 vcc, v3, v3
	s_waitcnt lgkmcnt(0)
	s_lshr_b32 s0, s0, 16
	v_mad_u64_u32 v[4:5], s[0:1], s0, v2, v[4:5]
	v_bfe_u32 v2, v3, 16, 1
	s_movk_i32 s0, 0x7fff
	v_add3_u32 v2, v3, v2, s0
	v_mov_b32_e32 v3, 0x7fc0
	v_cndmask_b32_sdwa v6, v3, v2, vcc dst_sel:DWORD dst_unused:UNUSED_PAD src0_sel:DWORD src1_sel:WORD_1
	v_mul_lo_u32 v5, v5, s14
	v_mul_lo_u32 v7, v4, s15
	v_mad_u64_u32 v[2:3], s[0:1], v4, s14, 0
	v_add3_u32 v3, v3, v7, v5
	v_lshl_add_u64 v[2:3], v[2:3], 1, s[6:7]
	v_lshl_add_u64 v[0:1], v[0:1], 1, v[2:3]
	global_store_short v[0:1], v6, off
.LBB199_230:
	s_endpgm
	.section	.rodata,"a",@progbits
	.p2align	6, 0x0
	.amdhsa_kernel _ZN2at6native12_GLOBAL__N_135GammaBetaBackwardCUDAKernelTemplateIN3c108BFloat16EfLj32ELj1ELj32ELb1ELb0ELb1EEEvllPKT_S7_PKT0_SA_PS5_SB_
		.amdhsa_group_segment_fixed_size 0
		.amdhsa_private_segment_fixed_size 0
		.amdhsa_kernarg_size 320
		.amdhsa_user_sgpr_count 2
		.amdhsa_user_sgpr_dispatch_ptr 0
		.amdhsa_user_sgpr_queue_ptr 0
		.amdhsa_user_sgpr_kernarg_segment_ptr 1
		.amdhsa_user_sgpr_dispatch_id 0
		.amdhsa_user_sgpr_kernarg_preload_length 0
		.amdhsa_user_sgpr_kernarg_preload_offset 0
		.amdhsa_user_sgpr_private_segment_size 0
		.amdhsa_uses_dynamic_stack 0
		.amdhsa_enable_private_segment 0
		.amdhsa_system_sgpr_workgroup_id_x 1
		.amdhsa_system_sgpr_workgroup_id_y 1
		.amdhsa_system_sgpr_workgroup_id_z 0
		.amdhsa_system_sgpr_workgroup_info 0
		.amdhsa_system_vgpr_workitem_id 1
		.amdhsa_next_free_vgpr 352
		.amdhsa_next_free_sgpr 38
		.amdhsa_accum_offset 256
		.amdhsa_reserve_vcc 1
		.amdhsa_float_round_mode_32 0
		.amdhsa_float_round_mode_16_64 0
		.amdhsa_float_denorm_mode_32 3
		.amdhsa_float_denorm_mode_16_64 3
		.amdhsa_dx10_clamp 1
		.amdhsa_ieee_mode 1
		.amdhsa_fp16_overflow 0
		.amdhsa_tg_split 0
		.amdhsa_exception_fp_ieee_invalid_op 0
		.amdhsa_exception_fp_denorm_src 0
		.amdhsa_exception_fp_ieee_div_zero 0
		.amdhsa_exception_fp_ieee_overflow 0
		.amdhsa_exception_fp_ieee_underflow 0
		.amdhsa_exception_fp_ieee_inexact 0
		.amdhsa_exception_int_div_zero 0
	.end_amdhsa_kernel
	.section	.text._ZN2at6native12_GLOBAL__N_135GammaBetaBackwardCUDAKernelTemplateIN3c108BFloat16EfLj32ELj1ELj32ELb1ELb0ELb1EEEvllPKT_S7_PKT0_SA_PS5_SB_,"axG",@progbits,_ZN2at6native12_GLOBAL__N_135GammaBetaBackwardCUDAKernelTemplateIN3c108BFloat16EfLj32ELj1ELj32ELb1ELb0ELb1EEEvllPKT_S7_PKT0_SA_PS5_SB_,comdat
.Lfunc_end199:
	.size	_ZN2at6native12_GLOBAL__N_135GammaBetaBackwardCUDAKernelTemplateIN3c108BFloat16EfLj32ELj1ELj32ELb1ELb0ELb1EEEvllPKT_S7_PKT0_SA_PS5_SB_, .Lfunc_end199-_ZN2at6native12_GLOBAL__N_135GammaBetaBackwardCUDAKernelTemplateIN3c108BFloat16EfLj32ELj1ELj32ELb1ELb0ELb1EEEvllPKT_S7_PKT0_SA_PS5_SB_
                                        ; -- End function
	.set _ZN2at6native12_GLOBAL__N_135GammaBetaBackwardCUDAKernelTemplateIN3c108BFloat16EfLj32ELj1ELj32ELb1ELb0ELb1EEEvllPKT_S7_PKT0_SA_PS5_SB_.num_vgpr, 256
	.set _ZN2at6native12_GLOBAL__N_135GammaBetaBackwardCUDAKernelTemplateIN3c108BFloat16EfLj32ELj1ELj32ELb1ELb0ELb1EEEvllPKT_S7_PKT0_SA_PS5_SB_.num_agpr, 96
	.set _ZN2at6native12_GLOBAL__N_135GammaBetaBackwardCUDAKernelTemplateIN3c108BFloat16EfLj32ELj1ELj32ELb1ELb0ELb1EEEvllPKT_S7_PKT0_SA_PS5_SB_.numbered_sgpr, 38
	.set _ZN2at6native12_GLOBAL__N_135GammaBetaBackwardCUDAKernelTemplateIN3c108BFloat16EfLj32ELj1ELj32ELb1ELb0ELb1EEEvllPKT_S7_PKT0_SA_PS5_SB_.num_named_barrier, 0
	.set _ZN2at6native12_GLOBAL__N_135GammaBetaBackwardCUDAKernelTemplateIN3c108BFloat16EfLj32ELj1ELj32ELb1ELb0ELb1EEEvllPKT_S7_PKT0_SA_PS5_SB_.private_seg_size, 0
	.set _ZN2at6native12_GLOBAL__N_135GammaBetaBackwardCUDAKernelTemplateIN3c108BFloat16EfLj32ELj1ELj32ELb1ELb0ELb1EEEvllPKT_S7_PKT0_SA_PS5_SB_.uses_vcc, 1
	.set _ZN2at6native12_GLOBAL__N_135GammaBetaBackwardCUDAKernelTemplateIN3c108BFloat16EfLj32ELj1ELj32ELb1ELb0ELb1EEEvllPKT_S7_PKT0_SA_PS5_SB_.uses_flat_scratch, 0
	.set _ZN2at6native12_GLOBAL__N_135GammaBetaBackwardCUDAKernelTemplateIN3c108BFloat16EfLj32ELj1ELj32ELb1ELb0ELb1EEEvllPKT_S7_PKT0_SA_PS5_SB_.has_dyn_sized_stack, 0
	.set _ZN2at6native12_GLOBAL__N_135GammaBetaBackwardCUDAKernelTemplateIN3c108BFloat16EfLj32ELj1ELj32ELb1ELb0ELb1EEEvllPKT_S7_PKT0_SA_PS5_SB_.has_recursion, 0
	.set _ZN2at6native12_GLOBAL__N_135GammaBetaBackwardCUDAKernelTemplateIN3c108BFloat16EfLj32ELj1ELj32ELb1ELb0ELb1EEEvllPKT_S7_PKT0_SA_PS5_SB_.has_indirect_call, 0
	.section	.AMDGPU.csdata,"",@progbits
; Kernel info:
; codeLenInByte = 23584
; TotalNumSgprs: 44
; NumVgprs: 256
; NumAgprs: 96
; TotalNumVgprs: 352
; ScratchSize: 0
; MemoryBound: 0
; FloatMode: 240
; IeeeMode: 1
; LDSByteSize: 0 bytes/workgroup (compile time only)
; SGPRBlocks: 5
; VGPRBlocks: 43
; NumSGPRsForWavesPerEU: 44
; NumVGPRsForWavesPerEU: 352
; AccumOffset: 256
; Occupancy: 1
; WaveLimiterHint : 0
; COMPUTE_PGM_RSRC2:SCRATCH_EN: 0
; COMPUTE_PGM_RSRC2:USER_SGPR: 2
; COMPUTE_PGM_RSRC2:TRAP_HANDLER: 0
; COMPUTE_PGM_RSRC2:TGID_X_EN: 1
; COMPUTE_PGM_RSRC2:TGID_Y_EN: 1
; COMPUTE_PGM_RSRC2:TGID_Z_EN: 0
; COMPUTE_PGM_RSRC2:TIDIG_COMP_CNT: 1
; COMPUTE_PGM_RSRC3_GFX90A:ACCUM_OFFSET: 63
; COMPUTE_PGM_RSRC3_GFX90A:TG_SPLIT: 0
	.section	.text._ZN2at6native12_GLOBAL__N_135GammaBetaBackwardCUDAKernelTemplateIN3c108BFloat16EfLj32ELj1ELj8ELb1ELb1ELb1EEEvllPKT_S7_PKT0_SA_PS5_SB_,"axG",@progbits,_ZN2at6native12_GLOBAL__N_135GammaBetaBackwardCUDAKernelTemplateIN3c108BFloat16EfLj32ELj1ELj8ELb1ELb1ELb1EEEvllPKT_S7_PKT0_SA_PS5_SB_,comdat
	.globl	_ZN2at6native12_GLOBAL__N_135GammaBetaBackwardCUDAKernelTemplateIN3c108BFloat16EfLj32ELj1ELj8ELb1ELb1ELb1EEEvllPKT_S7_PKT0_SA_PS5_SB_ ; -- Begin function _ZN2at6native12_GLOBAL__N_135GammaBetaBackwardCUDAKernelTemplateIN3c108BFloat16EfLj32ELj1ELj8ELb1ELb1ELb1EEEvllPKT_S7_PKT0_SA_PS5_SB_
	.p2align	8
	.type	_ZN2at6native12_GLOBAL__N_135GammaBetaBackwardCUDAKernelTemplateIN3c108BFloat16EfLj32ELj1ELj8ELb1ELb1ELb1EEEvllPKT_S7_PKT0_SA_PS5_SB_,@function
_ZN2at6native12_GLOBAL__N_135GammaBetaBackwardCUDAKernelTemplateIN3c108BFloat16EfLj32ELj1ELj8ELb1ELb1ELb1EEEvllPKT_S7_PKT0_SA_PS5_SB_: ; @_ZN2at6native12_GLOBAL__N_135GammaBetaBackwardCUDAKernelTemplateIN3c108BFloat16EfLj32ELj1ELj8ELb1ELb1ELb1EEEvllPKT_S7_PKT0_SA_PS5_SB_
; %bb.0:
	s_load_dwordx4 s[8:11], s[0:1], 0x0
	s_load_dwordx2 s[16:17], s[0:1], 0x30
	s_lshl_b32 s18, s3, 3
	s_mov_b32 s19, 0
	v_mov_b64_e32 v[2:3], s[18:19]
	s_waitcnt lgkmcnt(0)
	v_cmp_le_i64_e32 vcc, s[8:9], v[2:3]
	s_mov_b32 s6, s3
	v_mov_b32_e32 v5, 0
	v_bfe_u32 v2, v0, 10, 10
	s_cbranch_vccnz .LBB200_7
; %bb.1:
	s_load_dword s3, s[0:1], 0x4c
	s_load_dword s7, s[0:1], 0x44
	s_load_dwordx4 s[12:15], s[0:1], 0x10
	s_load_dwordx2 s[22:23], s[0:1], 0x28
	v_and_b32_e32 v1, 0x3ff, v0
	s_waitcnt lgkmcnt(0)
	s_and_b32 s3, s3, 0xffff
	v_mad_u32_u24 v3, v2, s3, v1
	v_lshlrev_b32_e32 v4, 3, v2
	v_mov_b32_e32 v5, 0
	v_lshl_or_b32 v10, s2, 5, v1
	v_mbcnt_lo_u32_b32 v1, -1, 0
	v_and_b32_e32 v6, 63, v3
	v_mov_b32_e32 v7, v5
	v_mbcnt_hi_u32_b32 v1, -1, v1
	s_lshl_b32 s20, s7, 3
	v_lshl_add_u64 v[12:13], v[4:5], 0, s[18:19]
	v_cmp_gt_u32_e64 s[4:5], 8, v6
	v_mov_b32_e32 v11, v5
	v_lshlrev_b32_e32 v1, 2, v1
	v_lshl_add_u64 v[6:7], v[12:13], 0, v[6:7]
	v_mul_lo_u32 v4, s11, v12
	v_mul_lo_u32 v20, s10, v13
	v_mad_u64_u32 v[12:13], s[24:25], s10, v12, 0
	s_mul_i32 s3, s11, s20
	s_mul_hi_u32 s7, s10, s20
	v_and_b32_e32 v1, 0x100, v1
	s_mov_b32 s21, s19
	v_add3_u32 v13, v13, v20, v4
	v_lshlrev_b64 v[10:11], 1, v[10:11]
	s_add_i32 s25, s7, s3
	s_mul_i32 s24, s10, s20
	v_or_b32_e32 v3, 4, v1
	v_or_b32_e32 v14, 8, v1
	;; [unrolled: 1-line block ×7, first 2 shown]
	v_lshl_add_u64 v[8:9], v[6:7], 2, s[22:23]
	s_lshl_b64 s[22:23], s[20:21], 2
	v_lshl_add_u64 v[10:11], v[12:13], 1, v[10:11]
	s_lshl_b64 s[24:25], s[24:25], 1
	s_lshl_b64 s[26:27], s[10:11], 1
	v_mov_b64_e32 v[12:13], s[8:9]
	s_branch .LBB200_4
.LBB200_2:                              ;   in Loop: Header=BB200_4 Depth=1
	s_or_b64 exec, exec, s[30:31]
.LBB200_3:                              ;   in Loop: Header=BB200_4 Depth=1
	s_or_b64 exec, exec, s[28:29]
	v_lshl_add_u64 v[20:21], s[12:13], 0, v[10:11]
	v_lshl_add_u64 v[22:23], s[14:15], 0, v[10:11]
	;; [unrolled: 1-line block ×5, first 2 shown]
	global_load_ushort v32, v[20:21], off
	global_load_ushort v33, v[22:23], off
	;; [unrolled: 1-line block ×4, first 2 shown]
	v_lshl_add_u64 v[30:31], v[26:27], 0, s[26:27]
	v_lshl_add_u64 v[20:21], v[28:29], 0, s[26:27]
	global_load_ushort v36, v[28:29], off
	global_load_ushort v37, v[30:31], off
	v_lshl_add_u64 v[22:23], v[30:31], 0, s[26:27]
	global_load_ushort v38, v[20:21], off
	global_load_ushort v39, v[22:23], off
	v_lshl_add_u64 v[20:21], v[20:21], 0, s[26:27]
	v_lshl_add_u64 v[22:23], v[22:23], 0, s[26:27]
	global_load_ushort v40, v[20:21], off
	global_load_ushort v41, v[22:23], off
	v_lshl_add_u64 v[20:21], v[20:21], 0, s[26:27]
	;; [unrolled: 4-line block ×4, first 2 shown]
	v_lshl_add_u64 v[22:23], v[22:23], 0, s[26:27]
	global_load_ushort v46, v[20:21], off
	global_load_ushort v47, v[22:23], off
	s_waitcnt vmcnt(16)
	ds_bpermute_b32 v20, v1, v4
	ds_bpermute_b32 v21, v3, v4
	;; [unrolled: 1-line block ×8, first 2 shown]
	s_add_u32 s18, s18, s20
	s_addc_u32 s19, s19, 0
	v_cmp_lt_i64_e32 vcc, s[18:19], v[12:13]
	v_lshl_add_u64 v[8:9], v[8:9], 0, s[22:23]
	v_lshl_add_u64 v[6:7], v[6:7], 0, s[20:21]
	;; [unrolled: 1-line block ×3, first 2 shown]
	s_and_b64 vcc, exec, vcc
	s_waitcnt vmcnt(15)
	v_lshlrev_b32_e32 v28, 16, v32
	s_waitcnt vmcnt(14)
	v_lshlrev_b32_e32 v30, 16, v33
	;; [unrolled: 2-line block ×4, first 2 shown]
	v_pk_mul_f32 v[28:29], v[28:29], v[30:31]
	s_waitcnt vmcnt(11)
	v_lshlrev_b32_e32 v30, 16, v36
	s_waitcnt vmcnt(10)
	v_lshlrev_b32_e32 v32, 16, v37
	s_waitcnt lgkmcnt(6)
	v_pk_mul_f32 v[20:21], v[28:29], v[20:21]
	s_waitcnt vmcnt(9)
	v_lshlrev_b32_e32 v31, 16, v38
	s_waitcnt vmcnt(8)
	v_lshlrev_b32_e32 v33, 16, v39
	v_add_f32_e32 v29, v5, v20
	v_pk_mul_f32 v[4:5], v[30:31], v[32:33]
	s_waitcnt vmcnt(7)
	v_lshlrev_b32_e32 v20, 16, v40
	s_waitcnt vmcnt(6)
	v_lshlrev_b32_e32 v28, 16, v41
	v_add_f32_e32 v30, v29, v21
	s_waitcnt lgkmcnt(4)
	v_pk_mul_f32 v[4:5], v[4:5], v[22:23]
	s_waitcnt vmcnt(5)
	v_lshlrev_b32_e32 v21, 16, v42
	s_waitcnt vmcnt(4)
	v_lshlrev_b32_e32 v29, 16, v43
	v_add_f32_e32 v23, v30, v4
	v_pk_mul_f32 v[20:21], v[20:21], v[28:29]
	s_waitcnt vmcnt(3)
	v_lshlrev_b32_e32 v4, 16, v44
	s_waitcnt vmcnt(2)
	v_lshlrev_b32_e32 v22, 16, v45
	v_add_f32_e32 v28, v23, v5
	s_waitcnt lgkmcnt(2)
	v_pk_mul_f32 v[20:21], v[20:21], v[24:25]
	s_waitcnt vmcnt(1)
	v_lshlrev_b32_e32 v5, 16, v46
	s_waitcnt vmcnt(0)
	v_lshlrev_b32_e32 v23, 16, v47
	v_add_f32_e32 v20, v28, v20
	v_pk_mul_f32 v[4:5], v[4:5], v[22:23]
	v_add_f32_e32 v20, v20, v21
	s_waitcnt lgkmcnt(0)
	v_pk_mul_f32 v[4:5], v[4:5], v[26:27]
	s_nop 0
	v_add_f32_e32 v4, v20, v4
	v_add_f32_e32 v5, v4, v5
	s_cbranch_vccz .LBB200_7
.LBB200_4:                              ; =>This Inner Loop Header: Depth=1
	v_mov_b32_e32 v4, 0
	s_and_saveexec_b64 s[28:29], s[4:5]
	s_cbranch_execz .LBB200_3
; %bb.5:                                ;   in Loop: Header=BB200_4 Depth=1
	v_cmp_gt_i64_e32 vcc, s[8:9], v[6:7]
	v_mov_b32_e32 v4, 0
	s_and_saveexec_b64 s[30:31], vcc
	s_cbranch_execz .LBB200_2
; %bb.6:                                ;   in Loop: Header=BB200_4 Depth=1
	global_load_dword v4, v[8:9], off
	s_branch .LBB200_2
.LBB200_7:
	s_cmp_eq_u64 s[16:17], 0
	s_cbranch_scc1 .LBB200_9
; %bb.8:
	s_load_dword s0, s[0:1], 0x4c
	v_mov_b32_e32 v3, 0
	v_mov_b32_e32 v1, s6
	v_cmp_o_f32_e32 vcc, v5, v5
	s_mov_b32 s3, 0
	s_waitcnt lgkmcnt(0)
	s_lshr_b32 s0, s0, 16
	v_mad_u64_u32 v[6:7], s[0:1], s0, v1, v[2:3]
	v_bfe_u32 v1, v5, 16, 1
	s_movk_i32 s0, 0x7fff
	v_add3_u32 v1, v5, v1, s0
	v_lshrrev_b32_e32 v1, 16, v1
	v_mov_b32_e32 v2, 0x7fc0
	v_cndmask_b32_e32 v8, v2, v1, vcc
	v_mul_lo_u32 v1, v7, s10
	v_mul_lo_u32 v2, v6, s11
	v_mad_u64_u32 v[4:5], s[0:1], v6, s10, 0
	v_add3_u32 v5, v5, v2, v1
	v_lshl_add_u64 v[4:5], v[4:5], 1, s[16:17]
	s_lshl_b64 s[0:1], s[2:3], 6
	v_and_b32_e32 v0, 0x3ff, v0
	v_lshl_add_u64 v[4:5], v[4:5], 0, s[0:1]
	v_lshlrev_b32_e32 v2, 1, v0
	v_lshl_add_u64 v[0:1], v[4:5], 0, v[2:3]
	global_store_short v[0:1], v8, off
.LBB200_9:
	s_endpgm
	.section	.rodata,"a",@progbits
	.p2align	6, 0x0
	.amdhsa_kernel _ZN2at6native12_GLOBAL__N_135GammaBetaBackwardCUDAKernelTemplateIN3c108BFloat16EfLj32ELj1ELj8ELb1ELb1ELb1EEEvllPKT_S7_PKT0_SA_PS5_SB_
		.amdhsa_group_segment_fixed_size 0
		.amdhsa_private_segment_fixed_size 0
		.amdhsa_kernarg_size 320
		.amdhsa_user_sgpr_count 2
		.amdhsa_user_sgpr_dispatch_ptr 0
		.amdhsa_user_sgpr_queue_ptr 0
		.amdhsa_user_sgpr_kernarg_segment_ptr 1
		.amdhsa_user_sgpr_dispatch_id 0
		.amdhsa_user_sgpr_kernarg_preload_length 0
		.amdhsa_user_sgpr_kernarg_preload_offset 0
		.amdhsa_user_sgpr_private_segment_size 0
		.amdhsa_uses_dynamic_stack 0
		.amdhsa_enable_private_segment 0
		.amdhsa_system_sgpr_workgroup_id_x 1
		.amdhsa_system_sgpr_workgroup_id_y 1
		.amdhsa_system_sgpr_workgroup_id_z 0
		.amdhsa_system_sgpr_workgroup_info 0
		.amdhsa_system_vgpr_workitem_id 1
		.amdhsa_next_free_vgpr 48
		.amdhsa_next_free_sgpr 32
		.amdhsa_accum_offset 48
		.amdhsa_reserve_vcc 1
		.amdhsa_float_round_mode_32 0
		.amdhsa_float_round_mode_16_64 0
		.amdhsa_float_denorm_mode_32 3
		.amdhsa_float_denorm_mode_16_64 3
		.amdhsa_dx10_clamp 1
		.amdhsa_ieee_mode 1
		.amdhsa_fp16_overflow 0
		.amdhsa_tg_split 0
		.amdhsa_exception_fp_ieee_invalid_op 0
		.amdhsa_exception_fp_denorm_src 0
		.amdhsa_exception_fp_ieee_div_zero 0
		.amdhsa_exception_fp_ieee_overflow 0
		.amdhsa_exception_fp_ieee_underflow 0
		.amdhsa_exception_fp_ieee_inexact 0
		.amdhsa_exception_int_div_zero 0
	.end_amdhsa_kernel
	.section	.text._ZN2at6native12_GLOBAL__N_135GammaBetaBackwardCUDAKernelTemplateIN3c108BFloat16EfLj32ELj1ELj8ELb1ELb1ELb1EEEvllPKT_S7_PKT0_SA_PS5_SB_,"axG",@progbits,_ZN2at6native12_GLOBAL__N_135GammaBetaBackwardCUDAKernelTemplateIN3c108BFloat16EfLj32ELj1ELj8ELb1ELb1ELb1EEEvllPKT_S7_PKT0_SA_PS5_SB_,comdat
.Lfunc_end200:
	.size	_ZN2at6native12_GLOBAL__N_135GammaBetaBackwardCUDAKernelTemplateIN3c108BFloat16EfLj32ELj1ELj8ELb1ELb1ELb1EEEvllPKT_S7_PKT0_SA_PS5_SB_, .Lfunc_end200-_ZN2at6native12_GLOBAL__N_135GammaBetaBackwardCUDAKernelTemplateIN3c108BFloat16EfLj32ELj1ELj8ELb1ELb1ELb1EEEvllPKT_S7_PKT0_SA_PS5_SB_
                                        ; -- End function
	.set _ZN2at6native12_GLOBAL__N_135GammaBetaBackwardCUDAKernelTemplateIN3c108BFloat16EfLj32ELj1ELj8ELb1ELb1ELb1EEEvllPKT_S7_PKT0_SA_PS5_SB_.num_vgpr, 48
	.set _ZN2at6native12_GLOBAL__N_135GammaBetaBackwardCUDAKernelTemplateIN3c108BFloat16EfLj32ELj1ELj8ELb1ELb1ELb1EEEvllPKT_S7_PKT0_SA_PS5_SB_.num_agpr, 0
	.set _ZN2at6native12_GLOBAL__N_135GammaBetaBackwardCUDAKernelTemplateIN3c108BFloat16EfLj32ELj1ELj8ELb1ELb1ELb1EEEvllPKT_S7_PKT0_SA_PS5_SB_.numbered_sgpr, 32
	.set _ZN2at6native12_GLOBAL__N_135GammaBetaBackwardCUDAKernelTemplateIN3c108BFloat16EfLj32ELj1ELj8ELb1ELb1ELb1EEEvllPKT_S7_PKT0_SA_PS5_SB_.num_named_barrier, 0
	.set _ZN2at6native12_GLOBAL__N_135GammaBetaBackwardCUDAKernelTemplateIN3c108BFloat16EfLj32ELj1ELj8ELb1ELb1ELb1EEEvllPKT_S7_PKT0_SA_PS5_SB_.private_seg_size, 0
	.set _ZN2at6native12_GLOBAL__N_135GammaBetaBackwardCUDAKernelTemplateIN3c108BFloat16EfLj32ELj1ELj8ELb1ELb1ELb1EEEvllPKT_S7_PKT0_SA_PS5_SB_.uses_vcc, 1
	.set _ZN2at6native12_GLOBAL__N_135GammaBetaBackwardCUDAKernelTemplateIN3c108BFloat16EfLj32ELj1ELj8ELb1ELb1ELb1EEEvllPKT_S7_PKT0_SA_PS5_SB_.uses_flat_scratch, 0
	.set _ZN2at6native12_GLOBAL__N_135GammaBetaBackwardCUDAKernelTemplateIN3c108BFloat16EfLj32ELj1ELj8ELb1ELb1ELb1EEEvllPKT_S7_PKT0_SA_PS5_SB_.has_dyn_sized_stack, 0
	.set _ZN2at6native12_GLOBAL__N_135GammaBetaBackwardCUDAKernelTemplateIN3c108BFloat16EfLj32ELj1ELj8ELb1ELb1ELb1EEEvllPKT_S7_PKT0_SA_PS5_SB_.has_recursion, 0
	.set _ZN2at6native12_GLOBAL__N_135GammaBetaBackwardCUDAKernelTemplateIN3c108BFloat16EfLj32ELj1ELj8ELb1ELb1ELb1EEEvllPKT_S7_PKT0_SA_PS5_SB_.has_indirect_call, 0
	.section	.AMDGPU.csdata,"",@progbits
; Kernel info:
; codeLenInByte = 1152
; TotalNumSgprs: 38
; NumVgprs: 48
; NumAgprs: 0
; TotalNumVgprs: 48
; ScratchSize: 0
; MemoryBound: 0
; FloatMode: 240
; IeeeMode: 1
; LDSByteSize: 0 bytes/workgroup (compile time only)
; SGPRBlocks: 4
; VGPRBlocks: 5
; NumSGPRsForWavesPerEU: 38
; NumVGPRsForWavesPerEU: 48
; AccumOffset: 48
; Occupancy: 8
; WaveLimiterHint : 0
; COMPUTE_PGM_RSRC2:SCRATCH_EN: 0
; COMPUTE_PGM_RSRC2:USER_SGPR: 2
; COMPUTE_PGM_RSRC2:TRAP_HANDLER: 0
; COMPUTE_PGM_RSRC2:TGID_X_EN: 1
; COMPUTE_PGM_RSRC2:TGID_Y_EN: 1
; COMPUTE_PGM_RSRC2:TGID_Z_EN: 0
; COMPUTE_PGM_RSRC2:TIDIG_COMP_CNT: 1
; COMPUTE_PGM_RSRC3_GFX90A:ACCUM_OFFSET: 11
; COMPUTE_PGM_RSRC3_GFX90A:TG_SPLIT: 0
	.section	.text._ZN2at6native12_GLOBAL__N_135GammaBetaBackwardCUDAKernelTemplateIN3c108BFloat16EfLj32ELj1ELj8ELb1ELb0ELb1EEEvllPKT_S7_PKT0_SA_PS5_SB_,"axG",@progbits,_ZN2at6native12_GLOBAL__N_135GammaBetaBackwardCUDAKernelTemplateIN3c108BFloat16EfLj32ELj1ELj8ELb1ELb0ELb1EEEvllPKT_S7_PKT0_SA_PS5_SB_,comdat
	.globl	_ZN2at6native12_GLOBAL__N_135GammaBetaBackwardCUDAKernelTemplateIN3c108BFloat16EfLj32ELj1ELj8ELb1ELb0ELb1EEEvllPKT_S7_PKT0_SA_PS5_SB_ ; -- Begin function _ZN2at6native12_GLOBAL__N_135GammaBetaBackwardCUDAKernelTemplateIN3c108BFloat16EfLj32ELj1ELj8ELb1ELb0ELb1EEEvllPKT_S7_PKT0_SA_PS5_SB_
	.p2align	8
	.type	_ZN2at6native12_GLOBAL__N_135GammaBetaBackwardCUDAKernelTemplateIN3c108BFloat16EfLj32ELj1ELj8ELb1ELb0ELb1EEEvllPKT_S7_PKT0_SA_PS5_SB_,@function
_ZN2at6native12_GLOBAL__N_135GammaBetaBackwardCUDAKernelTemplateIN3c108BFloat16EfLj32ELj1ELj8ELb1ELb0ELb1EEEvllPKT_S7_PKT0_SA_PS5_SB_: ; @_ZN2at6native12_GLOBAL__N_135GammaBetaBackwardCUDAKernelTemplateIN3c108BFloat16EfLj32ELj1ELj8ELb1ELb0ELb1EEEvllPKT_S7_PKT0_SA_PS5_SB_
; %bb.0:
	s_load_dwordx8 s[12:19], s[0:1], 0x0
	s_load_dwordx2 s[10:11], s[0:1], 0x28
	s_mov_b32 s8, s3
	s_lshl_b32 s3, s2, 5
	s_mov_b32 s21, 0
	s_lshl_b32 s20, s8, 3
	s_or_b32 s4, s3, 31
	v_mov_b64_e32 v[4:5], s[20:21]
	v_mov_b32_e32 v2, s4
	v_mov_b32_e32 v3, 0
	s_waitcnt lgkmcnt(0)
	v_cmp_gt_i64_e64 s[4:5], s[12:13], v[4:5]
	v_cmp_le_i64_e32 vcc, s[14:15], v[2:3]
	s_nop 0
	v_cndmask_b32_e64 v1, 0, 1, s[4:5]
	v_cmp_ne_u32_e64 s[4:5], 1, v1
	s_cbranch_vccz .LBB201_49
; %bb.1:
	s_and_b64 vcc, exec, s[4:5]
	s_cbranch_vccnz .LBB201_50
; %bb.2:
	v_and_b32_e32 v1, 0x3ff, v0
	v_mov_b32_e32 v2, 0
	v_bfe_u32 v58, v0, 10, 10
	v_add_u32_e32 v4, s3, v1
	v_mov_b32_e32 v5, v2
	v_lshlrev_b32_e32 v20, 3, v58
	v_mov_b32_e32 v21, v2
	v_cmp_gt_i64_e64 s[6:7], s[14:15], v[4:5]
	v_lshlrev_b64 v[22:23], 1, v[4:5]
	v_lshl_add_u64 v[4:5], v[20:21], 0, s[20:21]
	v_mul_lo_u32 v3, s15, v4
	v_mul_lo_u32 v8, s14, v5
	v_mad_u64_u32 v[6:7], s[26:27], s14, v4, 0
	v_add3_u32 v7, v7, v8, v3
	v_lshlrev_b64 v[6:7], 1, v[6:7]
	v_lshl_add_u64 v[24:25], s[16:17], 0, v[6:7]
	v_lshl_add_u64 v[26:27], s[18:19], 0, v[6:7]
	v_lshl_add_u64 v[6:7], v[4:5], 0, 7
	v_mul_lo_u32 v9, s15, v6
	v_mul_lo_u32 v10, s14, v7
	v_mad_u64_u32 v[6:7], s[30:31], s14, v6, 0
	v_add3_u32 v7, v7, v10, v9
	v_lshlrev_b64 v[6:7], 1, v[6:7]
	v_lshl_add_u64 v[28:29], s[16:17], 0, v[6:7]
	v_lshl_add_u64 v[30:31], s[18:19], 0, v[6:7]
	;; [unrolled: 8-line block ×6, first 2 shown]
	v_lshl_add_u64 v[6:7], v[4:5], 0, 2
	s_load_dword s9, s[0:1], 0x44
	v_mul_lo_u32 v5, s15, v6
	v_mul_lo_u32 v9, s14, v7
	v_mad_u64_u32 v[6:7], s[30:31], s14, v6, 0
	v_add3_u32 v7, v7, v9, v5
	v_lshlrev_b64 v[6:7], 1, v[6:7]
	v_lshl_add_u64 v[48:49], s[16:17], 0, v[6:7]
	v_lshl_add_u64 v[50:51], s[18:19], 0, v[6:7]
	v_mov_b64_e32 v[6:7], s[14:15]
	s_add_u32 s24, s0, 64
	v_mad_u64_u32 v[4:5], s[30:31], s14, v4, v[6:7]
	s_addc_u32 s25, s1, 0
	s_waitcnt lgkmcnt(0)
	s_lshl_b32 s22, s9, 3
	v_add3_u32 v5, v3, v5, v8
	v_mbcnt_lo_u32_b32 v3, -1, 0
	s_mul_i32 s9, s15, s22
	s_mul_hi_u32 s26, s14, s22
	v_mbcnt_hi_u32_b32 v3, -1, v3
	s_add_i32 s27, s26, s9
	s_mul_i32 s26, s14, s22
	v_lshlrev_b64 v[4:5], 1, v[4:5]
	v_lshlrev_b32_e32 v3, 2, v3
	s_mov_b32 s23, 0
	s_lshl_b64 s[26:27], s[26:27], 1
	s_mov_b64 s[28:29], 7
	v_lshl_add_u64 v[52:53], s[16:17], 0, v[4:5]
	v_lshl_add_u64 v[54:55], s[18:19], 0, v[4:5]
	v_and_b32_e32 v59, 0x100, v3
	s_mov_b64 s[30:31], s[20:21]
	v_mov_b32_e32 v60, 0
.LBB201_3:                              ; =>This Inner Loop Header: Depth=1
	s_add_u32 s34, s20, s28
	s_addc_u32 s35, 0, s29
	v_mov_b64_e32 v[4:5], s[12:13]
	v_cmp_ge_i64_e32 vcc, s[34:35], v[4:5]
	v_lshl_add_u64 v[56:57], s[20:21], 0, v[20:21]
	s_mov_b64 s[34:35], -1
	s_and_b64 vcc, exec, vcc
                                        ; implicit-def: $vgpr4_vgpr5_vgpr6_vgpr7_vgpr8_vgpr9_vgpr10_vgpr11
                                        ; implicit-def: $vgpr3
                                        ; implicit-def: $vgpr12_vgpr13_vgpr14_vgpr15_vgpr16_vgpr17_vgpr18_vgpr19
                                        ; implicit-def: $vgpr4
	s_cbranch_vccz .LBB201_25
; %bb.4:                                ;   in Loop: Header=BB201_3 Depth=1
	s_load_dword s9, s[24:25], 0xc
	v_mov_b32_e32 v61, 0
	s_waitcnt lgkmcnt(0)
	s_and_b32 s9, s9, 0xffff
	v_mad_u32_u24 v3, v58, s9, v1
	v_and_b32_e32 v4, 63, v3
	v_cmp_gt_u32_e32 vcc, 8, v4
	s_and_saveexec_b64 s[34:35], vcc
	s_cbranch_execz .LBB201_8
; %bb.5:                                ;   in Loop: Header=BB201_3 Depth=1
	v_mov_b32_e32 v5, v2
	v_lshl_add_u64 v[4:5], v[56:57], 0, v[4:5]
	v_cmp_gt_i64_e32 vcc, s[12:13], v[4:5]
	v_mov_b32_e32 v61, 0
	s_and_saveexec_b64 s[36:37], vcc
	s_cbranch_execz .LBB201_7
; %bb.6:                                ;   in Loop: Header=BB201_3 Depth=1
	v_lshl_add_u64 v[4:5], v[4:5], 2, s[10:11]
	global_load_dword v61, v[4:5], off
.LBB201_7:                              ;   in Loop: Header=BB201_3 Depth=1
	s_or_b64 exec, exec, s[36:37]
.LBB201_8:                              ;   in Loop: Header=BB201_3 Depth=1
	s_or_b64 exec, exec, s[34:35]
	v_mov_b32_e32 v8, v2
	v_mov_b32_e32 v9, v2
	;; [unrolled: 1-line block ×7, first 2 shown]
	v_mov_b64_e32 v[18:19], v[8:9]
	v_cmp_gt_i64_e32 vcc, s[12:13], v[56:57]
	v_mov_b64_e32 v[16:17], v[6:7]
	v_mov_b64_e32 v[14:15], v[4:5]
	;; [unrolled: 1-line block ×4, first 2 shown]
	s_and_b64 s[36:37], s[6:7], vcc
	v_mov_b64_e32 v[8:9], v[6:7]
	v_mov_b64_e32 v[6:7], v[4:5]
	;; [unrolled: 1-line block ×3, first 2 shown]
	s_and_saveexec_b64 s[34:35], s[36:37]
	s_cbranch_execz .LBB201_10
; %bb.9:                                ;   in Loop: Header=BB201_3 Depth=1
	v_lshl_add_u64 v[4:5], v[24:25], 0, v[22:23]
	global_load_ushort v3, v[4:5], off
	v_lshl_add_u64 v[4:5], v[26:27], 0, v[22:23]
	global_load_ushort v12, v[4:5], off
	v_mov_b32_e32 v5, v2
	v_mov_b32_e32 v6, v2
	;; [unrolled: 1-line block ×14, first 2 shown]
	s_waitcnt vmcnt(1)
	v_lshlrev_b32_e32 v4, 16, v3
	s_waitcnt vmcnt(0)
	v_lshlrev_b32_e32 v12, 16, v12
.LBB201_10:                             ;   in Loop: Header=BB201_3 Depth=1
	s_or_b64 exec, exec, s[34:35]
	v_lshl_add_u64 v[62:63], v[56:57], 0, 1
	v_cmp_gt_i64_e32 vcc, s[12:13], v[62:63]
	s_and_b64 s[36:37], s[6:7], vcc
	s_and_saveexec_b64 s[34:35], s[36:37]
	s_cbranch_execz .LBB201_12
; %bb.11:                               ;   in Loop: Header=BB201_3 Depth=1
	v_lshl_add_u64 v[62:63], v[52:53], 0, v[22:23]
	global_load_ushort v3, v[62:63], off
	v_lshl_add_u64 v[62:63], v[54:55], 0, v[22:23]
	global_load_ushort v13, v[62:63], off
	s_waitcnt vmcnt(1)
	v_lshlrev_b32_e32 v5, 16, v3
	s_waitcnt vmcnt(0)
	v_lshlrev_b32_e32 v13, 16, v13
.LBB201_12:                             ;   in Loop: Header=BB201_3 Depth=1
	s_or_b64 exec, exec, s[34:35]
	v_lshl_add_u64 v[62:63], v[56:57], 0, 2
	v_cmp_gt_i64_e32 vcc, s[12:13], v[62:63]
	s_and_b64 s[36:37], s[6:7], vcc
	s_and_saveexec_b64 s[34:35], s[36:37]
	s_cbranch_execz .LBB201_14
; %bb.13:                               ;   in Loop: Header=BB201_3 Depth=1
	v_lshl_add_u64 v[62:63], v[48:49], 0, v[22:23]
	global_load_ushort v3, v[62:63], off
	v_lshl_add_u64 v[62:63], v[50:51], 0, v[22:23]
	global_load_ushort v14, v[62:63], off
	s_waitcnt vmcnt(1)
	v_lshlrev_b32_e32 v6, 16, v3
	s_waitcnt vmcnt(0)
	v_lshlrev_b32_e32 v14, 16, v14
.LBB201_14:                             ;   in Loop: Header=BB201_3 Depth=1
	;; [unrolled: 16-line block ×7, first 2 shown]
	s_or_b64 exec, exec, s[34:35]
	s_waitcnt vmcnt(0)
	ds_bpermute_b32 v3, v59, v61
	ds_bpermute_b32 v62, v59, v61 offset:4
	ds_bpermute_b32 v63, v59, v61 offset:8
	v_mul_f32_e32 v4, v12, v4
	v_pk_mul_f32 v[8:9], v[16:17], v[8:9]
	s_waitcnt lgkmcnt(2)
	v_fma_f32 v16, v4, v3, v60
	v_pk_mul_f32 v[6:7], v[14:15], v[6:7]
	v_mul_f32_e32 v3, v13, v5
	ds_bpermute_b32 v14, v59, v61 offset:12
	ds_bpermute_b32 v15, v59, v61 offset:16
	v_pk_mov_b32 v[12:13], v[2:3], v[6:7] op_sel:[1,0]
	v_pk_mov_b32 v[6:7], v[6:7], v[8:9] op_sel:[1,0]
	s_waitcnt lgkmcnt(2)
	v_pk_mul_f32 v[12:13], v[12:13], v[62:63]
	v_mul_f32_e32 v4, v18, v10
	v_add_f32_e32 v3, v16, v12
	v_add_f32_e32 v3, v3, v13
	ds_bpermute_b32 v12, v59, v61 offset:20
	ds_bpermute_b32 v13, v59, v61 offset:24
	s_waitcnt lgkmcnt(2)
	v_pk_mul_f32 v[6:7], v[6:7], v[14:15]
	s_mov_b64 s[34:35], 0
	v_add_f32_e32 v3, v3, v6
	v_add_f32_e32 v3, v3, v7
	v_pk_mov_b32 v[6:7], v[8:9], v[4:5] op_sel:[1,0]
	ds_bpermute_b32 v4, v59, v61 offset:28
	s_waitcnt lgkmcnt(1)
	v_pk_mul_f32 v[6:7], v[6:7], v[12:13]
	s_nop 0
	v_add_f32_e32 v3, v3, v6
	v_add_f32_e32 v3, v3, v7
.LBB201_25:                             ;   in Loop: Header=BB201_3 Depth=1
	s_and_b64 vcc, exec, s[34:35]
	s_cbranch_vccz .LBB201_40
; %bb.26:                               ;   in Loop: Header=BB201_3 Depth=1
	s_load_dword s9, s[24:25], 0x0
	v_mov_b32_e32 v61, 0
	s_waitcnt lgkmcnt(0)
	s_cmp_lt_u32 s2, s9
	s_cselect_b32 s9, 12, 18
	s_add_u32 s34, s24, s9
	s_addc_u32 s35, s25, 0
	global_load_ushort v3, v2, s[34:35]
	s_waitcnt vmcnt(0)
	v_mad_u32_u24 v3, v58, v3, v1
	v_and_b32_e32 v4, 63, v3
	v_cmp_gt_u32_e32 vcc, 8, v4
	s_and_saveexec_b64 s[34:35], vcc
	s_cbranch_execz .LBB201_30
; %bb.27:                               ;   in Loop: Header=BB201_3 Depth=1
	v_mov_b32_e32 v5, v2
	v_lshl_add_u64 v[4:5], v[56:57], 0, v[4:5]
	v_cmp_gt_i64_e32 vcc, s[12:13], v[4:5]
	v_mov_b32_e32 v61, 0
	s_and_saveexec_b64 s[36:37], vcc
	s_cbranch_execz .LBB201_29
; %bb.28:                               ;   in Loop: Header=BB201_3 Depth=1
	v_lshl_add_u64 v[4:5], v[4:5], 2, s[10:11]
	global_load_dword v61, v[4:5], off
.LBB201_29:                             ;   in Loop: Header=BB201_3 Depth=1
	s_or_b64 exec, exec, s[36:37]
.LBB201_30:                             ;   in Loop: Header=BB201_3 Depth=1
	s_or_b64 exec, exec, s[34:35]
	v_mov_b32_e32 v8, v2
	v_mov_b32_e32 v9, v2
	;; [unrolled: 1-line block ×7, first 2 shown]
	v_mov_b64_e32 v[18:19], v[8:9]
	v_mov_b64_e32 v[16:17], v[6:7]
	;; [unrolled: 1-line block ×8, first 2 shown]
	s_and_saveexec_b64 s[34:35], s[6:7]
	s_cbranch_execnz .LBB201_42
; %bb.31:                               ;   in Loop: Header=BB201_3 Depth=1
	s_or_b64 exec, exec, s[34:35]
	s_and_saveexec_b64 s[34:35], s[6:7]
	s_cbranch_execnz .LBB201_43
.LBB201_32:                             ;   in Loop: Header=BB201_3 Depth=1
	s_or_b64 exec, exec, s[34:35]
	s_and_saveexec_b64 s[34:35], s[6:7]
	s_cbranch_execnz .LBB201_44
.LBB201_33:                             ;   in Loop: Header=BB201_3 Depth=1
	s_or_b64 exec, exec, s[34:35]
	s_and_saveexec_b64 s[34:35], s[6:7]
	s_cbranch_execnz .LBB201_45
.LBB201_34:                             ;   in Loop: Header=BB201_3 Depth=1
	s_or_b64 exec, exec, s[34:35]
	s_and_saveexec_b64 s[34:35], s[6:7]
	s_cbranch_execnz .LBB201_46
.LBB201_35:                             ;   in Loop: Header=BB201_3 Depth=1
	s_or_b64 exec, exec, s[34:35]
	s_and_saveexec_b64 s[34:35], s[6:7]
	s_cbranch_execnz .LBB201_47
.LBB201_36:                             ;   in Loop: Header=BB201_3 Depth=1
	s_or_b64 exec, exec, s[34:35]
	s_and_saveexec_b64 s[34:35], s[6:7]
	s_cbranch_execnz .LBB201_48
.LBB201_37:                             ;   in Loop: Header=BB201_3 Depth=1
	s_or_b64 exec, exec, s[34:35]
	s_and_saveexec_b64 s[34:35], s[6:7]
	s_cbranch_execz .LBB201_39
.LBB201_38:                             ;   in Loop: Header=BB201_3 Depth=1
	v_lshl_add_u64 v[56:57], v[28:29], 0, v[22:23]
	global_load_ushort v3, v[56:57], off
	v_lshl_add_u64 v[56:57], v[30:31], 0, v[22:23]
	global_load_ushort v19, v[56:57], off
	s_waitcnt vmcnt(1)
	v_lshlrev_b32_e32 v11, 16, v3
	s_waitcnt vmcnt(0)
	v_lshlrev_b32_e32 v19, 16, v19
.LBB201_39:                             ;   in Loop: Header=BB201_3 Depth=1
	s_or_b64 exec, exec, s[34:35]
	s_waitcnt vmcnt(0)
	ds_bpermute_b32 v3, v59, v61
	ds_bpermute_b32 v56, v59, v61 offset:4
	ds_bpermute_b32 v57, v59, v61 offset:8
	v_mul_f32_e32 v4, v12, v4
	v_pk_mul_f32 v[6:7], v[14:15], v[6:7]
	s_waitcnt lgkmcnt(2)
	v_fmac_f32_e32 v60, v4, v3
	v_mul_f32_e32 v3, v13, v5
	v_pk_mov_b32 v[4:5], v[2:3], v[6:7] op_sel:[1,0]
	ds_bpermute_b32 v12, v59, v61 offset:12
	ds_bpermute_b32 v13, v59, v61 offset:16
	s_waitcnt lgkmcnt(2)
	v_pk_mul_f32 v[4:5], v[4:5], v[56:57]
	v_pk_mul_f32 v[8:9], v[16:17], v[8:9]
	v_add_f32_e32 v3, v60, v4
	v_add_f32_e32 v3, v3, v5
	v_pk_mov_b32 v[4:5], v[6:7], v[8:9] op_sel:[1,0]
	ds_bpermute_b32 v6, v59, v61 offset:20
	ds_bpermute_b32 v7, v59, v61 offset:24
	s_waitcnt lgkmcnt(2)
	v_pk_mul_f32 v[4:5], v[4:5], v[12:13]
	v_mul_f32_e32 v10, v18, v10
	v_add_f32_e32 v3, v3, v4
	ds_bpermute_b32 v4, v59, v61 offset:28
	v_pk_mov_b32 v[8:9], v[8:9], v[10:11] op_sel:[1,0]
	v_add_f32_e32 v3, v3, v5
	s_waitcnt lgkmcnt(1)
	v_pk_mul_f32 v[6:7], v[8:9], v[6:7]
	s_nop 0
	v_add_f32_e32 v3, v3, v6
	v_add_f32_e32 v3, v3, v7
.LBB201_40:                             ;   in Loop: Header=BB201_3 Depth=1
	v_mul_f32_e32 v5, v11, v19
	s_add_u32 s30, s30, s22
	s_waitcnt lgkmcnt(0)
	v_fmac_f32_e32 v3, v5, v4
	s_addc_u32 s31, s31, 0
	v_mov_b64_e32 v[4:5], s[12:13]
	s_add_u32 s28, s28, s22
	v_cmp_lt_i64_e32 vcc, s[30:31], v[4:5]
	v_lshl_add_u64 v[24:25], v[24:25], 0, s[26:27]
	v_lshl_add_u64 v[26:27], v[26:27], 0, s[26:27]
	;; [unrolled: 1-line block ×17, first 2 shown]
	s_addc_u32 s29, 0, s29
	s_cbranch_vccz .LBB201_50
; %bb.41:                               ;   in Loop: Header=BB201_3 Depth=1
	v_mov_b32_e32 v60, v3
	s_branch .LBB201_3
.LBB201_42:                             ;   in Loop: Header=BB201_3 Depth=1
	v_lshl_add_u64 v[4:5], v[24:25], 0, v[22:23]
	global_load_ushort v3, v[4:5], off
	v_lshl_add_u64 v[4:5], v[26:27], 0, v[22:23]
	global_load_ushort v12, v[4:5], off
	v_mov_b32_e32 v5, v2
	v_mov_b32_e32 v6, v2
	;; [unrolled: 1-line block ×14, first 2 shown]
	s_waitcnt vmcnt(1)
	v_lshlrev_b32_e32 v4, 16, v3
	s_waitcnt vmcnt(0)
	v_lshlrev_b32_e32 v12, 16, v12
	s_or_b64 exec, exec, s[34:35]
	s_and_saveexec_b64 s[34:35], s[6:7]
	s_cbranch_execz .LBB201_32
.LBB201_43:                             ;   in Loop: Header=BB201_3 Depth=1
	v_lshl_add_u64 v[56:57], v[52:53], 0, v[22:23]
	global_load_ushort v3, v[56:57], off
	v_lshl_add_u64 v[56:57], v[54:55], 0, v[22:23]
	global_load_ushort v13, v[56:57], off
	s_waitcnt vmcnt(1)
	v_lshlrev_b32_e32 v5, 16, v3
	s_waitcnt vmcnt(0)
	v_lshlrev_b32_e32 v13, 16, v13
	s_or_b64 exec, exec, s[34:35]
	s_and_saveexec_b64 s[34:35], s[6:7]
	s_cbranch_execz .LBB201_33
.LBB201_44:                             ;   in Loop: Header=BB201_3 Depth=1
	v_lshl_add_u64 v[56:57], v[48:49], 0, v[22:23]
	global_load_ushort v3, v[56:57], off
	v_lshl_add_u64 v[56:57], v[50:51], 0, v[22:23]
	global_load_ushort v14, v[56:57], off
	s_waitcnt vmcnt(1)
	v_lshlrev_b32_e32 v6, 16, v3
	s_waitcnt vmcnt(0)
	v_lshlrev_b32_e32 v14, 16, v14
	s_or_b64 exec, exec, s[34:35]
	s_and_saveexec_b64 s[34:35], s[6:7]
	s_cbranch_execz .LBB201_34
.LBB201_45:                             ;   in Loop: Header=BB201_3 Depth=1
	v_lshl_add_u64 v[56:57], v[44:45], 0, v[22:23]
	global_load_ushort v3, v[56:57], off
	v_lshl_add_u64 v[56:57], v[46:47], 0, v[22:23]
	global_load_ushort v15, v[56:57], off
	s_waitcnt vmcnt(1)
	v_lshlrev_b32_e32 v7, 16, v3
	s_waitcnt vmcnt(0)
	v_lshlrev_b32_e32 v15, 16, v15
	s_or_b64 exec, exec, s[34:35]
	s_and_saveexec_b64 s[34:35], s[6:7]
	s_cbranch_execz .LBB201_35
.LBB201_46:                             ;   in Loop: Header=BB201_3 Depth=1
	v_lshl_add_u64 v[56:57], v[40:41], 0, v[22:23]
	global_load_ushort v3, v[56:57], off
	v_lshl_add_u64 v[56:57], v[42:43], 0, v[22:23]
	global_load_ushort v16, v[56:57], off
	s_waitcnt vmcnt(1)
	v_lshlrev_b32_e32 v8, 16, v3
	s_waitcnt vmcnt(0)
	v_lshlrev_b32_e32 v16, 16, v16
	s_or_b64 exec, exec, s[34:35]
	s_and_saveexec_b64 s[34:35], s[6:7]
	s_cbranch_execz .LBB201_36
.LBB201_47:                             ;   in Loop: Header=BB201_3 Depth=1
	v_lshl_add_u64 v[56:57], v[36:37], 0, v[22:23]
	global_load_ushort v3, v[56:57], off
	v_lshl_add_u64 v[56:57], v[38:39], 0, v[22:23]
	global_load_ushort v17, v[56:57], off
	s_waitcnt vmcnt(1)
	v_lshlrev_b32_e32 v9, 16, v3
	s_waitcnt vmcnt(0)
	v_lshlrev_b32_e32 v17, 16, v17
	s_or_b64 exec, exec, s[34:35]
	s_and_saveexec_b64 s[34:35], s[6:7]
	s_cbranch_execz .LBB201_37
.LBB201_48:                             ;   in Loop: Header=BB201_3 Depth=1
	v_lshl_add_u64 v[56:57], v[32:33], 0, v[22:23]
	global_load_ushort v3, v[56:57], off
	v_lshl_add_u64 v[56:57], v[34:35], 0, v[22:23]
	global_load_ushort v18, v[56:57], off
	s_waitcnt vmcnt(1)
	v_lshlrev_b32_e32 v10, 16, v3
	s_waitcnt vmcnt(0)
	v_lshlrev_b32_e32 v18, 16, v18
	s_or_b64 exec, exec, s[34:35]
	s_and_saveexec_b64 s[34:35], s[6:7]
	s_cbranch_execnz .LBB201_38
	s_branch .LBB201_39
.LBB201_49:
                                        ; implicit-def: $vgpr3
	s_load_dwordx2 s[6:7], s[0:1], 0x30
	s_branch .LBB201_51
.LBB201_50:
	s_load_dwordx2 s[6:7], s[0:1], 0x30
	s_cbranch_execnz .LBB201_83
.LBB201_51:
	s_and_b64 vcc, exec, s[4:5]
	v_mov_b32_e32 v3, 0
	s_cbranch_vccnz .LBB201_83
; %bb.52:
	v_mov_b32_e32 v2, 0
	v_bfe_u32 v86, v0, 10, 10
	v_lshlrev_b32_e32 v6, 4, v86
	v_mov_b32_e32 v7, v2
	v_lshl_add_u64 v[6:7], s[20:21], 1, v[6:7]
	v_lshl_add_u64 v[8:9], v[6:7], 0, 2
	v_mov_b64_e32 v[10:11], s[16:17]
	v_lshl_add_u64 v[12:13], v[6:7], 0, 4
	v_lshl_add_u64 v[14:15], v[6:7], 0, 6
	;; [unrolled: 1-line block ×6, first 2 shown]
	v_mad_u64_u32 v[22:23], s[4:5], s14, v8, v[10:11]
	v_mad_u64_u32 v[24:25], s[4:5], s14, v12, v[10:11]
	;; [unrolled: 1-line block ×7, first 2 shown]
	v_mov_b64_e32 v[10:11], s[18:19]
	v_mul_lo_u32 v9, s14, v9
	v_mul_lo_u32 v38, s15, v8
	v_mad_u64_u32 v[36:37], s[4:5], s14, v8, v[10:11]
	v_add3_u32 v23, v38, v23, v9
	v_mul_lo_u32 v13, s14, v13
	v_mul_lo_u32 v40, s15, v12
	v_add3_u32 v37, v38, v37, v9
	v_mad_u64_u32 v[38:39], s[4:5], s14, v12, v[10:11]
	v_add3_u32 v25, v40, v25, v13
	v_mul_lo_u32 v15, s14, v15
	v_mul_lo_u32 v42, s15, v14
	v_add3_u32 v39, v40, v39, v13
	;; [unrolled: 5-line block ×3, first 2 shown]
	v_mad_u64_u32 v[42:43], s[4:5], s14, v16, v[10:11]
	v_lshlrev_b32_e32 v20, 3, v86
	v_mov_b32_e32 v21, v2
	v_add3_u32 v29, v44, v29, v17
	v_mul_lo_u32 v19, s14, v19
	v_mul_lo_u32 v48, s15, v18
	;; [unrolled: 1-line block ×4, first 2 shown]
	v_add3_u32 v43, v44, v43, v17
	v_mad_u64_u32 v[44:45], s[4:5], s14, v18, v[10:11]
	v_mad_u64_u32 v[46:47], s[4:5], s14, v46, v[10:11]
	v_lshl_add_u64 v[4:5], v[20:21], 0, s[20:21]
	v_add3_u32 v31, v48, v31, v19
	v_add3_u32 v33, v51, v33, v49
	v_mul_lo_u32 v7, s14, v7
	v_mul_lo_u32 v8, s15, v6
	v_add3_u32 v45, v48, v45, v19
	v_add3_u32 v47, v51, v47, v49
	v_mad_u64_u32 v[48:49], s[4:5], s14, v6, v[10:11]
	v_add3_u32 v35, v8, v35, v7
	v_add3_u32 v49, v8, v49, v7
	v_lshl_add_u64 v[6:7], v[4:5], 0, 7
	v_mul_lo_u32 v8, s15, v6
	v_mul_lo_u32 v9, s14, v7
	v_mad_u64_u32 v[6:7], s[4:5], s14, v6, 0
	v_add3_u32 v7, v7, v9, v8
	v_lshl_add_u64 v[8:9], v[4:5], 0, 6
	v_mul_lo_u32 v10, s15, v8
	v_mul_lo_u32 v11, s14, v9
	v_mad_u64_u32 v[8:9], s[4:5], s14, v8, 0
	;; [unrolled: 5-line block ×5, first 2 shown]
	v_add3_u32 v15, v15, v17, v16
	v_lshl_add_u64 v[16:17], v[4:5], 0, 2
	v_mul_lo_u32 v50, s14, v5
	v_mul_lo_u32 v5, s15, v16
	;; [unrolled: 1-line block ×3, first 2 shown]
	v_mad_u64_u32 v[16:17], s[4:5], s14, v16, 0
	v_add3_u32 v17, v17, v18, v5
	v_mov_b64_e32 v[18:19], s[14:15]
	v_mul_lo_u32 v3, s15, v4
	v_mad_u64_u32 v[18:19], s[4:5], s14, v4, v[18:19]
	v_mad_u64_u32 v[4:5], s[4:5], s14, v4, 0
	v_and_b32_e32 v1, 0x3ff, v0
	v_add3_u32 v5, v5, v50, v3
	v_add3_u32 v19, v3, v19, v50
	v_add_u32_e32 v50, s3, v1
	s_load_dword s3, s[0:1], 0x44
	v_lshlrev_b64 v[4:5], 1, v[4:5]
	v_lshl_add_u64 v[52:53], s[16:17], 0, v[4:5]
	v_lshl_add_u64 v[54:55], s[18:19], 0, v[4:5]
	v_lshlrev_b64 v[4:5], 1, v[6:7]
	v_lshl_add_u64 v[56:57], s[16:17], 0, v[4:5]
	v_lshl_add_u64 v[58:59], s[18:19], 0, v[4:5]
	;; [unrolled: 3-line block ×3, first 2 shown]
	v_lshlrev_b64 v[4:5], 1, v[10:11]
	s_add_u32 s22, s0, 64
	v_lshl_add_u64 v[64:65], s[16:17], 0, v[4:5]
	v_lshl_add_u64 v[66:67], s[18:19], 0, v[4:5]
	v_lshlrev_b64 v[4:5], 1, v[12:13]
	s_addc_u32 s23, s1, 0
	s_waitcnt lgkmcnt(0)
	s_lshl_b32 s4, s3, 3
	v_lshl_add_u64 v[68:69], s[16:17], 0, v[4:5]
	v_lshl_add_u64 v[70:71], s[18:19], 0, v[4:5]
	v_lshlrev_b64 v[4:5], 1, v[14:15]
	v_mbcnt_lo_u32_b32 v3, -1, 0
	s_mul_i32 s3, s15, s4
	s_mul_hi_u32 s9, s14, s4
	v_lshl_add_u64 v[72:73], s[16:17], 0, v[4:5]
	v_lshl_add_u64 v[74:75], s[18:19], 0, v[4:5]
	v_lshlrev_b64 v[4:5], 1, v[16:17]
	v_mbcnt_hi_u32_b32 v3, -1, v3
	v_mov_b32_e32 v51, v2
	s_add_i32 s25, s9, s3
	s_mul_i32 s24, s14, s4
	v_lshl_add_u64 v[76:77], s[16:17], 0, v[4:5]
	v_lshl_add_u64 v[78:79], s[18:19], 0, v[4:5]
	v_lshlrev_b64 v[4:5], 1, v[18:19]
	v_lshlrev_b32_e32 v3, 2, v3
	s_mov_b32 s5, 0
	v_lshlrev_b64 v[50:51], 1, v[50:51]
	s_lshl_b64 s[24:25], s[24:25], 1
	s_mov_b64 s[26:27], 7
	v_lshl_add_u64 v[80:81], s[16:17], 0, v[4:5]
	v_lshl_add_u64 v[82:83], s[18:19], 0, v[4:5]
	v_and_b32_e32 v87, 0x100, v3
	s_mov_b64 s[16:17], s[20:21]
	v_mov_b32_e32 v88, 0
.LBB201_53:                             ; =>This Inner Loop Header: Depth=1
	s_add_u32 s18, s20, s26
	s_addc_u32 s19, 0, s27
	v_mov_b64_e32 v[4:5], s[12:13]
	v_cmp_ge_i64_e32 vcc, s[18:19], v[4:5]
	v_lshl_add_u64 v[84:85], s[20:21], 0, v[20:21]
	s_mov_b64 s[18:19], -1
                                        ; implicit-def: $vgpr3
	s_cbranch_vccz .LBB201_75
; %bb.54:                               ;   in Loop: Header=BB201_53 Depth=1
	s_load_dword s3, s[22:23], 0xc
	v_mov_b32_e32 v89, 0
	s_waitcnt lgkmcnt(0)
	s_and_b32 s3, s3, 0xffff
	v_mad_u32_u24 v3, v86, s3, v1
	v_and_b32_e32 v4, 63, v3
	v_cmp_gt_u32_e32 vcc, 8, v4
	s_and_saveexec_b64 s[18:19], vcc
	s_cbranch_execz .LBB201_58
; %bb.55:                               ;   in Loop: Header=BB201_53 Depth=1
	v_mov_b32_e32 v5, v2
	v_lshl_add_u64 v[4:5], v[84:85], 0, v[4:5]
	v_cmp_gt_i64_e32 vcc, s[12:13], v[4:5]
	v_mov_b32_e32 v89, 0
	s_and_saveexec_b64 s[28:29], vcc
	s_cbranch_execz .LBB201_57
; %bb.56:                               ;   in Loop: Header=BB201_53 Depth=1
	v_lshl_add_u64 v[4:5], v[4:5], 2, s[10:11]
	global_load_dword v89, v[4:5], off
.LBB201_57:                             ;   in Loop: Header=BB201_53 Depth=1
	s_or_b64 exec, exec, s[28:29]
.LBB201_58:                             ;   in Loop: Header=BB201_53 Depth=1
	s_or_b64 exec, exec, s[18:19]
	v_mov_b32_e32 v8, v2
	v_mov_b32_e32 v9, v2
	;; [unrolled: 1-line block ×7, first 2 shown]
	v_mov_b64_e32 v[18:19], v[8:9]
	v_mov_b64_e32 v[16:17], v[6:7]
	;; [unrolled: 1-line block ×5, first 2 shown]
	v_cmp_gt_i64_e32 vcc, s[12:13], v[84:85]
	v_mov_b64_e32 v[8:9], v[6:7]
	v_mov_b64_e32 v[6:7], v[4:5]
	;; [unrolled: 1-line block ×3, first 2 shown]
	s_and_saveexec_b64 s[18:19], vcc
	s_cbranch_execz .LBB201_60
; %bb.59:                               ;   in Loop: Header=BB201_53 Depth=1
	v_lshl_add_u64 v[4:5], v[52:53], 0, v[50:51]
	global_load_ushort v3, v[4:5], off
	v_lshl_add_u64 v[4:5], v[54:55], 0, v[50:51]
	global_load_ushort v12, v[4:5], off
	v_mov_b32_e32 v5, v2
	v_mov_b32_e32 v6, v2
	;; [unrolled: 1-line block ×14, first 2 shown]
	s_waitcnt vmcnt(1)
	v_lshlrev_b32_e32 v4, 16, v3
	s_waitcnt vmcnt(0)
	v_lshlrev_b32_e32 v12, 16, v12
.LBB201_60:                             ;   in Loop: Header=BB201_53 Depth=1
	s_or_b64 exec, exec, s[18:19]
	v_lshl_add_u64 v[90:91], v[84:85], 0, 1
	v_cmp_gt_i64_e32 vcc, s[12:13], v[90:91]
	s_and_saveexec_b64 s[18:19], vcc
	s_cbranch_execz .LBB201_62
; %bb.61:                               ;   in Loop: Header=BB201_53 Depth=1
	v_lshl_add_u64 v[90:91], v[80:81], 0, v[50:51]
	global_load_ushort v3, v[90:91], off
	v_lshl_add_u64 v[90:91], v[82:83], 0, v[50:51]
	global_load_ushort v13, v[90:91], off
	s_waitcnt vmcnt(1)
	v_lshlrev_b32_e32 v5, 16, v3
	s_waitcnt vmcnt(0)
	v_lshlrev_b32_e32 v13, 16, v13
.LBB201_62:                             ;   in Loop: Header=BB201_53 Depth=1
	s_or_b64 exec, exec, s[18:19]
	v_lshl_add_u64 v[90:91], v[84:85], 0, 2
	v_cmp_gt_i64_e32 vcc, s[12:13], v[90:91]
	s_and_saveexec_b64 s[18:19], vcc
	s_cbranch_execz .LBB201_64
; %bb.63:                               ;   in Loop: Header=BB201_53 Depth=1
	v_lshl_add_u64 v[90:91], v[76:77], 0, v[50:51]
	global_load_ushort v3, v[90:91], off
	v_lshl_add_u64 v[90:91], v[78:79], 0, v[50:51]
	global_load_ushort v14, v[90:91], off
	s_waitcnt vmcnt(1)
	v_lshlrev_b32_e32 v6, 16, v3
	s_waitcnt vmcnt(0)
	v_lshlrev_b32_e32 v14, 16, v14
.LBB201_64:                             ;   in Loop: Header=BB201_53 Depth=1
	s_or_b64 exec, exec, s[18:19]
	v_lshl_add_u64 v[90:91], v[84:85], 0, 3
	v_cmp_gt_i64_e32 vcc, s[12:13], v[90:91]
	s_and_saveexec_b64 s[18:19], vcc
	s_cbranch_execz .LBB201_66
; %bb.65:                               ;   in Loop: Header=BB201_53 Depth=1
	v_lshl_add_u64 v[90:91], v[72:73], 0, v[50:51]
	global_load_ushort v3, v[90:91], off
	v_lshl_add_u64 v[90:91], v[74:75], 0, v[50:51]
	global_load_ushort v15, v[90:91], off
	s_waitcnt vmcnt(1)
	v_lshlrev_b32_e32 v7, 16, v3
	s_waitcnt vmcnt(0)
	v_lshlrev_b32_e32 v15, 16, v15
.LBB201_66:                             ;   in Loop: Header=BB201_53 Depth=1
	s_or_b64 exec, exec, s[18:19]
	v_lshl_add_u64 v[90:91], v[84:85], 0, 4
	v_cmp_gt_i64_e32 vcc, s[12:13], v[90:91]
	s_and_saveexec_b64 s[18:19], vcc
	s_cbranch_execz .LBB201_68
; %bb.67:                               ;   in Loop: Header=BB201_53 Depth=1
	v_lshl_add_u64 v[90:91], v[68:69], 0, v[50:51]
	global_load_ushort v3, v[90:91], off
	v_lshl_add_u64 v[90:91], v[70:71], 0, v[50:51]
	global_load_ushort v16, v[90:91], off
	s_waitcnt vmcnt(1)
	v_lshlrev_b32_e32 v8, 16, v3
	s_waitcnt vmcnt(0)
	v_lshlrev_b32_e32 v16, 16, v16
.LBB201_68:                             ;   in Loop: Header=BB201_53 Depth=1
	s_or_b64 exec, exec, s[18:19]
	v_lshl_add_u64 v[90:91], v[84:85], 0, 5
	v_cmp_gt_i64_e32 vcc, s[12:13], v[90:91]
	s_and_saveexec_b64 s[18:19], vcc
	s_cbranch_execz .LBB201_70
; %bb.69:                               ;   in Loop: Header=BB201_53 Depth=1
	v_lshl_add_u64 v[90:91], v[64:65], 0, v[50:51]
	global_load_ushort v3, v[90:91], off
	v_lshl_add_u64 v[90:91], v[66:67], 0, v[50:51]
	global_load_ushort v17, v[90:91], off
	s_waitcnt vmcnt(1)
	v_lshlrev_b32_e32 v9, 16, v3
	s_waitcnt vmcnt(0)
	v_lshlrev_b32_e32 v17, 16, v17
.LBB201_70:                             ;   in Loop: Header=BB201_53 Depth=1
	s_or_b64 exec, exec, s[18:19]
	v_lshl_add_u64 v[90:91], v[84:85], 0, 6
	v_cmp_gt_i64_e32 vcc, s[12:13], v[90:91]
	s_and_saveexec_b64 s[18:19], vcc
	s_cbranch_execz .LBB201_72
; %bb.71:                               ;   in Loop: Header=BB201_53 Depth=1
	v_lshl_add_u64 v[90:91], v[60:61], 0, v[50:51]
	global_load_ushort v3, v[90:91], off
	v_lshl_add_u64 v[90:91], v[62:63], 0, v[50:51]
	global_load_ushort v18, v[90:91], off
	s_waitcnt vmcnt(1)
	v_lshlrev_b32_e32 v10, 16, v3
	s_waitcnt vmcnt(0)
	v_lshlrev_b32_e32 v18, 16, v18
.LBB201_72:                             ;   in Loop: Header=BB201_53 Depth=1
	s_or_b64 exec, exec, s[18:19]
	v_lshl_add_u64 v[90:91], v[84:85], 0, 7
	v_cmp_gt_i64_e32 vcc, s[12:13], v[90:91]
	s_and_saveexec_b64 s[18:19], vcc
	s_cbranch_execz .LBB201_74
; %bb.73:                               ;   in Loop: Header=BB201_53 Depth=1
	v_lshl_add_u64 v[90:91], v[56:57], 0, v[50:51]
	global_load_ushort v3, v[90:91], off
	v_lshl_add_u64 v[90:91], v[58:59], 0, v[50:51]
	global_load_ushort v19, v[90:91], off
	s_waitcnt vmcnt(1)
	v_lshlrev_b32_e32 v11, 16, v3
	s_waitcnt vmcnt(0)
	v_lshlrev_b32_e32 v19, 16, v19
.LBB201_74:                             ;   in Loop: Header=BB201_53 Depth=1
	s_or_b64 exec, exec, s[18:19]
	s_waitcnt vmcnt(0)
	ds_bpermute_b32 v90, v87, v89
	ds_bpermute_b32 v91, v87, v89 offset:4
	v_pk_mul_f32 v[6:7], v[14:15], v[6:7]
	ds_bpermute_b32 v14, v87, v89 offset:8
	ds_bpermute_b32 v15, v87, v89 offset:12
	v_pk_mul_f32 v[4:5], v[12:13], v[4:5]
	ds_bpermute_b32 v12, v87, v89 offset:24
	s_waitcnt lgkmcnt(3)
	v_pk_mul_f32 v[4:5], v[4:5], v[90:91]
	ds_bpermute_b32 v13, v87, v89 offset:28
	v_add_f32_e32 v3, v88, v4
	v_add_f32_e32 v3, v3, v5
	s_waitcnt lgkmcnt(2)
	v_pk_mul_f32 v[4:5], v[6:7], v[14:15]
	ds_bpermute_b32 v6, v87, v89 offset:16
	ds_bpermute_b32 v7, v87, v89 offset:20
	v_pk_mul_f32 v[8:9], v[16:17], v[8:9]
	v_add_f32_e32 v3, v3, v4
	v_add_f32_e32 v3, v3, v5
	v_pk_mul_f32 v[10:11], v[18:19], v[10:11]
	s_waitcnt lgkmcnt(0)
	v_pk_mul_f32 v[4:5], v[8:9], v[6:7]
	s_mov_b64 s[18:19], 0
	v_add_f32_e32 v3, v3, v4
	v_add_f32_e32 v3, v3, v5
	v_pk_mul_f32 v[4:5], v[10:11], v[12:13]
	s_nop 0
	v_add_f32_e32 v3, v3, v4
	v_add_f32_e32 v3, v3, v5
.LBB201_75:                             ;   in Loop: Header=BB201_53 Depth=1
	s_and_b64 vcc, exec, s[18:19]
	s_cbranch_vccz .LBB201_81
; %bb.76:                               ;   in Loop: Header=BB201_53 Depth=1
	s_load_dword s3, s[22:23], 0x0
	s_waitcnt lgkmcnt(0)
	s_cmp_lt_u32 s2, s3
	s_cselect_b32 s3, 12, 18
	s_add_u32 s18, s22, s3
	s_addc_u32 s19, s23, 0
	global_load_ushort v3, v2, s[18:19]
	s_waitcnt vmcnt(0)
	v_mad_u32_u24 v3, v86, v3, v1
	v_and_b32_e32 v4, 63, v3
	v_cmp_gt_u32_e32 vcc, 8, v4
	v_mov_b32_e32 v3, 0
	s_and_saveexec_b64 s[18:19], vcc
	s_cbranch_execz .LBB201_80
; %bb.77:                               ;   in Loop: Header=BB201_53 Depth=1
	v_mov_b32_e32 v5, v2
	v_lshl_add_u64 v[4:5], v[84:85], 0, v[4:5]
	v_cmp_gt_i64_e32 vcc, s[12:13], v[4:5]
	v_mov_b32_e32 v3, 0
	s_and_saveexec_b64 s[28:29], vcc
	s_cbranch_execz .LBB201_79
; %bb.78:                               ;   in Loop: Header=BB201_53 Depth=1
	v_lshl_add_u64 v[4:5], v[4:5], 2, s[10:11]
	global_load_dword v3, v[4:5], off
.LBB201_79:                             ;   in Loop: Header=BB201_53 Depth=1
	s_or_b64 exec, exec, s[28:29]
.LBB201_80:                             ;   in Loop: Header=BB201_53 Depth=1
	s_or_b64 exec, exec, s[18:19]
	v_lshl_add_u64 v[8:9], v[22:23], 0, v[50:51]
	v_lshl_add_u64 v[94:95], v[44:45], 0, v[50:51]
	;; [unrolled: 1-line block ×16, first 2 shown]
	global_load_ushort v89, v[8:9], off
	global_load_ushort v104, v[4:5], off
	;; [unrolled: 1-line block ×15, first 2 shown]
                                        ; kill: killed $vgpr96_vgpr97
                                        ; kill: killed $vgpr14_vgpr15
                                        ; kill: killed $vgpr92_vgpr93
                                        ; kill: killed $vgpr10_vgpr11
                                        ; kill: killed $vgpr102_vgpr103
                                        ; kill: killed $vgpr84_vgpr85
                                        ; kill: killed $vgpr6_vgpr7
                                        ; kill: killed $vgpr16_vgpr17
                                        ; kill: killed $vgpr94_vgpr95
                                        ; kill: killed $vgpr12_vgpr13
                                        ; kill: killed $vgpr90_vgpr91
                                        ; kill: killed $vgpr8_vgpr9
                                        ; kill: killed $vgpr100_vgpr101
                                        ; kill: killed $vgpr18_vgpr19
                                        ; kill: killed $vgpr4_vgpr5
	s_nop 0
	global_load_ushort v94, v[98:99], off
	s_waitcnt vmcnt(16)
	ds_bpermute_b32 v4, v87, v3
	ds_bpermute_b32 v5, v87, v3 offset:4
	ds_bpermute_b32 v6, v87, v3 offset:8
	;; [unrolled: 1-line block ×7, first 2 shown]
	s_waitcnt vmcnt(15)
	v_lshlrev_b32_e32 v13, 16, v89
	s_waitcnt vmcnt(14)
	v_lshlrev_b32_e32 v12, 16, v104
	;; [unrolled: 2-line block ×4, first 2 shown]
	v_pk_mul_f32 v[12:13], v[12:13], v[14:15]
	s_waitcnt vmcnt(11)
	v_lshlrev_b32_e32 v17, 16, v107
	s_waitcnt vmcnt(10)
	v_lshlrev_b32_e32 v16, 16, v108
	;; [unrolled: 2-line block ×4, first 2 shown]
	s_waitcnt lgkmcnt(6)
	v_pk_mul_f32 v[4:5], v[12:13], v[4:5]
	v_pk_mul_f32 v[14:15], v[16:17], v[18:19]
	v_add_f32_e32 v3, v88, v4
	s_waitcnt vmcnt(7)
	v_lshlrev_b32_e32 v85, 16, v111
	s_waitcnt vmcnt(6)
	v_lshlrev_b32_e32 v84, 16, v112
	;; [unrolled: 2-line block ×4, first 2 shown]
	s_waitcnt lgkmcnt(4)
	v_pk_mul_f32 v[6:7], v[14:15], v[6:7]
	v_add_f32_e32 v3, v3, v5
	v_pk_mul_f32 v[16:17], v[84:85], v[90:91]
	v_add_f32_e32 v3, v3, v6
	s_waitcnt vmcnt(3)
	v_lshlrev_b32_e32 v93, 16, v115
	s_waitcnt vmcnt(2)
	v_lshlrev_b32_e32 v92, 16, v116
	;; [unrolled: 2-line block ×3, first 2 shown]
	s_waitcnt lgkmcnt(2)
	v_pk_mul_f32 v[8:9], v[16:17], v[8:9]
	v_add_f32_e32 v3, v3, v7
	v_add_f32_e32 v3, v3, v8
	;; [unrolled: 1-line block ×3, first 2 shown]
	s_waitcnt vmcnt(0)
	v_lshlrev_b32_e32 v94, 16, v94
	v_pk_mul_f32 v[18:19], v[92:93], v[94:95]
	s_waitcnt lgkmcnt(0)
	v_pk_mul_f32 v[4:5], v[18:19], v[10:11]
	s_nop 0
	v_add_f32_e32 v3, v3, v4
	v_add_f32_e32 v3, v3, v5
.LBB201_81:                             ;   in Loop: Header=BB201_53 Depth=1
	s_add_u32 s16, s16, s4
	s_addc_u32 s17, s17, 0
	v_mov_b64_e32 v[4:5], s[12:13]
	s_add_u32 s26, s26, s4
	v_cmp_ge_i64_e32 vcc, s[16:17], v[4:5]
	v_lshl_add_u64 v[52:53], v[52:53], 0, s[24:25]
	v_lshl_add_u64 v[54:55], v[54:55], 0, s[24:25]
	;; [unrolled: 1-line block ×31, first 2 shown]
	s_addc_u32 s27, 0, s27
	s_cbranch_vccnz .LBB201_83
; %bb.82:                               ;   in Loop: Header=BB201_53 Depth=1
	v_mov_b32_e32 v88, v3
	s_branch .LBB201_53
.LBB201_83:
	s_mov_b32 s3, 0
	s_lshl_b64 s[2:3], s[2:3], 5
	v_and_b32_e32 v1, 0x3ff, v0
	v_or_b32_e32 v4, s2, v1
	v_mov_b32_e32 v5, s3
	s_waitcnt lgkmcnt(0)
	s_cmp_lg_u64 s[6:7], 0
	v_cmp_gt_i64_e32 vcc, s[14:15], v[4:5]
	s_cselect_b64 s[2:3], -1, 0
	s_and_b64 s[2:3], vcc, s[2:3]
	s_and_saveexec_b64 s[4:5], s[2:3]
	s_cbranch_execz .LBB201_85
; %bb.84:
	s_load_dword s0, s[0:1], 0x4c
	v_bfe_u32 v0, v0, 10, 10
	v_mov_b32_e32 v1, 0
	v_mov_b32_e32 v2, s8
	v_cmp_o_f32_e32 vcc, v3, v3
	s_waitcnt lgkmcnt(0)
	s_lshr_b32 s0, s0, 16
	v_mad_u64_u32 v[0:1], s[0:1], s0, v2, v[0:1]
	v_bfe_u32 v2, v3, 16, 1
	s_movk_i32 s0, 0x7fff
	v_add3_u32 v2, v3, v2, s0
	v_mov_b32_e32 v3, 0x7fc0
	v_cndmask_b32_sdwa v2, v3, v2, vcc dst_sel:DWORD dst_unused:UNUSED_PAD src0_sel:DWORD src1_sel:WORD_1
	v_mul_lo_u32 v3, v1, s14
	v_mul_lo_u32 v6, v0, s15
	v_mad_u64_u32 v[0:1], s[0:1], v0, s14, 0
	v_add3_u32 v1, v1, v6, v3
	v_lshl_add_u64 v[0:1], v[0:1], 1, s[6:7]
	v_lshl_add_u64 v[0:1], v[4:5], 1, v[0:1]
	global_store_short v[0:1], v2, off
.LBB201_85:
	s_endpgm
	.section	.rodata,"a",@progbits
	.p2align	6, 0x0
	.amdhsa_kernel _ZN2at6native12_GLOBAL__N_135GammaBetaBackwardCUDAKernelTemplateIN3c108BFloat16EfLj32ELj1ELj8ELb1ELb0ELb1EEEvllPKT_S7_PKT0_SA_PS5_SB_
		.amdhsa_group_segment_fixed_size 0
		.amdhsa_private_segment_fixed_size 0
		.amdhsa_kernarg_size 320
		.amdhsa_user_sgpr_count 2
		.amdhsa_user_sgpr_dispatch_ptr 0
		.amdhsa_user_sgpr_queue_ptr 0
		.amdhsa_user_sgpr_kernarg_segment_ptr 1
		.amdhsa_user_sgpr_dispatch_id 0
		.amdhsa_user_sgpr_kernarg_preload_length 0
		.amdhsa_user_sgpr_kernarg_preload_offset 0
		.amdhsa_user_sgpr_private_segment_size 0
		.amdhsa_uses_dynamic_stack 0
		.amdhsa_enable_private_segment 0
		.amdhsa_system_sgpr_workgroup_id_x 1
		.amdhsa_system_sgpr_workgroup_id_y 1
		.amdhsa_system_sgpr_workgroup_id_z 0
		.amdhsa_system_sgpr_workgroup_info 0
		.amdhsa_system_vgpr_workitem_id 1
		.amdhsa_next_free_vgpr 118
		.amdhsa_next_free_sgpr 38
		.amdhsa_accum_offset 120
		.amdhsa_reserve_vcc 1
		.amdhsa_float_round_mode_32 0
		.amdhsa_float_round_mode_16_64 0
		.amdhsa_float_denorm_mode_32 3
		.amdhsa_float_denorm_mode_16_64 3
		.amdhsa_dx10_clamp 1
		.amdhsa_ieee_mode 1
		.amdhsa_fp16_overflow 0
		.amdhsa_tg_split 0
		.amdhsa_exception_fp_ieee_invalid_op 0
		.amdhsa_exception_fp_denorm_src 0
		.amdhsa_exception_fp_ieee_div_zero 0
		.amdhsa_exception_fp_ieee_overflow 0
		.amdhsa_exception_fp_ieee_underflow 0
		.amdhsa_exception_fp_ieee_inexact 0
		.amdhsa_exception_int_div_zero 0
	.end_amdhsa_kernel
	.section	.text._ZN2at6native12_GLOBAL__N_135GammaBetaBackwardCUDAKernelTemplateIN3c108BFloat16EfLj32ELj1ELj8ELb1ELb0ELb1EEEvllPKT_S7_PKT0_SA_PS5_SB_,"axG",@progbits,_ZN2at6native12_GLOBAL__N_135GammaBetaBackwardCUDAKernelTemplateIN3c108BFloat16EfLj32ELj1ELj8ELb1ELb0ELb1EEEvllPKT_S7_PKT0_SA_PS5_SB_,comdat
.Lfunc_end201:
	.size	_ZN2at6native12_GLOBAL__N_135GammaBetaBackwardCUDAKernelTemplateIN3c108BFloat16EfLj32ELj1ELj8ELb1ELb0ELb1EEEvllPKT_S7_PKT0_SA_PS5_SB_, .Lfunc_end201-_ZN2at6native12_GLOBAL__N_135GammaBetaBackwardCUDAKernelTemplateIN3c108BFloat16EfLj32ELj1ELj8ELb1ELb0ELb1EEEvllPKT_S7_PKT0_SA_PS5_SB_
                                        ; -- End function
	.set _ZN2at6native12_GLOBAL__N_135GammaBetaBackwardCUDAKernelTemplateIN3c108BFloat16EfLj32ELj1ELj8ELb1ELb0ELb1EEEvllPKT_S7_PKT0_SA_PS5_SB_.num_vgpr, 118
	.set _ZN2at6native12_GLOBAL__N_135GammaBetaBackwardCUDAKernelTemplateIN3c108BFloat16EfLj32ELj1ELj8ELb1ELb0ELb1EEEvllPKT_S7_PKT0_SA_PS5_SB_.num_agpr, 0
	.set _ZN2at6native12_GLOBAL__N_135GammaBetaBackwardCUDAKernelTemplateIN3c108BFloat16EfLj32ELj1ELj8ELb1ELb0ELb1EEEvllPKT_S7_PKT0_SA_PS5_SB_.numbered_sgpr, 38
	.set _ZN2at6native12_GLOBAL__N_135GammaBetaBackwardCUDAKernelTemplateIN3c108BFloat16EfLj32ELj1ELj8ELb1ELb0ELb1EEEvllPKT_S7_PKT0_SA_PS5_SB_.num_named_barrier, 0
	.set _ZN2at6native12_GLOBAL__N_135GammaBetaBackwardCUDAKernelTemplateIN3c108BFloat16EfLj32ELj1ELj8ELb1ELb0ELb1EEEvllPKT_S7_PKT0_SA_PS5_SB_.private_seg_size, 0
	.set _ZN2at6native12_GLOBAL__N_135GammaBetaBackwardCUDAKernelTemplateIN3c108BFloat16EfLj32ELj1ELj8ELb1ELb0ELb1EEEvllPKT_S7_PKT0_SA_PS5_SB_.uses_vcc, 1
	.set _ZN2at6native12_GLOBAL__N_135GammaBetaBackwardCUDAKernelTemplateIN3c108BFloat16EfLj32ELj1ELj8ELb1ELb0ELb1EEEvllPKT_S7_PKT0_SA_PS5_SB_.uses_flat_scratch, 0
	.set _ZN2at6native12_GLOBAL__N_135GammaBetaBackwardCUDAKernelTemplateIN3c108BFloat16EfLj32ELj1ELj8ELb1ELb0ELb1EEEvllPKT_S7_PKT0_SA_PS5_SB_.has_dyn_sized_stack, 0
	.set _ZN2at6native12_GLOBAL__N_135GammaBetaBackwardCUDAKernelTemplateIN3c108BFloat16EfLj32ELj1ELj8ELb1ELb0ELb1EEEvllPKT_S7_PKT0_SA_PS5_SB_.has_recursion, 0
	.set _ZN2at6native12_GLOBAL__N_135GammaBetaBackwardCUDAKernelTemplateIN3c108BFloat16EfLj32ELj1ELj8ELb1ELb0ELb1EEEvllPKT_S7_PKT0_SA_PS5_SB_.has_indirect_call, 0
	.section	.AMDGPU.csdata,"",@progbits
; Kernel info:
; codeLenInByte = 6220
; TotalNumSgprs: 44
; NumVgprs: 118
; NumAgprs: 0
; TotalNumVgprs: 118
; ScratchSize: 0
; MemoryBound: 0
; FloatMode: 240
; IeeeMode: 1
; LDSByteSize: 0 bytes/workgroup (compile time only)
; SGPRBlocks: 5
; VGPRBlocks: 14
; NumSGPRsForWavesPerEU: 44
; NumVGPRsForWavesPerEU: 118
; AccumOffset: 120
; Occupancy: 4
; WaveLimiterHint : 0
; COMPUTE_PGM_RSRC2:SCRATCH_EN: 0
; COMPUTE_PGM_RSRC2:USER_SGPR: 2
; COMPUTE_PGM_RSRC2:TRAP_HANDLER: 0
; COMPUTE_PGM_RSRC2:TGID_X_EN: 1
; COMPUTE_PGM_RSRC2:TGID_Y_EN: 1
; COMPUTE_PGM_RSRC2:TGID_Z_EN: 0
; COMPUTE_PGM_RSRC2:TIDIG_COMP_CNT: 1
; COMPUTE_PGM_RSRC3_GFX90A:ACCUM_OFFSET: 29
; COMPUTE_PGM_RSRC3_GFX90A:TG_SPLIT: 0
	.section	.text._ZN2at6native12_GLOBAL__N_135GammaBetaBackwardCUDAKernelTemplateIN3c108BFloat16EfLj32ELj8ELj64ELb0ELb1ELb1EEEvllPKT_S7_PKT0_SA_PS5_SB_,"axG",@progbits,_ZN2at6native12_GLOBAL__N_135GammaBetaBackwardCUDAKernelTemplateIN3c108BFloat16EfLj32ELj8ELj64ELb0ELb1ELb1EEEvllPKT_S7_PKT0_SA_PS5_SB_,comdat
	.globl	_ZN2at6native12_GLOBAL__N_135GammaBetaBackwardCUDAKernelTemplateIN3c108BFloat16EfLj32ELj8ELj64ELb0ELb1ELb1EEEvllPKT_S7_PKT0_SA_PS5_SB_ ; -- Begin function _ZN2at6native12_GLOBAL__N_135GammaBetaBackwardCUDAKernelTemplateIN3c108BFloat16EfLj32ELj8ELj64ELb0ELb1ELb1EEEvllPKT_S7_PKT0_SA_PS5_SB_
	.p2align	8
	.type	_ZN2at6native12_GLOBAL__N_135GammaBetaBackwardCUDAKernelTemplateIN3c108BFloat16EfLj32ELj8ELj64ELb0ELb1ELb1EEEvllPKT_S7_PKT0_SA_PS5_SB_,@function
_ZN2at6native12_GLOBAL__N_135GammaBetaBackwardCUDAKernelTemplateIN3c108BFloat16EfLj32ELj8ELj64ELb0ELb1ELb1EEEvllPKT_S7_PKT0_SA_PS5_SB_: ; @_ZN2at6native12_GLOBAL__N_135GammaBetaBackwardCUDAKernelTemplateIN3c108BFloat16EfLj32ELj8ELj64ELb0ELb1ELb1EEEvllPKT_S7_PKT0_SA_PS5_SB_
; %bb.0:
	s_load_dwordx4 s[4:7], s[0:1], 0x0
	s_lshl_b32 s14, s3, 6
	s_mov_b32 s15, 0
	v_mov_b64_e32 v[2:3], s[14:15]
	v_bfe_u32 v12, v0, 10, 10
	s_waitcnt lgkmcnt(0)
	v_cmp_gt_i64_e32 vcc, s[4:5], v[2:3]
	s_cbranch_vccnz .LBB202_2
; %bb.1:
	s_mov_b64 s[8:9], 0
	v_bfe_u32 v2, v0, 10, 10
	s_branch .LBB202_3
.LBB202_2:
	s_mov_b64 s[8:9], -1
                                        ; implicit-def: $vgpr2
.LBB202_3:
	s_load_dwordx2 s[12:13], s[0:1], 0x30
	v_and_b32_e32 v10, 0x3ff, v0
	v_mov_b32_e32 v1, 0
	s_andn2_b64 vcc, exec, s[8:9]
	v_mbcnt_lo_u32_b32 v11, -1, 0
	s_cbranch_vccnz .LBB202_11
; %bb.4:
	s_load_dword s3, s[0:1], 0x4c
	s_load_dword s16, s[0:1], 0x44
	s_load_dwordx2 s[18:19], s[0:1], 0x28
	s_load_dwordx4 s[8:11], s[0:1], 0x10
	v_lshlrev_b32_e32 v0, 3, v12
	s_waitcnt lgkmcnt(0)
	s_and_b32 s0, s3, 0xffff
	v_mad_u32_u24 v1, v12, s0, v10
	v_and_b32_e32 v2, 63, v1
	v_mov_b32_e32 v1, 0
	v_mov_b32_e32 v3, v1
	v_lshl_add_u64 v[8:9], v[0:1], 0, s[14:15]
	v_cmp_gt_u32_e64 s[0:1], 8, v2
	v_mbcnt_hi_u32_b32 v4, -1, v11
	s_lshl_b32 s16, s16, 6
	v_lshl_add_u64 v[2:3], v[8:9], 0, v[2:3]
	v_mul_lo_u32 v0, s7, v8
	v_mul_lo_u32 v21, s6, v9
	v_mad_u64_u32 v[8:9], s[20:21], s6, v8, 0
	v_lshl_add_u32 v6, s2, 5, v10
	v_mov_b32_e32 v7, v1
	v_lshlrev_b32_e32 v4, 2, v4
	s_mul_i32 s3, s7, s16
	s_mul_hi_u32 s20, s6, s16
	s_mov_b32 s17, 0
	v_and_b32_e32 v13, 0x100, v4
	v_add3_u32 v9, v9, v21, v0
	v_lshlrev_b64 v[6:7], 1, v[6:7]
	s_add_i32 s21, s20, s3
	s_mul_i32 s20, s6, s16
	v_or_b32_e32 v14, 4, v13
	v_or_b32_e32 v15, 8, v13
	;; [unrolled: 1-line block ×7, first 2 shown]
	v_lshl_add_u64 v[4:5], v[2:3], 2, s[18:19]
	s_lshl_b64 s[18:19], s[16:17], 2
	v_lshl_add_u64 v[6:7], v[8:9], 1, v[6:7]
	s_lshl_b64 s[20:21], s[20:21], 1
	s_lshl_b64 s[6:7], s[6:7], 1
	v_mov_b64_e32 v[8:9], s[4:5]
	s_branch .LBB202_7
.LBB202_5:                              ;   in Loop: Header=BB202_7 Depth=1
	s_or_b64 exec, exec, s[24:25]
.LBB202_6:                              ;   in Loop: Header=BB202_7 Depth=1
	s_or_b64 exec, exec, s[22:23]
	v_lshl_add_u64 v[22:23], s[8:9], 0, v[6:7]
	v_lshl_add_u64 v[24:25], s[10:11], 0, v[6:7]
	v_lshl_add_u64 v[26:27], v[22:23], 0, s[6:7]
	v_lshl_add_u64 v[28:29], v[24:25], 0, s[6:7]
	v_lshl_add_u64 v[30:31], v[26:27], 0, s[6:7]
	global_load_ushort v21, v[22:23], off
	global_load_ushort v34, v[24:25], off
	;; [unrolled: 1-line block ×4, first 2 shown]
	v_lshl_add_u64 v[32:33], v[28:29], 0, s[6:7]
	v_lshl_add_u64 v[22:23], v[30:31], 0, s[6:7]
	global_load_ushort v37, v[30:31], off
	global_load_ushort v38, v[32:33], off
	v_lshl_add_u64 v[24:25], v[32:33], 0, s[6:7]
	global_load_ushort v39, v[22:23], off
	global_load_ushort v40, v[24:25], off
	v_lshl_add_u64 v[22:23], v[22:23], 0, s[6:7]
	v_lshl_add_u64 v[24:25], v[24:25], 0, s[6:7]
	global_load_ushort v41, v[22:23], off
	global_load_ushort v42, v[24:25], off
	v_lshl_add_u64 v[22:23], v[22:23], 0, s[6:7]
	;; [unrolled: 4-line block ×4, first 2 shown]
	v_lshl_add_u64 v[24:25], v[24:25], 0, s[6:7]
	global_load_ushort v47, v[22:23], off
	global_load_ushort v48, v[24:25], off
	s_waitcnt vmcnt(16)
	ds_bpermute_b32 v22, v13, v0
	ds_bpermute_b32 v23, v14, v0
	;; [unrolled: 1-line block ×8, first 2 shown]
	s_add_u32 s14, s14, s16
	s_addc_u32 s15, s15, 0
	v_cmp_lt_i64_e32 vcc, s[14:15], v[8:9]
	v_lshl_add_u64 v[4:5], v[4:5], 0, s[18:19]
	v_lshl_add_u64 v[2:3], v[2:3], 0, s[16:17]
	;; [unrolled: 1-line block ×3, first 2 shown]
	s_and_b64 vcc, exec, vcc
	s_waitcnt vmcnt(15)
	v_lshlrev_b32_e32 v30, 16, v21
	s_waitcnt vmcnt(14)
	v_lshlrev_b32_e32 v32, 16, v34
	;; [unrolled: 2-line block ×4, first 2 shown]
	v_pk_mul_f32 v[30:31], v[30:31], v[32:33]
	s_waitcnt vmcnt(11)
	v_lshlrev_b32_e32 v32, 16, v37
	s_waitcnt vmcnt(10)
	v_lshlrev_b32_e32 v34, 16, v38
	s_waitcnt lgkmcnt(6)
	v_pk_mul_f32 v[22:23], v[30:31], v[22:23]
	s_waitcnt vmcnt(9)
	v_lshlrev_b32_e32 v33, 16, v39
	s_waitcnt vmcnt(8)
	v_lshlrev_b32_e32 v35, 16, v40
	v_add_f32_e32 v21, v1, v22
	v_pk_mul_f32 v[0:1], v[32:33], v[34:35]
	s_waitcnt vmcnt(7)
	v_lshlrev_b32_e32 v22, 16, v41
	s_waitcnt vmcnt(6)
	v_lshlrev_b32_e32 v30, 16, v42
	v_add_f32_e32 v21, v21, v23
	s_waitcnt lgkmcnt(4)
	v_pk_mul_f32 v[0:1], v[0:1], v[24:25]
	s_waitcnt vmcnt(5)
	v_lshlrev_b32_e32 v23, 16, v43
	s_waitcnt vmcnt(4)
	v_lshlrev_b32_e32 v31, 16, v44
	v_add_f32_e32 v21, v21, v0
	v_pk_mul_f32 v[22:23], v[22:23], v[30:31]
	s_waitcnt vmcnt(3)
	v_lshlrev_b32_e32 v0, 16, v45
	s_waitcnt vmcnt(2)
	v_lshlrev_b32_e32 v24, 16, v46
	v_add_f32_e32 v21, v21, v1
	s_waitcnt lgkmcnt(2)
	v_pk_mul_f32 v[22:23], v[22:23], v[26:27]
	s_waitcnt vmcnt(1)
	v_lshlrev_b32_e32 v1, 16, v47
	s_waitcnt vmcnt(0)
	v_lshlrev_b32_e32 v25, 16, v48
	v_add_f32_e32 v21, v21, v22
	v_pk_mul_f32 v[0:1], v[0:1], v[24:25]
	v_add_f32_e32 v21, v21, v23
	s_waitcnt lgkmcnt(0)
	v_pk_mul_f32 v[0:1], v[0:1], v[28:29]
	s_nop 0
	v_add_f32_e32 v0, v21, v0
	v_add_f32_e32 v1, v0, v1
	s_cbranch_vccz .LBB202_10
.LBB202_7:                              ; =>This Inner Loop Header: Depth=1
	v_mov_b32_e32 v0, 0
	s_and_saveexec_b64 s[22:23], s[0:1]
	s_cbranch_execz .LBB202_6
; %bb.8:                                ;   in Loop: Header=BB202_7 Depth=1
	v_cmp_gt_i64_e32 vcc, s[4:5], v[2:3]
	v_mov_b32_e32 v0, 0
	s_and_saveexec_b64 s[24:25], vcc
	s_cbranch_execz .LBB202_5
; %bb.9:                                ;   in Loop: Header=BB202_7 Depth=1
	global_load_dword v0, v[4:5], off
	s_branch .LBB202_5
.LBB202_10:
	v_mov_b32_e32 v2, v12
.LBB202_11:
	v_mad_u32_u24 v0, v2, 33, v10
	v_lshl_add_u32 v3, v0, 2, 0
	v_sub_u32_e32 v2, v0, v2
	s_movk_i32 s0, 0x800
	ds_write_b32 v3, v1
	v_mov_b32_e32 v1, 0
	v_cmp_gt_u32_e32 vcc, s0, v2
	ds_write_b32 v3, v1 offset:1056
	s_waitcnt lgkmcnt(0)
	s_barrier
	s_and_saveexec_b64 s[0:1], vcc
	s_cbranch_execz .LBB202_51
; %bb.12:
	v_and_b32_e32 v1, 63, v2
	v_lshrrev_b32_e32 v0, 6, v2
	v_cmp_gt_u32_e64 s[0:1], 8, v1
	v_mul_u32_u24_e32 v1, 33, v1
                                        ; implicit-def: $vgpr4
	s_and_saveexec_b64 s[4:5], s[0:1]
; %bb.13:
	v_lshlrev_b32_e32 v3, 2, v0
	v_lshlrev_b32_e32 v4, 2, v1
	v_add3_u32 v3, 0, v3, v4
	ds_read_b32 v4, v3
; %bb.14:
	s_or_b64 exec, exec, s[4:5]
	v_mbcnt_hi_u32_b32 v5, -1, v11
	v_and_b32_e32 v3, 64, v5
	v_add_u32_e32 v6, 64, v3
	v_xor_b32_e32 v3, 4, v5
	v_cmp_lt_i32_e32 vcc, v3, v6
	v_xor_b32_e32 v8, 2, v5
	s_cmp_lg_u64 s[12:13], 0
	v_cndmask_b32_e32 v3, v5, v3, vcc
	v_lshlrev_b32_e32 v3, 2, v3
	s_waitcnt lgkmcnt(0)
	ds_bpermute_b32 v7, v3, v4
	v_cmp_lt_i32_e32 vcc, v8, v6
	s_mov_b32 s3, 0
	s_cselect_b64 s[6:7], -1, 0
	s_lshl_b64 s[2:3], s[2:3], 6
	s_waitcnt lgkmcnt(0)
	v_add_f32_e32 v7, v4, v7
	v_cndmask_b32_e32 v4, v5, v8, vcc
	v_lshlrev_b32_e32 v4, 2, v4
	ds_bpermute_b32 v8, v4, v7
	v_cmp_eq_u32_e32 vcc, 0, v10
	s_waitcnt lgkmcnt(0)
	v_add_f32_e32 v7, v7, v8
	v_xor_b32_e32 v8, 1, v5
	v_cmp_lt_i32_e64 s[4:5], v8, v6
	s_nop 1
	v_cndmask_b32_e64 v5, v5, v8, s[4:5]
	v_lshlrev_b32_e32 v5, 2, v5
	ds_bpermute_b32 v6, v5, v7
	s_and_b64 s[4:5], vcc, s[6:7]
	s_add_u32 s2, s12, s2
	s_addc_u32 s3, s13, s3
	s_waitcnt lgkmcnt(0)
	v_add_f32_e32 v6, v7, v6
	s_and_saveexec_b64 s[6:7], s[4:5]
	s_cbranch_execz .LBB202_16
; %bb.15:
	v_bfe_u32 v7, v6, 16, 1
	s_movk_i32 s8, 0x7fff
	v_add3_u32 v7, v6, v7, s8
	v_cmp_o_f32_e32 vcc, v6, v6
	v_mov_b32_e32 v8, 0x7fc0
	s_nop 0
	v_cndmask_b32_sdwa v7, v8, v7, vcc dst_sel:DWORD dst_unused:UNUSED_PAD src0_sel:DWORD src1_sel:WORD_1
	v_lshlrev_b32_e32 v8, 1, v0
	global_store_short v8, v7, s[2:3]
.LBB202_16:
	s_or_b64 exec, exec, s[6:7]
	s_movk_i32 s6, 0x700
	v_cmp_gt_u32_e32 vcc, s6, v2
	s_and_b64 exec, exec, vcc
	s_cbranch_execz .LBB202_51
; %bb.17:
	s_and_saveexec_b64 s[6:7], s[0:1]
; %bb.18:
	v_lshlrev_b32_e32 v6, 2, v0
	v_lshlrev_b32_e32 v7, 2, v1
	v_add3_u32 v6, 0, v6, v7
	ds_read_b32 v6, v6 offset:16
; %bb.19:
	s_or_b64 exec, exec, s[6:7]
	s_waitcnt lgkmcnt(0)
	ds_bpermute_b32 v7, v3, v6
	s_waitcnt lgkmcnt(0)
	v_add_f32_e32 v6, v6, v7
	ds_bpermute_b32 v7, v4, v6
	s_waitcnt lgkmcnt(0)
	v_add_f32_e32 v6, v6, v7
	ds_bpermute_b32 v7, v5, v6
	s_waitcnt lgkmcnt(0)
	v_add_f32_e32 v6, v6, v7
	s_and_saveexec_b64 s[6:7], s[4:5]
	s_cbranch_execz .LBB202_21
; %bb.20:
	v_bfe_u32 v7, v6, 16, 1
	s_movk_i32 s8, 0x7fff
	v_add3_u32 v7, v6, v7, s8
	v_cmp_o_f32_e32 vcc, v6, v6
	v_mov_b32_e32 v8, 0x7fc0
	s_nop 0
	v_cndmask_b32_sdwa v7, v8, v7, vcc dst_sel:DWORD dst_unused:UNUSED_PAD src0_sel:DWORD src1_sel:WORD_1
	v_lshlrev_b32_e32 v8, 1, v0
	global_store_short v8, v7, s[2:3] offset:8
.LBB202_21:
	s_or_b64 exec, exec, s[6:7]
	s_movk_i32 s6, 0x600
	v_cmp_gt_u32_e32 vcc, s6, v2
	s_and_b64 exec, exec, vcc
	s_cbranch_execz .LBB202_51
; %bb.22:
	s_and_saveexec_b64 s[6:7], s[0:1]
; %bb.23:
	v_lshlrev_b32_e32 v6, 2, v0
	v_lshlrev_b32_e32 v7, 2, v1
	v_add3_u32 v6, 0, v6, v7
	ds_read_b32 v6, v6 offset:32
; %bb.24:
	s_or_b64 exec, exec, s[6:7]
	s_waitcnt lgkmcnt(0)
	ds_bpermute_b32 v7, v3, v6
	s_waitcnt lgkmcnt(0)
	v_add_f32_e32 v6, v6, v7
	ds_bpermute_b32 v7, v4, v6
	s_waitcnt lgkmcnt(0)
	v_add_f32_e32 v6, v6, v7
	ds_bpermute_b32 v7, v5, v6
	s_waitcnt lgkmcnt(0)
	v_add_f32_e32 v6, v6, v7
	s_and_saveexec_b64 s[6:7], s[4:5]
	s_cbranch_execz .LBB202_26
; %bb.25:
	v_bfe_u32 v7, v6, 16, 1
	s_movk_i32 s8, 0x7fff
	v_add3_u32 v7, v6, v7, s8
	v_cmp_o_f32_e32 vcc, v6, v6
	v_mov_b32_e32 v8, 0x7fc0
	s_nop 0
	v_cndmask_b32_sdwa v7, v8, v7, vcc dst_sel:DWORD dst_unused:UNUSED_PAD src0_sel:DWORD src1_sel:WORD_1
	v_lshlrev_b32_e32 v8, 1, v0
	global_store_short v8, v7, s[2:3] offset:16
.LBB202_26:
	;; [unrolled: 37-line block ×6, first 2 shown]
	s_or_b64 exec, exec, s[6:7]
	s_movk_i32 s6, 0x100
	v_cmp_gt_u32_e32 vcc, s6, v2
	s_and_b64 exec, exec, vcc
	s_cbranch_execz .LBB202_51
; %bb.47:
	s_and_saveexec_b64 s[6:7], s[0:1]
; %bb.48:
	v_lshlrev_b32_e32 v2, 2, v0
	v_lshlrev_b32_e32 v1, 2, v1
	v_add3_u32 v1, 0, v2, v1
	ds_read_b32 v6, v1 offset:112
; %bb.49:
	s_or_b64 exec, exec, s[6:7]
	s_waitcnt lgkmcnt(0)
	ds_bpermute_b32 v1, v3, v6
	s_waitcnt lgkmcnt(0)
	v_add_f32_e32 v1, v6, v1
	ds_bpermute_b32 v2, v4, v1
	s_waitcnt lgkmcnt(0)
	v_add_f32_e32 v1, v1, v2
	ds_bpermute_b32 v2, v5, v1
	s_and_saveexec_b64 s[0:1], s[4:5]
	s_xor_b64 s[0:1], exec, s[0:1]
	s_cbranch_execz .LBB202_51
; %bb.50:
	s_waitcnt lgkmcnt(0)
	v_add_f32_e32 v1, v1, v2
	v_bfe_u32 v2, v1, 16, 1
	s_movk_i32 s0, 0x7fff
	v_add3_u32 v2, v1, v2, s0
	v_cmp_o_f32_e32 vcc, v1, v1
	v_mov_b32_e32 v1, 0x7fc0
	v_lshlrev_b32_e32 v0, 1, v0
	v_cndmask_b32_sdwa v1, v1, v2, vcc dst_sel:DWORD dst_unused:UNUSED_PAD src0_sel:DWORD src1_sel:WORD_1
	global_store_short v0, v1, s[2:3] offset:56
.LBB202_51:
	s_endpgm
	.section	.rodata,"a",@progbits
	.p2align	6, 0x0
	.amdhsa_kernel _ZN2at6native12_GLOBAL__N_135GammaBetaBackwardCUDAKernelTemplateIN3c108BFloat16EfLj32ELj8ELj64ELb0ELb1ELb1EEEvllPKT_S7_PKT0_SA_PS5_SB_
		.amdhsa_group_segment_fixed_size 0
		.amdhsa_private_segment_fixed_size 0
		.amdhsa_kernarg_size 320
		.amdhsa_user_sgpr_count 2
		.amdhsa_user_sgpr_dispatch_ptr 0
		.amdhsa_user_sgpr_queue_ptr 0
		.amdhsa_user_sgpr_kernarg_segment_ptr 1
		.amdhsa_user_sgpr_dispatch_id 0
		.amdhsa_user_sgpr_kernarg_preload_length 0
		.amdhsa_user_sgpr_kernarg_preload_offset 0
		.amdhsa_user_sgpr_private_segment_size 0
		.amdhsa_uses_dynamic_stack 0
		.amdhsa_enable_private_segment 0
		.amdhsa_system_sgpr_workgroup_id_x 1
		.amdhsa_system_sgpr_workgroup_id_y 1
		.amdhsa_system_sgpr_workgroup_id_z 0
		.amdhsa_system_sgpr_workgroup_info 0
		.amdhsa_system_vgpr_workitem_id 1
		.amdhsa_next_free_vgpr 49
		.amdhsa_next_free_sgpr 26
		.amdhsa_accum_offset 52
		.amdhsa_reserve_vcc 1
		.amdhsa_float_round_mode_32 0
		.amdhsa_float_round_mode_16_64 0
		.amdhsa_float_denorm_mode_32 3
		.amdhsa_float_denorm_mode_16_64 3
		.amdhsa_dx10_clamp 1
		.amdhsa_ieee_mode 1
		.amdhsa_fp16_overflow 0
		.amdhsa_tg_split 0
		.amdhsa_exception_fp_ieee_invalid_op 0
		.amdhsa_exception_fp_denorm_src 0
		.amdhsa_exception_fp_ieee_div_zero 0
		.amdhsa_exception_fp_ieee_overflow 0
		.amdhsa_exception_fp_ieee_underflow 0
		.amdhsa_exception_fp_ieee_inexact 0
		.amdhsa_exception_int_div_zero 0
	.end_amdhsa_kernel
	.section	.text._ZN2at6native12_GLOBAL__N_135GammaBetaBackwardCUDAKernelTemplateIN3c108BFloat16EfLj32ELj8ELj64ELb0ELb1ELb1EEEvllPKT_S7_PKT0_SA_PS5_SB_,"axG",@progbits,_ZN2at6native12_GLOBAL__N_135GammaBetaBackwardCUDAKernelTemplateIN3c108BFloat16EfLj32ELj8ELj64ELb0ELb1ELb1EEEvllPKT_S7_PKT0_SA_PS5_SB_,comdat
.Lfunc_end202:
	.size	_ZN2at6native12_GLOBAL__N_135GammaBetaBackwardCUDAKernelTemplateIN3c108BFloat16EfLj32ELj8ELj64ELb0ELb1ELb1EEEvllPKT_S7_PKT0_SA_PS5_SB_, .Lfunc_end202-_ZN2at6native12_GLOBAL__N_135GammaBetaBackwardCUDAKernelTemplateIN3c108BFloat16EfLj32ELj8ELj64ELb0ELb1ELb1EEEvllPKT_S7_PKT0_SA_PS5_SB_
                                        ; -- End function
	.set _ZN2at6native12_GLOBAL__N_135GammaBetaBackwardCUDAKernelTemplateIN3c108BFloat16EfLj32ELj8ELj64ELb0ELb1ELb1EEEvllPKT_S7_PKT0_SA_PS5_SB_.num_vgpr, 49
	.set _ZN2at6native12_GLOBAL__N_135GammaBetaBackwardCUDAKernelTemplateIN3c108BFloat16EfLj32ELj8ELj64ELb0ELb1ELb1EEEvllPKT_S7_PKT0_SA_PS5_SB_.num_agpr, 0
	.set _ZN2at6native12_GLOBAL__N_135GammaBetaBackwardCUDAKernelTemplateIN3c108BFloat16EfLj32ELj8ELj64ELb0ELb1ELb1EEEvllPKT_S7_PKT0_SA_PS5_SB_.numbered_sgpr, 26
	.set _ZN2at6native12_GLOBAL__N_135GammaBetaBackwardCUDAKernelTemplateIN3c108BFloat16EfLj32ELj8ELj64ELb0ELb1ELb1EEEvllPKT_S7_PKT0_SA_PS5_SB_.num_named_barrier, 0
	.set _ZN2at6native12_GLOBAL__N_135GammaBetaBackwardCUDAKernelTemplateIN3c108BFloat16EfLj32ELj8ELj64ELb0ELb1ELb1EEEvllPKT_S7_PKT0_SA_PS5_SB_.private_seg_size, 0
	.set _ZN2at6native12_GLOBAL__N_135GammaBetaBackwardCUDAKernelTemplateIN3c108BFloat16EfLj32ELj8ELj64ELb0ELb1ELb1EEEvllPKT_S7_PKT0_SA_PS5_SB_.uses_vcc, 1
	.set _ZN2at6native12_GLOBAL__N_135GammaBetaBackwardCUDAKernelTemplateIN3c108BFloat16EfLj32ELj8ELj64ELb0ELb1ELb1EEEvllPKT_S7_PKT0_SA_PS5_SB_.uses_flat_scratch, 0
	.set _ZN2at6native12_GLOBAL__N_135GammaBetaBackwardCUDAKernelTemplateIN3c108BFloat16EfLj32ELj8ELj64ELb0ELb1ELb1EEEvllPKT_S7_PKT0_SA_PS5_SB_.has_dyn_sized_stack, 0
	.set _ZN2at6native12_GLOBAL__N_135GammaBetaBackwardCUDAKernelTemplateIN3c108BFloat16EfLj32ELj8ELj64ELb0ELb1ELb1EEEvllPKT_S7_PKT0_SA_PS5_SB_.has_recursion, 0
	.set _ZN2at6native12_GLOBAL__N_135GammaBetaBackwardCUDAKernelTemplateIN3c108BFloat16EfLj32ELj8ELj64ELb0ELb1ELb1EEEvllPKT_S7_PKT0_SA_PS5_SB_.has_indirect_call, 0
	.section	.AMDGPU.csdata,"",@progbits
; Kernel info:
; codeLenInByte = 2532
; TotalNumSgprs: 32
; NumVgprs: 49
; NumAgprs: 0
; TotalNumVgprs: 49
; ScratchSize: 0
; MemoryBound: 0
; FloatMode: 240
; IeeeMode: 1
; LDSByteSize: 0 bytes/workgroup (compile time only)
; SGPRBlocks: 3
; VGPRBlocks: 6
; NumSGPRsForWavesPerEU: 32
; NumVGPRsForWavesPerEU: 49
; AccumOffset: 52
; Occupancy: 8
; WaveLimiterHint : 0
; COMPUTE_PGM_RSRC2:SCRATCH_EN: 0
; COMPUTE_PGM_RSRC2:USER_SGPR: 2
; COMPUTE_PGM_RSRC2:TRAP_HANDLER: 0
; COMPUTE_PGM_RSRC2:TGID_X_EN: 1
; COMPUTE_PGM_RSRC2:TGID_Y_EN: 1
; COMPUTE_PGM_RSRC2:TGID_Z_EN: 0
; COMPUTE_PGM_RSRC2:TIDIG_COMP_CNT: 1
; COMPUTE_PGM_RSRC3_GFX90A:ACCUM_OFFSET: 12
; COMPUTE_PGM_RSRC3_GFX90A:TG_SPLIT: 0
	.section	.text._ZN2at6native12_GLOBAL__N_135GammaBetaBackwardCUDAKernelTemplateIN3c108BFloat16EfLj32ELj8ELj64ELb0ELb0ELb1EEEvllPKT_S7_PKT0_SA_PS5_SB_,"axG",@progbits,_ZN2at6native12_GLOBAL__N_135GammaBetaBackwardCUDAKernelTemplateIN3c108BFloat16EfLj32ELj8ELj64ELb0ELb0ELb1EEEvllPKT_S7_PKT0_SA_PS5_SB_,comdat
	.globl	_ZN2at6native12_GLOBAL__N_135GammaBetaBackwardCUDAKernelTemplateIN3c108BFloat16EfLj32ELj8ELj64ELb0ELb0ELb1EEEvllPKT_S7_PKT0_SA_PS5_SB_ ; -- Begin function _ZN2at6native12_GLOBAL__N_135GammaBetaBackwardCUDAKernelTemplateIN3c108BFloat16EfLj32ELj8ELj64ELb0ELb0ELb1EEEvllPKT_S7_PKT0_SA_PS5_SB_
	.p2align	8
	.type	_ZN2at6native12_GLOBAL__N_135GammaBetaBackwardCUDAKernelTemplateIN3c108BFloat16EfLj32ELj8ELj64ELb0ELb0ELb1EEEvllPKT_S7_PKT0_SA_PS5_SB_,@function
_ZN2at6native12_GLOBAL__N_135GammaBetaBackwardCUDAKernelTemplateIN3c108BFloat16EfLj32ELj8ELj64ELb0ELb0ELb1EEEvllPKT_S7_PKT0_SA_PS5_SB_: ; @_ZN2at6native12_GLOBAL__N_135GammaBetaBackwardCUDAKernelTemplateIN3c108BFloat16EfLj32ELj8ELj64ELb0ELb0ELb1EEEvllPKT_S7_PKT0_SA_PS5_SB_
; %bb.0:
	s_load_dwordx8 s[8:15], s[0:1], 0x0
	s_load_dwordx2 s[16:17], s[0:1], 0x28
	s_lshl_b32 s33, s2, 5
	s_mov_b32 s19, 0
	s_lshl_b32 s18, s3, 6
	s_or_b32 s4, s33, 31
	v_mov_b64_e32 v[4:5], s[18:19]
	v_mov_b32_e32 v2, s4
	v_mov_b32_e32 v3, 0
	s_waitcnt lgkmcnt(0)
	v_cmp_gt_i64_e64 s[4:5], s[8:9], v[4:5]
	v_cmp_le_i64_e32 vcc, s[10:11], v[2:3]
	s_nop 0
	v_cndmask_b32_e64 v1, 0, 1, s[4:5]
	v_cmp_ne_u32_e64 s[4:5], 1, v1
	s_cbranch_vccz .LBB203_49
; %bb.1:
	s_and_b64 vcc, exec, s[4:5]
	s_cbranch_vccnz .LBB203_50
; %bb.2:
	v_and_b32_e32 v1, 0x3ff, v0
	v_mov_b32_e32 v2, 0
	v_bfe_u32 v58, v0, 10, 10
	v_add_u32_e32 v4, s33, v1
	v_mov_b32_e32 v5, v2
	v_lshlrev_b32_e32 v20, 3, v58
	v_mov_b32_e32 v21, v2
	v_cmp_gt_i64_e64 s[6:7], s[10:11], v[4:5]
	v_lshlrev_b64 v[22:23], 1, v[4:5]
	v_lshl_add_u64 v[4:5], v[20:21], 0, s[18:19]
	v_mul_lo_u32 v3, s11, v4
	v_mul_lo_u32 v8, s10, v5
	v_mad_u64_u32 v[6:7], s[22:23], s10, v4, 0
	v_add3_u32 v7, v7, v8, v3
	v_lshlrev_b64 v[6:7], 1, v[6:7]
	v_lshl_add_u64 v[24:25], s[12:13], 0, v[6:7]
	v_lshl_add_u64 v[26:27], s[14:15], 0, v[6:7]
	v_lshl_add_u64 v[6:7], v[4:5], 0, 7
	v_mul_lo_u32 v9, s11, v6
	v_mul_lo_u32 v10, s10, v7
	v_mad_u64_u32 v[6:7], s[24:25], s10, v6, 0
	v_add3_u32 v7, v7, v10, v9
	v_lshlrev_b64 v[6:7], 1, v[6:7]
	v_lshl_add_u64 v[28:29], s[12:13], 0, v[6:7]
	v_lshl_add_u64 v[30:31], s[14:15], 0, v[6:7]
	;; [unrolled: 8-line block ×5, first 2 shown]
	v_lshl_add_u64 v[6:7], v[4:5], 0, 3
	v_mul_lo_u32 v9, s11, v6
	v_mul_lo_u32 v10, s10, v7
	v_mad_u64_u32 v[6:7], s[24:25], s10, v6, 0
	v_add3_u32 v7, v7, v10, v9
	s_load_dword s3, s[0:1], 0x44
	v_lshlrev_b64 v[6:7], 1, v[6:7]
	v_lshl_add_u64 v[44:45], s[12:13], 0, v[6:7]
	v_lshl_add_u64 v[46:47], s[14:15], 0, v[6:7]
	v_lshl_add_u64 v[6:7], v[4:5], 0, 2
	v_mul_lo_u32 v5, s11, v6
	v_mul_lo_u32 v9, s10, v7
	v_mad_u64_u32 v[6:7], s[24:25], s10, v6, 0
	v_add3_u32 v7, v7, v9, v5
	s_add_u32 s20, s0, 64
	v_lshlrev_b64 v[6:7], 1, v[6:7]
	s_addc_u32 s21, s1, 0
	s_waitcnt lgkmcnt(0)
	s_lshl_b32 s3, s3, 6
	v_lshl_add_u64 v[48:49], s[12:13], 0, v[6:7]
	v_lshl_add_u64 v[50:51], s[14:15], 0, v[6:7]
	v_mov_b64_e32 v[6:7], s[10:11]
	s_mul_i32 s22, s11, s3
	s_mul_hi_u32 s23, s10, s3
	v_mad_u64_u32 v[4:5], s[24:25], s10, v4, v[6:7]
	s_add_i32 s23, s23, s22
	s_mul_i32 s22, s10, s3
	v_add3_u32 v5, v3, v5, v8
	v_mbcnt_lo_u32_b32 v3, -1, 0
	s_lshl_b64 s[22:23], s[22:23], 1
	v_mbcnt_hi_u32_b32 v3, -1, v3
	v_lshlrev_b64 v[4:5], 1, v[4:5]
	s_add_u32 s24, s18, 63
	s_movk_i32 s26, 0xffc1
	s_movk_i32 s28, 0xffc2
	s_movk_i32 s30, 0xffc3
	s_movk_i32 s34, 0xffc4
	s_movk_i32 s36, 0xffc5
	s_movk_i32 s38, 0xffc6
	s_movk_i32 s40, 0xffc7
	s_movk_i32 s42, 0xffc8
	v_lshlrev_b32_e32 v3, 2, v3
	v_lshl_add_u64 v[52:53], s[12:13], 0, v[4:5]
	v_lshl_add_u64 v[54:55], s[14:15], 0, v[4:5]
	s_addc_u32 s25, 0, 0
	s_mov_b32 s27, -1
	s_mov_b32 s29, -1
	;; [unrolled: 1-line block ×8, first 2 shown]
	v_and_b32_e32 v59, 0x100, v3
	s_mov_b64 s[44:45], s[18:19]
	v_mov_b32_e32 v60, 0
.LBB203_3:                              ; =>This Inner Loop Header: Depth=1
	v_mov_b64_e32 v[4:5], s[8:9]
	v_cmp_ge_i64_e32 vcc, s[24:25], v[4:5]
	v_lshl_add_u64 v[56:57], v[20:21], 0, s[24:25]
	s_mov_b64 s[46:47], -1
	s_and_b64 vcc, exec, vcc
                                        ; implicit-def: $vgpr4_vgpr5_vgpr6_vgpr7_vgpr8_vgpr9_vgpr10_vgpr11
                                        ; implicit-def: $vgpr3
                                        ; implicit-def: $vgpr12_vgpr13_vgpr14_vgpr15_vgpr16_vgpr17_vgpr18_vgpr19
                                        ; implicit-def: $vgpr4
	s_cbranch_vccz .LBB203_25
; %bb.4:                                ;   in Loop: Header=BB203_3 Depth=1
	s_load_dword s46, s[20:21], 0xc
	v_mov_b32_e32 v61, 0
	s_waitcnt lgkmcnt(0)
	s_and_b32 s46, s46, 0xffff
	v_mad_u32_u24 v3, v58, s46, v1
	v_and_b32_e32 v4, 63, v3
	v_cmp_gt_u32_e32 vcc, 8, v4
	s_and_saveexec_b64 s[46:47], vcc
	s_cbranch_execz .LBB203_8
; %bb.5:                                ;   in Loop: Header=BB203_3 Depth=1
	v_mov_b32_e32 v5, v2
	v_lshl_add_u64 v[4:5], v[56:57], 0, v[4:5]
	v_lshl_add_u64 v[4:5], v[4:5], 0, s[26:27]
	v_cmp_gt_i64_e32 vcc, s[8:9], v[4:5]
	v_mov_b32_e32 v61, 0
	s_and_saveexec_b64 s[48:49], vcc
	s_cbranch_execz .LBB203_7
; %bb.6:                                ;   in Loop: Header=BB203_3 Depth=1
	v_lshl_add_u64 v[4:5], v[4:5], 2, s[16:17]
	global_load_dword v61, v[4:5], off
.LBB203_7:                              ;   in Loop: Header=BB203_3 Depth=1
	s_or_b64 exec, exec, s[48:49]
.LBB203_8:                              ;   in Loop: Header=BB203_3 Depth=1
	s_or_b64 exec, exec, s[46:47]
	v_lshl_add_u64 v[4:5], v[56:57], 0, s[26:27]
	v_mov_b32_e32 v8, v2
	v_mov_b32_e32 v9, v2
	v_cmp_gt_i64_e32 vcc, s[8:9], v[4:5]
	v_mov_b32_e32 v3, v2
	v_mov_b32_e32 v4, v2
	v_mov_b32_e32 v5, v2
	v_mov_b32_e32 v6, v2
	v_mov_b32_e32 v7, v2
	v_mov_b64_e32 v[18:19], v[8:9]
	v_mov_b64_e32 v[16:17], v[6:7]
	;; [unrolled: 1-line block ×5, first 2 shown]
	s_and_b64 s[48:49], s[6:7], vcc
	v_mov_b64_e32 v[8:9], v[6:7]
	v_mov_b64_e32 v[6:7], v[4:5]
	;; [unrolled: 1-line block ×3, first 2 shown]
	s_and_saveexec_b64 s[46:47], s[48:49]
	s_cbranch_execz .LBB203_10
; %bb.9:                                ;   in Loop: Header=BB203_3 Depth=1
	v_lshl_add_u64 v[4:5], v[24:25], 0, v[22:23]
	global_load_ushort v3, v[4:5], off
	v_lshl_add_u64 v[4:5], v[26:27], 0, v[22:23]
	global_load_ushort v12, v[4:5], off
	v_mov_b32_e32 v5, v2
	v_mov_b32_e32 v6, v2
	;; [unrolled: 1-line block ×14, first 2 shown]
	s_waitcnt vmcnt(1)
	v_lshlrev_b32_e32 v4, 16, v3
	s_waitcnt vmcnt(0)
	v_lshlrev_b32_e32 v12, 16, v12
.LBB203_10:                             ;   in Loop: Header=BB203_3 Depth=1
	s_or_b64 exec, exec, s[46:47]
	v_lshl_add_u64 v[62:63], v[56:57], 0, s[28:29]
	v_cmp_gt_i64_e32 vcc, s[8:9], v[62:63]
	s_and_b64 s[48:49], s[6:7], vcc
	s_and_saveexec_b64 s[46:47], s[48:49]
	s_cbranch_execz .LBB203_12
; %bb.11:                               ;   in Loop: Header=BB203_3 Depth=1
	v_lshl_add_u64 v[62:63], v[52:53], 0, v[22:23]
	global_load_ushort v3, v[62:63], off
	v_lshl_add_u64 v[62:63], v[54:55], 0, v[22:23]
	global_load_ushort v13, v[62:63], off
	s_waitcnt vmcnt(1)
	v_lshlrev_b32_e32 v5, 16, v3
	s_waitcnt vmcnt(0)
	v_lshlrev_b32_e32 v13, 16, v13
.LBB203_12:                             ;   in Loop: Header=BB203_3 Depth=1
	s_or_b64 exec, exec, s[46:47]
	v_lshl_add_u64 v[62:63], v[56:57], 0, s[30:31]
	v_cmp_gt_i64_e32 vcc, s[8:9], v[62:63]
	s_and_b64 s[48:49], s[6:7], vcc
	s_and_saveexec_b64 s[46:47], s[48:49]
	s_cbranch_execz .LBB203_14
; %bb.13:                               ;   in Loop: Header=BB203_3 Depth=1
	v_lshl_add_u64 v[62:63], v[48:49], 0, v[22:23]
	global_load_ushort v3, v[62:63], off
	v_lshl_add_u64 v[62:63], v[50:51], 0, v[22:23]
	global_load_ushort v14, v[62:63], off
	s_waitcnt vmcnt(1)
	v_lshlrev_b32_e32 v6, 16, v3
	s_waitcnt vmcnt(0)
	v_lshlrev_b32_e32 v14, 16, v14
.LBB203_14:                             ;   in Loop: Header=BB203_3 Depth=1
	;; [unrolled: 16-line block ×7, first 2 shown]
	s_or_b64 exec, exec, s[46:47]
	s_waitcnt vmcnt(0)
	ds_bpermute_b32 v3, v59, v61
	ds_bpermute_b32 v62, v59, v61 offset:4
	ds_bpermute_b32 v63, v59, v61 offset:8
	v_mul_f32_e32 v4, v12, v4
	v_pk_mul_f32 v[8:9], v[16:17], v[8:9]
	s_waitcnt lgkmcnt(2)
	v_fma_f32 v16, v4, v3, v60
	v_pk_mul_f32 v[6:7], v[14:15], v[6:7]
	v_mul_f32_e32 v3, v13, v5
	ds_bpermute_b32 v14, v59, v61 offset:12
	ds_bpermute_b32 v15, v59, v61 offset:16
	v_pk_mov_b32 v[12:13], v[2:3], v[6:7] op_sel:[1,0]
	v_pk_mov_b32 v[6:7], v[6:7], v[8:9] op_sel:[1,0]
	s_waitcnt lgkmcnt(2)
	v_pk_mul_f32 v[12:13], v[12:13], v[62:63]
	v_mul_f32_e32 v4, v18, v10
	v_add_f32_e32 v3, v16, v12
	v_add_f32_e32 v3, v3, v13
	ds_bpermute_b32 v12, v59, v61 offset:20
	ds_bpermute_b32 v13, v59, v61 offset:24
	s_waitcnt lgkmcnt(2)
	v_pk_mul_f32 v[6:7], v[6:7], v[14:15]
	s_mov_b64 s[46:47], 0
	v_add_f32_e32 v3, v3, v6
	v_add_f32_e32 v3, v3, v7
	v_pk_mov_b32 v[6:7], v[8:9], v[4:5] op_sel:[1,0]
	ds_bpermute_b32 v4, v59, v61 offset:28
	s_waitcnt lgkmcnt(1)
	v_pk_mul_f32 v[6:7], v[6:7], v[12:13]
	s_nop 0
	v_add_f32_e32 v3, v3, v6
	v_add_f32_e32 v3, v3, v7
.LBB203_25:                             ;   in Loop: Header=BB203_3 Depth=1
	s_and_b64 vcc, exec, s[46:47]
	s_cbranch_vccz .LBB203_40
; %bb.26:                               ;   in Loop: Header=BB203_3 Depth=1
	s_load_dword s46, s[20:21], 0x0
	v_mov_b32_e32 v61, 0
	s_waitcnt lgkmcnt(0)
	s_cmp_lt_u32 s2, s46
	s_cselect_b32 s46, 12, 18
	s_add_u32 s46, s20, s46
	s_addc_u32 s47, s21, 0
	global_load_ushort v3, v2, s[46:47]
	s_waitcnt vmcnt(0)
	v_mad_u32_u24 v3, v58, v3, v1
	v_and_b32_e32 v4, 63, v3
	v_cmp_gt_u32_e32 vcc, 8, v4
	s_and_saveexec_b64 s[46:47], vcc
	s_cbranch_execz .LBB203_30
; %bb.27:                               ;   in Loop: Header=BB203_3 Depth=1
	v_mov_b32_e32 v5, v2
	v_lshl_add_u64 v[4:5], v[56:57], 0, v[4:5]
	v_lshl_add_u64 v[4:5], v[4:5], 0, s[26:27]
	v_cmp_gt_i64_e32 vcc, s[8:9], v[4:5]
	v_mov_b32_e32 v61, 0
	s_and_saveexec_b64 s[48:49], vcc
	s_cbranch_execz .LBB203_29
; %bb.28:                               ;   in Loop: Header=BB203_3 Depth=1
	v_lshl_add_u64 v[4:5], v[4:5], 2, s[16:17]
	global_load_dword v61, v[4:5], off
.LBB203_29:                             ;   in Loop: Header=BB203_3 Depth=1
	s_or_b64 exec, exec, s[48:49]
.LBB203_30:                             ;   in Loop: Header=BB203_3 Depth=1
	s_or_b64 exec, exec, s[46:47]
	v_mov_b32_e32 v8, v2
	v_mov_b32_e32 v9, v2
	;; [unrolled: 1-line block ×7, first 2 shown]
	v_mov_b64_e32 v[18:19], v[8:9]
	v_mov_b64_e32 v[16:17], v[6:7]
	;; [unrolled: 1-line block ×8, first 2 shown]
	s_and_saveexec_b64 s[46:47], s[6:7]
	s_cbranch_execnz .LBB203_42
; %bb.31:                               ;   in Loop: Header=BB203_3 Depth=1
	s_or_b64 exec, exec, s[46:47]
	s_and_saveexec_b64 s[46:47], s[6:7]
	s_cbranch_execnz .LBB203_43
.LBB203_32:                             ;   in Loop: Header=BB203_3 Depth=1
	s_or_b64 exec, exec, s[46:47]
	s_and_saveexec_b64 s[46:47], s[6:7]
	s_cbranch_execnz .LBB203_44
.LBB203_33:                             ;   in Loop: Header=BB203_3 Depth=1
	s_or_b64 exec, exec, s[46:47]
	s_and_saveexec_b64 s[46:47], s[6:7]
	s_cbranch_execnz .LBB203_45
.LBB203_34:                             ;   in Loop: Header=BB203_3 Depth=1
	s_or_b64 exec, exec, s[46:47]
	s_and_saveexec_b64 s[46:47], s[6:7]
	s_cbranch_execnz .LBB203_46
.LBB203_35:                             ;   in Loop: Header=BB203_3 Depth=1
	s_or_b64 exec, exec, s[46:47]
	s_and_saveexec_b64 s[46:47], s[6:7]
	s_cbranch_execnz .LBB203_47
.LBB203_36:                             ;   in Loop: Header=BB203_3 Depth=1
	s_or_b64 exec, exec, s[46:47]
	s_and_saveexec_b64 s[46:47], s[6:7]
	s_cbranch_execnz .LBB203_48
.LBB203_37:                             ;   in Loop: Header=BB203_3 Depth=1
	s_or_b64 exec, exec, s[46:47]
	s_and_saveexec_b64 s[46:47], s[6:7]
	s_cbranch_execz .LBB203_39
.LBB203_38:                             ;   in Loop: Header=BB203_3 Depth=1
	v_lshl_add_u64 v[56:57], v[28:29], 0, v[22:23]
	global_load_ushort v3, v[56:57], off
	v_lshl_add_u64 v[56:57], v[30:31], 0, v[22:23]
	global_load_ushort v19, v[56:57], off
	s_waitcnt vmcnt(1)
	v_lshlrev_b32_e32 v11, 16, v3
	s_waitcnt vmcnt(0)
	v_lshlrev_b32_e32 v19, 16, v19
.LBB203_39:                             ;   in Loop: Header=BB203_3 Depth=1
	s_or_b64 exec, exec, s[46:47]
	s_waitcnt vmcnt(0)
	ds_bpermute_b32 v3, v59, v61
	ds_bpermute_b32 v56, v59, v61 offset:4
	ds_bpermute_b32 v57, v59, v61 offset:8
	v_mul_f32_e32 v4, v12, v4
	v_pk_mul_f32 v[6:7], v[14:15], v[6:7]
	s_waitcnt lgkmcnt(2)
	v_fmac_f32_e32 v60, v4, v3
	v_mul_f32_e32 v3, v13, v5
	v_pk_mov_b32 v[4:5], v[2:3], v[6:7] op_sel:[1,0]
	ds_bpermute_b32 v12, v59, v61 offset:12
	ds_bpermute_b32 v13, v59, v61 offset:16
	s_waitcnt lgkmcnt(2)
	v_pk_mul_f32 v[4:5], v[4:5], v[56:57]
	v_pk_mul_f32 v[8:9], v[16:17], v[8:9]
	v_add_f32_e32 v3, v60, v4
	v_add_f32_e32 v3, v3, v5
	v_pk_mov_b32 v[4:5], v[6:7], v[8:9] op_sel:[1,0]
	ds_bpermute_b32 v6, v59, v61 offset:20
	ds_bpermute_b32 v7, v59, v61 offset:24
	s_waitcnt lgkmcnt(2)
	v_pk_mul_f32 v[4:5], v[4:5], v[12:13]
	v_mul_f32_e32 v10, v18, v10
	v_add_f32_e32 v3, v3, v4
	ds_bpermute_b32 v4, v59, v61 offset:28
	v_pk_mov_b32 v[8:9], v[8:9], v[10:11] op_sel:[1,0]
	v_add_f32_e32 v3, v3, v5
	s_waitcnt lgkmcnt(1)
	v_pk_mul_f32 v[6:7], v[8:9], v[6:7]
	s_nop 0
	v_add_f32_e32 v3, v3, v6
	v_add_f32_e32 v3, v3, v7
.LBB203_40:                             ;   in Loop: Header=BB203_3 Depth=1
	v_mul_f32_e32 v5, v11, v19
	s_add_u32 s44, s44, s3
	s_waitcnt lgkmcnt(0)
	v_fmac_f32_e32 v3, v5, v4
	s_addc_u32 s45, s45, 0
	v_mov_b64_e32 v[4:5], s[8:9]
	s_add_u32 s24, s24, s3
	v_cmp_lt_i64_e32 vcc, s[44:45], v[4:5]
	v_lshl_add_u64 v[24:25], v[24:25], 0, s[22:23]
	v_lshl_add_u64 v[26:27], v[26:27], 0, s[22:23]
	;; [unrolled: 1-line block ×16, first 2 shown]
	s_addc_u32 s25, s25, 0
	s_cbranch_vccz .LBB203_50
; %bb.41:                               ;   in Loop: Header=BB203_3 Depth=1
	v_mov_b32_e32 v60, v3
	s_branch .LBB203_3
.LBB203_42:                             ;   in Loop: Header=BB203_3 Depth=1
	v_lshl_add_u64 v[4:5], v[24:25], 0, v[22:23]
	global_load_ushort v3, v[4:5], off
	v_lshl_add_u64 v[4:5], v[26:27], 0, v[22:23]
	global_load_ushort v12, v[4:5], off
	v_mov_b32_e32 v5, v2
	v_mov_b32_e32 v6, v2
	;; [unrolled: 1-line block ×14, first 2 shown]
	s_waitcnt vmcnt(1)
	v_lshlrev_b32_e32 v4, 16, v3
	s_waitcnt vmcnt(0)
	v_lshlrev_b32_e32 v12, 16, v12
	s_or_b64 exec, exec, s[46:47]
	s_and_saveexec_b64 s[46:47], s[6:7]
	s_cbranch_execz .LBB203_32
.LBB203_43:                             ;   in Loop: Header=BB203_3 Depth=1
	v_lshl_add_u64 v[56:57], v[52:53], 0, v[22:23]
	global_load_ushort v3, v[56:57], off
	v_lshl_add_u64 v[56:57], v[54:55], 0, v[22:23]
	global_load_ushort v13, v[56:57], off
	s_waitcnt vmcnt(1)
	v_lshlrev_b32_e32 v5, 16, v3
	s_waitcnt vmcnt(0)
	v_lshlrev_b32_e32 v13, 16, v13
	s_or_b64 exec, exec, s[46:47]
	s_and_saveexec_b64 s[46:47], s[6:7]
	s_cbranch_execz .LBB203_33
.LBB203_44:                             ;   in Loop: Header=BB203_3 Depth=1
	v_lshl_add_u64 v[56:57], v[48:49], 0, v[22:23]
	global_load_ushort v3, v[56:57], off
	v_lshl_add_u64 v[56:57], v[50:51], 0, v[22:23]
	global_load_ushort v14, v[56:57], off
	s_waitcnt vmcnt(1)
	v_lshlrev_b32_e32 v6, 16, v3
	s_waitcnt vmcnt(0)
	v_lshlrev_b32_e32 v14, 16, v14
	s_or_b64 exec, exec, s[46:47]
	s_and_saveexec_b64 s[46:47], s[6:7]
	s_cbranch_execz .LBB203_34
.LBB203_45:                             ;   in Loop: Header=BB203_3 Depth=1
	v_lshl_add_u64 v[56:57], v[44:45], 0, v[22:23]
	global_load_ushort v3, v[56:57], off
	v_lshl_add_u64 v[56:57], v[46:47], 0, v[22:23]
	global_load_ushort v15, v[56:57], off
	s_waitcnt vmcnt(1)
	v_lshlrev_b32_e32 v7, 16, v3
	s_waitcnt vmcnt(0)
	v_lshlrev_b32_e32 v15, 16, v15
	s_or_b64 exec, exec, s[46:47]
	s_and_saveexec_b64 s[46:47], s[6:7]
	s_cbranch_execz .LBB203_35
.LBB203_46:                             ;   in Loop: Header=BB203_3 Depth=1
	v_lshl_add_u64 v[56:57], v[40:41], 0, v[22:23]
	global_load_ushort v3, v[56:57], off
	v_lshl_add_u64 v[56:57], v[42:43], 0, v[22:23]
	global_load_ushort v16, v[56:57], off
	s_waitcnt vmcnt(1)
	v_lshlrev_b32_e32 v8, 16, v3
	s_waitcnt vmcnt(0)
	v_lshlrev_b32_e32 v16, 16, v16
	s_or_b64 exec, exec, s[46:47]
	s_and_saveexec_b64 s[46:47], s[6:7]
	s_cbranch_execz .LBB203_36
.LBB203_47:                             ;   in Loop: Header=BB203_3 Depth=1
	v_lshl_add_u64 v[56:57], v[36:37], 0, v[22:23]
	global_load_ushort v3, v[56:57], off
	v_lshl_add_u64 v[56:57], v[38:39], 0, v[22:23]
	global_load_ushort v17, v[56:57], off
	s_waitcnt vmcnt(1)
	v_lshlrev_b32_e32 v9, 16, v3
	s_waitcnt vmcnt(0)
	v_lshlrev_b32_e32 v17, 16, v17
	s_or_b64 exec, exec, s[46:47]
	s_and_saveexec_b64 s[46:47], s[6:7]
	s_cbranch_execz .LBB203_37
.LBB203_48:                             ;   in Loop: Header=BB203_3 Depth=1
	v_lshl_add_u64 v[56:57], v[32:33], 0, v[22:23]
	global_load_ushort v3, v[56:57], off
	v_lshl_add_u64 v[56:57], v[34:35], 0, v[22:23]
	global_load_ushort v18, v[56:57], off
	s_waitcnt vmcnt(1)
	v_lshlrev_b32_e32 v10, 16, v3
	s_waitcnt vmcnt(0)
	v_lshlrev_b32_e32 v18, 16, v18
	s_or_b64 exec, exec, s[46:47]
	s_and_saveexec_b64 s[46:47], s[6:7]
	s_cbranch_execnz .LBB203_38
	s_branch .LBB203_39
.LBB203_49:
                                        ; implicit-def: $vgpr3
	s_branch .LBB203_51
.LBB203_50:
	s_cbranch_execnz .LBB203_83
.LBB203_51:
	s_and_b64 vcc, exec, s[4:5]
	v_mov_b32_e32 v3, 0
	s_cbranch_vccnz .LBB203_83
; %bb.52:
	v_mov_b32_e32 v2, 0
	v_bfe_u32 v86, v0, 10, 10
	v_lshlrev_b32_e32 v6, 4, v86
	v_mov_b32_e32 v7, v2
	v_lshl_add_u64 v[6:7], s[18:19], 1, v[6:7]
	v_lshl_add_u64 v[8:9], v[6:7], 0, 2
	v_mov_b64_e32 v[10:11], s[12:13]
	v_lshl_add_u64 v[12:13], v[6:7], 0, 4
	v_lshl_add_u64 v[14:15], v[6:7], 0, 6
	;; [unrolled: 1-line block ×6, first 2 shown]
	v_mad_u64_u32 v[22:23], s[4:5], s10, v8, v[10:11]
	v_mad_u64_u32 v[24:25], s[4:5], s10, v12, v[10:11]
	;; [unrolled: 1-line block ×7, first 2 shown]
	v_mov_b64_e32 v[10:11], s[14:15]
	v_mul_lo_u32 v9, s10, v9
	v_mul_lo_u32 v38, s11, v8
	v_mad_u64_u32 v[36:37], s[4:5], s10, v8, v[10:11]
	v_add3_u32 v23, v38, v23, v9
	v_mul_lo_u32 v13, s10, v13
	v_mul_lo_u32 v40, s11, v12
	v_add3_u32 v37, v38, v37, v9
	v_mad_u64_u32 v[38:39], s[4:5], s10, v12, v[10:11]
	v_add3_u32 v25, v40, v25, v13
	v_mul_lo_u32 v15, s10, v15
	v_mul_lo_u32 v42, s11, v14
	v_add3_u32 v39, v40, v39, v13
	;; [unrolled: 5-line block ×3, first 2 shown]
	v_mad_u64_u32 v[42:43], s[4:5], s10, v16, v[10:11]
	v_lshlrev_b32_e32 v20, 3, v86
	v_mov_b32_e32 v21, v2
	v_add3_u32 v29, v44, v29, v17
	v_mul_lo_u32 v19, s10, v19
	v_mul_lo_u32 v48, s11, v18
	;; [unrolled: 1-line block ×4, first 2 shown]
	v_add3_u32 v43, v44, v43, v17
	v_mad_u64_u32 v[44:45], s[4:5], s10, v18, v[10:11]
	v_mad_u64_u32 v[46:47], s[4:5], s10, v46, v[10:11]
	v_lshl_add_u64 v[4:5], v[20:21], 0, s[18:19]
	v_add3_u32 v31, v48, v31, v19
	v_add3_u32 v33, v51, v33, v49
	v_mul_lo_u32 v7, s10, v7
	v_mul_lo_u32 v8, s11, v6
	v_add3_u32 v45, v48, v45, v19
	v_add3_u32 v47, v51, v47, v49
	v_mad_u64_u32 v[48:49], s[4:5], s10, v6, v[10:11]
	v_add3_u32 v35, v8, v35, v7
	v_add3_u32 v49, v8, v49, v7
	v_lshl_add_u64 v[6:7], v[4:5], 0, 7
	v_mul_lo_u32 v8, s11, v6
	v_mul_lo_u32 v9, s10, v7
	v_mad_u64_u32 v[6:7], s[4:5], s10, v6, 0
	v_add3_u32 v7, v7, v9, v8
	v_lshl_add_u64 v[8:9], v[4:5], 0, 6
	v_mul_lo_u32 v10, s11, v8
	v_mul_lo_u32 v11, s10, v9
	v_mad_u64_u32 v[8:9], s[4:5], s10, v8, 0
	;; [unrolled: 5-line block ×5, first 2 shown]
	v_add3_u32 v15, v15, v17, v16
	v_lshl_add_u64 v[16:17], v[4:5], 0, 2
	v_mul_lo_u32 v50, s10, v5
	v_mul_lo_u32 v5, s11, v16
	;; [unrolled: 1-line block ×3, first 2 shown]
	v_mad_u64_u32 v[16:17], s[4:5], s10, v16, 0
	v_add3_u32 v17, v17, v18, v5
	v_mov_b64_e32 v[18:19], s[10:11]
	v_mul_lo_u32 v3, s11, v4
	v_mad_u64_u32 v[18:19], s[4:5], s10, v4, v[18:19]
	v_mad_u64_u32 v[4:5], s[4:5], s10, v4, 0
	s_load_dword s3, s[0:1], 0x44
	v_add3_u32 v5, v5, v50, v3
	v_lshlrev_b64 v[4:5], 1, v[4:5]
	v_lshl_add_u64 v[52:53], s[12:13], 0, v[4:5]
	v_lshl_add_u64 v[54:55], s[14:15], 0, v[4:5]
	v_lshlrev_b64 v[4:5], 1, v[6:7]
	v_lshl_add_u64 v[56:57], s[12:13], 0, v[4:5]
	v_lshl_add_u64 v[58:59], s[14:15], 0, v[4:5]
	v_lshlrev_b64 v[4:5], 1, v[8:9]
	s_add_u32 s4, s0, 64
	v_lshl_add_u64 v[60:61], s[12:13], 0, v[4:5]
	v_lshl_add_u64 v[62:63], s[14:15], 0, v[4:5]
	v_lshlrev_b64 v[4:5], 1, v[10:11]
	s_addc_u32 s5, s1, 0
	s_waitcnt lgkmcnt(0)
	s_lshl_b32 s3, s3, 6
	v_lshl_add_u64 v[64:65], s[12:13], 0, v[4:5]
	v_lshl_add_u64 v[66:67], s[14:15], 0, v[4:5]
	v_lshlrev_b64 v[4:5], 1, v[12:13]
	s_mul_i32 s6, s11, s3
	s_mul_hi_u32 s7, s10, s3
	v_lshl_add_u64 v[68:69], s[12:13], 0, v[4:5]
	v_lshl_add_u64 v[70:71], s[14:15], 0, v[4:5]
	v_lshlrev_b64 v[4:5], 1, v[14:15]
	v_add3_u32 v19, v3, v19, v50
	s_add_i32 s7, s7, s6
	s_mul_i32 s6, s10, s3
	v_lshl_add_u64 v[72:73], s[12:13], 0, v[4:5]
	v_lshl_add_u64 v[74:75], s[14:15], 0, v[4:5]
	v_lshlrev_b64 v[4:5], 1, v[16:17]
	v_mbcnt_lo_u32_b32 v3, -1, 0
	v_and_b32_e32 v1, 0x3ff, v0
	s_lshl_b64 s[6:7], s[6:7], 1
	v_lshl_add_u64 v[76:77], s[12:13], 0, v[4:5]
	v_lshl_add_u64 v[78:79], s[14:15], 0, v[4:5]
	v_lshlrev_b64 v[4:5], 1, v[18:19]
	v_mbcnt_hi_u32_b32 v3, -1, v3
	v_add_u32_e32 v50, s33, v1
	v_mov_b32_e32 v51, v2
	s_add_u32 s20, s18, 63
	v_lshl_add_u64 v[80:81], s[12:13], 0, v[4:5]
	v_lshl_add_u64 v[82:83], s[14:15], 0, v[4:5]
	s_movk_i32 s12, 0xffc1
	s_movk_i32 s14, 0xffc2
	;; [unrolled: 1-line block ×8, first 2 shown]
	v_lshlrev_b32_e32 v3, 2, v3
	v_lshlrev_b64 v[50:51], 1, v[50:51]
	s_addc_u32 s21, 0, 0
	s_mov_b32 s13, -1
	s_mov_b32 s15, -1
	;; [unrolled: 1-line block ×8, first 2 shown]
	v_and_b32_e32 v87, 0x100, v3
	v_mov_b32_e32 v88, 0
.LBB203_53:                             ; =>This Inner Loop Header: Depth=1
	v_mov_b64_e32 v[4:5], s[8:9]
	v_cmp_ge_i64_e32 vcc, s[20:21], v[4:5]
	v_lshl_add_u64 v[84:85], v[20:21], 0, s[20:21]
	s_mov_b64 s[36:37], -1
                                        ; implicit-def: $vgpr3
	s_cbranch_vccz .LBB203_75
; %bb.54:                               ;   in Loop: Header=BB203_53 Depth=1
	s_load_dword s33, s[4:5], 0xc
	v_mov_b32_e32 v89, 0
	s_waitcnt lgkmcnt(0)
	s_and_b32 s33, s33, 0xffff
	v_mad_u32_u24 v3, v86, s33, v1
	v_and_b32_e32 v4, 63, v3
	v_cmp_gt_u32_e32 vcc, 8, v4
	s_and_saveexec_b64 s[36:37], vcc
	s_cbranch_execz .LBB203_58
; %bb.55:                               ;   in Loop: Header=BB203_53 Depth=1
	v_mov_b32_e32 v5, v2
	v_lshl_add_u64 v[4:5], v[84:85], 0, v[4:5]
	v_lshl_add_u64 v[4:5], v[4:5], 0, s[12:13]
	v_cmp_gt_i64_e32 vcc, s[8:9], v[4:5]
	v_mov_b32_e32 v89, 0
	s_and_saveexec_b64 s[38:39], vcc
	s_cbranch_execz .LBB203_57
; %bb.56:                               ;   in Loop: Header=BB203_53 Depth=1
	v_lshl_add_u64 v[4:5], v[4:5], 2, s[16:17]
	global_load_dword v89, v[4:5], off
.LBB203_57:                             ;   in Loop: Header=BB203_53 Depth=1
	s_or_b64 exec, exec, s[38:39]
.LBB203_58:                             ;   in Loop: Header=BB203_53 Depth=1
	s_or_b64 exec, exec, s[36:37]
	v_lshl_add_u64 v[4:5], v[84:85], 0, s[12:13]
	v_mov_b32_e32 v8, v2
	v_mov_b32_e32 v9, v2
	v_cmp_gt_i64_e32 vcc, s[8:9], v[4:5]
	v_mov_b32_e32 v3, v2
	v_mov_b32_e32 v4, v2
	;; [unrolled: 1-line block ×5, first 2 shown]
	v_mov_b64_e32 v[18:19], v[8:9]
	v_mov_b64_e32 v[16:17], v[6:7]
	;; [unrolled: 1-line block ×8, first 2 shown]
	s_and_saveexec_b64 s[36:37], vcc
	s_cbranch_execz .LBB203_60
; %bb.59:                               ;   in Loop: Header=BB203_53 Depth=1
	v_lshl_add_u64 v[4:5], v[52:53], 0, v[50:51]
	global_load_ushort v3, v[4:5], off
	v_lshl_add_u64 v[4:5], v[54:55], 0, v[50:51]
	global_load_ushort v12, v[4:5], off
	v_mov_b32_e32 v5, v2
	v_mov_b32_e32 v6, v2
	;; [unrolled: 1-line block ×14, first 2 shown]
	s_waitcnt vmcnt(1)
	v_lshlrev_b32_e32 v4, 16, v3
	s_waitcnt vmcnt(0)
	v_lshlrev_b32_e32 v12, 16, v12
.LBB203_60:                             ;   in Loop: Header=BB203_53 Depth=1
	s_or_b64 exec, exec, s[36:37]
	v_lshl_add_u64 v[90:91], v[84:85], 0, s[14:15]
	v_cmp_gt_i64_e32 vcc, s[8:9], v[90:91]
	s_and_saveexec_b64 s[36:37], vcc
	s_cbranch_execz .LBB203_62
; %bb.61:                               ;   in Loop: Header=BB203_53 Depth=1
	v_lshl_add_u64 v[90:91], v[80:81], 0, v[50:51]
	global_load_ushort v3, v[90:91], off
	v_lshl_add_u64 v[90:91], v[82:83], 0, v[50:51]
	global_load_ushort v13, v[90:91], off
	s_waitcnt vmcnt(1)
	v_lshlrev_b32_e32 v5, 16, v3
	s_waitcnt vmcnt(0)
	v_lshlrev_b32_e32 v13, 16, v13
.LBB203_62:                             ;   in Loop: Header=BB203_53 Depth=1
	s_or_b64 exec, exec, s[36:37]
	v_lshl_add_u64 v[90:91], v[84:85], 0, s[22:23]
	v_cmp_gt_i64_e32 vcc, s[8:9], v[90:91]
	s_and_saveexec_b64 s[36:37], vcc
	s_cbranch_execz .LBB203_64
; %bb.63:                               ;   in Loop: Header=BB203_53 Depth=1
	v_lshl_add_u64 v[90:91], v[76:77], 0, v[50:51]
	global_load_ushort v3, v[90:91], off
	v_lshl_add_u64 v[90:91], v[78:79], 0, v[50:51]
	global_load_ushort v14, v[90:91], off
	s_waitcnt vmcnt(1)
	v_lshlrev_b32_e32 v6, 16, v3
	s_waitcnt vmcnt(0)
	v_lshlrev_b32_e32 v14, 16, v14
.LBB203_64:                             ;   in Loop: Header=BB203_53 Depth=1
	;; [unrolled: 15-line block ×7, first 2 shown]
	s_or_b64 exec, exec, s[36:37]
	s_waitcnt vmcnt(0)
	ds_bpermute_b32 v90, v87, v89
	ds_bpermute_b32 v91, v87, v89 offset:4
	v_pk_mul_f32 v[6:7], v[14:15], v[6:7]
	ds_bpermute_b32 v14, v87, v89 offset:8
	ds_bpermute_b32 v15, v87, v89 offset:12
	v_pk_mul_f32 v[4:5], v[12:13], v[4:5]
	ds_bpermute_b32 v12, v87, v89 offset:24
	s_waitcnt lgkmcnt(3)
	v_pk_mul_f32 v[4:5], v[4:5], v[90:91]
	ds_bpermute_b32 v13, v87, v89 offset:28
	v_add_f32_e32 v3, v88, v4
	v_add_f32_e32 v3, v3, v5
	s_waitcnt lgkmcnt(2)
	v_pk_mul_f32 v[4:5], v[6:7], v[14:15]
	ds_bpermute_b32 v6, v87, v89 offset:16
	ds_bpermute_b32 v7, v87, v89 offset:20
	v_pk_mul_f32 v[8:9], v[16:17], v[8:9]
	v_add_f32_e32 v3, v3, v4
	v_add_f32_e32 v3, v3, v5
	v_pk_mul_f32 v[10:11], v[18:19], v[10:11]
	s_waitcnt lgkmcnt(0)
	v_pk_mul_f32 v[4:5], v[8:9], v[6:7]
	s_mov_b64 s[36:37], 0
	v_add_f32_e32 v3, v3, v4
	v_add_f32_e32 v3, v3, v5
	v_pk_mul_f32 v[4:5], v[10:11], v[12:13]
	s_nop 0
	v_add_f32_e32 v3, v3, v4
	v_add_f32_e32 v3, v3, v5
.LBB203_75:                             ;   in Loop: Header=BB203_53 Depth=1
	s_and_b64 vcc, exec, s[36:37]
	s_cbranch_vccz .LBB203_81
; %bb.76:                               ;   in Loop: Header=BB203_53 Depth=1
	s_load_dword s33, s[4:5], 0x0
	s_waitcnt lgkmcnt(0)
	s_cmp_lt_u32 s2, s33
	s_cselect_b32 s33, 12, 18
	s_add_u32 s36, s4, s33
	s_addc_u32 s37, s5, 0
	global_load_ushort v3, v2, s[36:37]
	s_waitcnt vmcnt(0)
	v_mad_u32_u24 v3, v86, v3, v1
	v_and_b32_e32 v4, 63, v3
	v_cmp_gt_u32_e32 vcc, 8, v4
	v_mov_b32_e32 v3, 0
	s_and_saveexec_b64 s[36:37], vcc
	s_cbranch_execz .LBB203_80
; %bb.77:                               ;   in Loop: Header=BB203_53 Depth=1
	v_mov_b32_e32 v5, v2
	v_lshl_add_u64 v[4:5], v[84:85], 0, v[4:5]
	v_lshl_add_u64 v[4:5], v[4:5], 0, s[12:13]
	v_cmp_gt_i64_e32 vcc, s[8:9], v[4:5]
	v_mov_b32_e32 v3, 0
	s_and_saveexec_b64 s[38:39], vcc
	s_cbranch_execz .LBB203_79
; %bb.78:                               ;   in Loop: Header=BB203_53 Depth=1
	v_lshl_add_u64 v[4:5], v[4:5], 2, s[16:17]
	global_load_dword v3, v[4:5], off
.LBB203_79:                             ;   in Loop: Header=BB203_53 Depth=1
	s_or_b64 exec, exec, s[38:39]
.LBB203_80:                             ;   in Loop: Header=BB203_53 Depth=1
	s_or_b64 exec, exec, s[36:37]
	v_lshl_add_u64 v[8:9], v[22:23], 0, v[50:51]
	v_lshl_add_u64 v[94:95], v[44:45], 0, v[50:51]
	;; [unrolled: 1-line block ×16, first 2 shown]
	global_load_ushort v89, v[8:9], off
	global_load_ushort v104, v[4:5], off
	;; [unrolled: 1-line block ×15, first 2 shown]
                                        ; kill: killed $vgpr14_vgpr15
                                        ; kill: killed $vgpr92_vgpr93
                                        ; kill: killed $vgpr10_vgpr11
                                        ; kill: killed $vgpr102_vgpr103
                                        ; kill: killed $vgpr84_vgpr85
                                        ; kill: killed $vgpr6_vgpr7
                                        ; kill: killed $vgpr16_vgpr17
                                        ; kill: killed $vgpr94_vgpr95
                                        ; kill: killed $vgpr12_vgpr13
                                        ; kill: killed $vgpr90_vgpr91
                                        ; kill: killed $vgpr8_vgpr9
                                        ; kill: killed $vgpr100_vgpr101
                                        ; kill: killed $vgpr18_vgpr19
                                        ; kill: killed $vgpr4_vgpr5
                                        ; kill: killed $vgpr96_vgpr97
	s_nop 0
	global_load_ushort v94, v[98:99], off
	s_waitcnt vmcnt(16)
	ds_bpermute_b32 v4, v87, v3
	ds_bpermute_b32 v5, v87, v3 offset:4
	ds_bpermute_b32 v6, v87, v3 offset:8
	;; [unrolled: 1-line block ×7, first 2 shown]
	s_waitcnt vmcnt(15)
	v_lshlrev_b32_e32 v13, 16, v89
	s_waitcnt vmcnt(14)
	v_lshlrev_b32_e32 v12, 16, v104
	;; [unrolled: 2-line block ×4, first 2 shown]
	v_pk_mul_f32 v[12:13], v[12:13], v[14:15]
	s_waitcnt vmcnt(11)
	v_lshlrev_b32_e32 v17, 16, v107
	s_waitcnt vmcnt(10)
	v_lshlrev_b32_e32 v16, 16, v108
	;; [unrolled: 2-line block ×4, first 2 shown]
	s_waitcnt lgkmcnt(6)
	v_pk_mul_f32 v[4:5], v[12:13], v[4:5]
	v_pk_mul_f32 v[14:15], v[16:17], v[18:19]
	v_add_f32_e32 v3, v88, v4
	s_waitcnt vmcnt(7)
	v_lshlrev_b32_e32 v85, 16, v111
	s_waitcnt vmcnt(6)
	v_lshlrev_b32_e32 v84, 16, v112
	;; [unrolled: 2-line block ×4, first 2 shown]
	s_waitcnt lgkmcnt(4)
	v_pk_mul_f32 v[6:7], v[14:15], v[6:7]
	v_add_f32_e32 v3, v3, v5
	v_pk_mul_f32 v[16:17], v[84:85], v[90:91]
	v_add_f32_e32 v3, v3, v6
	s_waitcnt vmcnt(3)
	v_lshlrev_b32_e32 v93, 16, v115
	s_waitcnt vmcnt(2)
	v_lshlrev_b32_e32 v92, 16, v116
	;; [unrolled: 2-line block ×3, first 2 shown]
	s_waitcnt lgkmcnt(2)
	v_pk_mul_f32 v[8:9], v[16:17], v[8:9]
	v_add_f32_e32 v3, v3, v7
	v_add_f32_e32 v3, v3, v8
	;; [unrolled: 1-line block ×3, first 2 shown]
	s_waitcnt vmcnt(0)
	v_lshlrev_b32_e32 v94, 16, v94
	v_pk_mul_f32 v[18:19], v[92:93], v[94:95]
	s_waitcnt lgkmcnt(0)
	v_pk_mul_f32 v[4:5], v[18:19], v[10:11]
	s_nop 0
	v_add_f32_e32 v3, v3, v4
	v_add_f32_e32 v3, v3, v5
.LBB203_81:                             ;   in Loop: Header=BB203_53 Depth=1
	s_add_u32 s18, s18, s3
	s_addc_u32 s19, s19, 0
	v_mov_b64_e32 v[4:5], s[8:9]
	s_add_u32 s20, s20, s3
	v_cmp_ge_i64_e32 vcc, s[18:19], v[4:5]
	v_lshl_add_u64 v[52:53], v[52:53], 0, s[6:7]
	v_lshl_add_u64 v[54:55], v[54:55], 0, s[6:7]
	s_addc_u32 s21, s21, 0
	v_lshl_add_u64 v[22:23], v[22:23], 0, s[6:7]
	v_lshl_add_u64 v[24:25], v[24:25], 0, s[6:7]
	;; [unrolled: 1-line block ×28, first 2 shown]
	s_cbranch_vccnz .LBB203_83
; %bb.82:                               ;   in Loop: Header=BB203_53 Depth=1
	v_mov_b32_e32 v88, v3
	s_branch .LBB203_53
.LBB203_83:
	v_and_b32_e32 v1, 0x3ff, v0
	v_bfe_u32 v0, v0, 10, 10
	v_mad_u32_u24 v2, v0, 33, v1
	v_lshl_add_u32 v4, v2, 2, 0
	v_sub_u32_e32 v5, v2, v0
	s_movk_i32 s3, 0x800
	ds_write_b32 v4, v3
	v_mov_b32_e32 v3, 0
	v_cmp_gt_u32_e32 vcc, s3, v5
	ds_write_b32 v4, v3 offset:1056
	s_waitcnt lgkmcnt(0)
	s_barrier
	s_and_saveexec_b64 s[4:5], vcc
	s_cbranch_execz .LBB203_123
; %bb.84:
	s_load_dwordx2 s[4:5], s[0:1], 0x30
	v_and_b32_e32 v2, 63, v5
	v_lshrrev_b32_e32 v0, 6, v5
	v_cmp_gt_u32_e64 s[0:1], 8, v2
	v_mul_u32_u24_e32 v4, 33, v2
                                        ; implicit-def: $vgpr2
	s_and_saveexec_b64 s[6:7], s[0:1]
; %bb.85:
	v_lshlrev_b32_e32 v2, 2, v0
	v_lshlrev_b32_e32 v3, 2, v4
	v_add3_u32 v2, 0, v2, v3
	ds_read_b32 v2, v2
; %bb.86:
	s_or_b64 exec, exec, s[6:7]
	v_mbcnt_lo_u32_b32 v3, -1, 0
	v_mbcnt_hi_u32_b32 v3, -1, v3
	v_and_b32_e32 v6, 64, v3
	v_add_u32_e32 v8, 64, v6
	v_xor_b32_e32 v6, 4, v3
	v_cmp_lt_i32_e32 vcc, v6, v8
	v_xor_b32_e32 v9, 2, v3
	v_xor_b32_e32 v10, 1, v3
	v_cndmask_b32_e32 v6, v3, v6, vcc
	v_lshlrev_b32_e32 v6, 2, v6
	s_waitcnt lgkmcnt(0)
	ds_bpermute_b32 v7, v6, v2
	v_cmp_lt_i32_e32 vcc, v9, v8
	s_mov_b32 s3, 0
	s_lshl_b64 s[6:7], s[2:3], 5
	v_cmp_ne_u32_e64 s[2:3], 0, v1
	s_waitcnt lgkmcnt(0)
	v_add_f32_e32 v2, v2, v7
	v_cndmask_b32_e32 v7, v3, v9, vcc
	v_lshlrev_b32_e32 v7, 2, v7
	ds_bpermute_b32 v9, v7, v2
	v_cmp_lt_i32_e32 vcc, v10, v8
	s_cmp_eq_u64 s[4:5], 0
	s_cselect_b64 s[8:9], -1, 0
	v_cndmask_b32_e32 v3, v3, v10, vcc
	s_waitcnt lgkmcnt(0)
	v_add_f32_e32 v2, v2, v9
	v_lshlrev_b32_e32 v8, 2, v3
	ds_bpermute_b32 v3, v8, v2
	s_waitcnt lgkmcnt(0)
	v_add_f32_e32 v9, v2, v3
	v_or_b32_e32 v2, s6, v0
	v_mov_b32_e32 v3, s7
	v_cmp_le_i64_e32 vcc, s[10:11], v[2:3]
	s_or_b64 s[12:13], s[2:3], vcc
	s_nor_b64 s[14:15], s[8:9], s[12:13]
	s_and_saveexec_b64 s[12:13], s[14:15]
	s_cbranch_execz .LBB203_88
; %bb.87:
	v_bfe_u32 v1, v9, 16, 1
	s_movk_i32 s14, 0x7fff
	v_add3_u32 v1, v9, v1, s14
	v_cmp_o_f32_e32 vcc, v9, v9
	v_mov_b32_e32 v10, 0x7fc0
	v_lshl_add_u64 v[2:3], v[2:3], 1, s[4:5]
	v_cndmask_b32_sdwa v1, v10, v1, vcc dst_sel:DWORD dst_unused:UNUSED_PAD src0_sel:DWORD src1_sel:WORD_1
	global_store_short v[2:3], v1, off
.LBB203_88:
	s_or_b64 exec, exec, s[12:13]
	s_movk_i32 s12, 0x700
	v_cmp_gt_u32_e32 vcc, s12, v5
	s_and_b64 exec, exec, vcc
	s_cbranch_execz .LBB203_123
; %bb.89:
	v_mov_b32_e32 v1, 0
	s_and_saveexec_b64 s[12:13], s[0:1]
; %bb.90:
	v_lshlrev_b32_e32 v2, 2, v0
	v_lshlrev_b32_e32 v3, 2, v4
	v_add3_u32 v2, 0, v2, v3
	ds_read_b32 v9, v2 offset:16
; %bb.91:
	s_or_b64 exec, exec, s[12:13]
	s_waitcnt lgkmcnt(0)
	ds_bpermute_b32 v2, v6, v9
	s_waitcnt lgkmcnt(0)
	v_add_f32_e32 v3, v9, v2
	ds_bpermute_b32 v9, v7, v3
	v_add_u32_e32 v2, 4, v0
	s_waitcnt lgkmcnt(0)
	v_add_f32_e32 v9, v3, v9
	ds_bpermute_b32 v10, v8, v9
	v_mov_b32_e32 v3, v1
	v_lshl_add_u64 v[2:3], s[6:7], 0, v[2:3]
	v_cmp_le_i64_e32 vcc, s[10:11], v[2:3]
	s_or_b64 s[12:13], s[2:3], vcc
	s_waitcnt lgkmcnt(0)
	v_add_f32_e32 v2, v9, v10
	s_nor_b64 s[14:15], s[8:9], s[12:13]
	s_and_saveexec_b64 s[12:13], s[14:15]
	s_cbranch_execz .LBB203_93
; %bb.92:
	v_bfe_u32 v3, v2, 16, 1
	s_movk_i32 s14, 0x7fff
	v_add3_u32 v3, v2, v3, s14
	v_cmp_o_f32_e32 vcc, v2, v2
	v_mov_b32_e32 v9, 0x7fc0
	v_lshl_add_u64 v[10:11], s[6:7], 0, v[0:1]
	v_cndmask_b32_sdwa v3, v9, v3, vcc dst_sel:DWORD dst_unused:UNUSED_PAD src0_sel:DWORD src1_sel:WORD_1
	v_lshl_add_u64 v[10:11], v[10:11], 1, s[4:5]
	global_store_short v[10:11], v3, off offset:8
.LBB203_93:
	s_or_b64 exec, exec, s[12:13]
	s_movk_i32 s12, 0x600
	v_cmp_gt_u32_e32 vcc, s12, v5
	s_and_b64 exec, exec, vcc
	s_cbranch_execz .LBB203_123
; %bb.94:
	s_and_saveexec_b64 s[12:13], s[0:1]
; %bb.95:
	v_lshlrev_b32_e32 v2, 2, v0
	v_lshlrev_b32_e32 v3, 2, v4
	v_add3_u32 v2, 0, v2, v3
	ds_read_b32 v2, v2 offset:32
; %bb.96:
	s_or_b64 exec, exec, s[12:13]
	s_waitcnt lgkmcnt(0)
	ds_bpermute_b32 v3, v6, v2
	s_waitcnt lgkmcnt(0)
	v_add_f32_e32 v3, v2, v3
	ds_bpermute_b32 v9, v7, v3
	v_add_u32_e32 v2, 8, v0
	s_waitcnt lgkmcnt(0)
	v_add_f32_e32 v9, v3, v9
	ds_bpermute_b32 v10, v8, v9
	v_mov_b32_e32 v3, 0
	v_lshl_add_u64 v[2:3], s[6:7], 0, v[2:3]
	v_cmp_le_i64_e32 vcc, s[10:11], v[2:3]
	s_or_b64 s[12:13], s[2:3], vcc
	s_waitcnt lgkmcnt(0)
	v_add_f32_e32 v2, v9, v10
	s_nor_b64 s[14:15], s[8:9], s[12:13]
	s_and_saveexec_b64 s[12:13], s[14:15]
	s_cbranch_execz .LBB203_98
; %bb.97:
	v_bfe_u32 v3, v2, 16, 1
	s_movk_i32 s14, 0x7fff
	v_add3_u32 v3, v2, v3, s14
	v_cmp_o_f32_e32 vcc, v2, v2
	v_mov_b32_e32 v9, 0x7fc0
	v_lshl_add_u64 v[10:11], s[6:7], 0, v[0:1]
	v_cndmask_b32_sdwa v3, v9, v3, vcc dst_sel:DWORD dst_unused:UNUSED_PAD src0_sel:DWORD src1_sel:WORD_1
	v_lshl_add_u64 v[10:11], v[10:11], 1, s[4:5]
	global_store_short v[10:11], v3, off offset:16
.LBB203_98:
	s_or_b64 exec, exec, s[12:13]
	s_movk_i32 s12, 0x500
	v_cmp_gt_u32_e32 vcc, s12, v5
	s_and_b64 exec, exec, vcc
	s_cbranch_execz .LBB203_123
; %bb.99:
	;; [unrolled: 43-line block ×3, first 2 shown]
	s_and_saveexec_b64 s[12:13], s[0:1]
; %bb.105:
	v_lshlrev_b32_e32 v2, 2, v0
	v_lshlrev_b32_e32 v3, 2, v4
	v_add3_u32 v2, 0, v2, v3
	ds_read_b32 v2, v2 offset:64
; %bb.106:
	s_or_b64 exec, exec, s[12:13]
	s_waitcnt lgkmcnt(0)
	ds_bpermute_b32 v3, v6, v2
	v_add_u32_e32 v9, 16, v0
	s_waitcnt lgkmcnt(0)
	v_add_f32_e32 v2, v2, v3
	ds_bpermute_b32 v3, v7, v2
	s_waitcnt lgkmcnt(0)
	v_add_f32_e32 v10, v2, v3
	ds_bpermute_b32 v11, v8, v10
	v_mov_b32_e32 v3, s7
	v_or_b32_e32 v2, s6, v9
	v_cmp_le_i64_e32 vcc, s[10:11], v[2:3]
	s_or_b64 s[12:13], s[2:3], vcc
	s_waitcnt lgkmcnt(0)
	v_add_f32_e32 v2, v10, v11
	s_nor_b64 s[14:15], s[8:9], s[12:13]
	s_and_saveexec_b64 s[12:13], s[14:15]
	s_cbranch_execz .LBB203_108
; %bb.107:
	v_bfe_u32 v3, v2, 16, 1
	s_movk_i32 s14, 0x7fff
	v_add3_u32 v3, v2, v3, s14
	v_cmp_o_f32_e32 vcc, v2, v2
	v_mov_b32_e32 v9, 0x7fc0
	v_lshl_add_u64 v[10:11], s[6:7], 0, v[0:1]
	v_cndmask_b32_sdwa v3, v9, v3, vcc dst_sel:DWORD dst_unused:UNUSED_PAD src0_sel:DWORD src1_sel:WORD_1
	v_lshl_add_u64 v[10:11], v[10:11], 1, s[4:5]
	global_store_short v[10:11], v3, off offset:32
.LBB203_108:
	s_or_b64 exec, exec, s[12:13]
	s_movk_i32 s12, 0x300
	v_cmp_gt_u32_e32 vcc, s12, v5
	s_and_b64 exec, exec, vcc
	s_cbranch_execz .LBB203_123
; %bb.109:
	s_and_saveexec_b64 s[12:13], s[0:1]
; %bb.110:
	v_lshlrev_b32_e32 v2, 2, v0
	v_lshlrev_b32_e32 v3, 2, v4
	v_add3_u32 v2, 0, v2, v3
	ds_read_b32 v2, v2 offset:80
; %bb.111:
	s_or_b64 exec, exec, s[12:13]
	s_waitcnt lgkmcnt(0)
	ds_bpermute_b32 v3, v6, v2
	s_waitcnt lgkmcnt(0)
	v_add_f32_e32 v3, v2, v3
	ds_bpermute_b32 v9, v7, v3
	v_add_u32_e32 v2, 20, v0
	s_waitcnt lgkmcnt(0)
	v_add_f32_e32 v9, v3, v9
	ds_bpermute_b32 v10, v8, v9
	v_mov_b32_e32 v3, 0
	v_lshl_add_u64 v[2:3], s[6:7], 0, v[2:3]
	v_cmp_le_i64_e32 vcc, s[10:11], v[2:3]
	s_or_b64 s[12:13], s[2:3], vcc
	s_waitcnt lgkmcnt(0)
	v_add_f32_e32 v2, v9, v10
	s_nor_b64 s[14:15], s[8:9], s[12:13]
	s_and_saveexec_b64 s[12:13], s[14:15]
	s_cbranch_execz .LBB203_113
; %bb.112:
	v_bfe_u32 v3, v2, 16, 1
	s_movk_i32 s14, 0x7fff
	v_add3_u32 v3, v2, v3, s14
	v_cmp_o_f32_e32 vcc, v2, v2
	v_mov_b32_e32 v9, 0x7fc0
	v_lshl_add_u64 v[10:11], s[6:7], 0, v[0:1]
	v_cndmask_b32_sdwa v3, v9, v3, vcc dst_sel:DWORD dst_unused:UNUSED_PAD src0_sel:DWORD src1_sel:WORD_1
	v_lshl_add_u64 v[10:11], v[10:11], 1, s[4:5]
	global_store_short v[10:11], v3, off offset:40
.LBB203_113:
	s_or_b64 exec, exec, s[12:13]
	s_movk_i32 s12, 0x200
	v_cmp_gt_u32_e32 vcc, s12, v5
	s_and_b64 exec, exec, vcc
	s_cbranch_execz .LBB203_123
; %bb.114:
	s_and_saveexec_b64 s[12:13], s[0:1]
; %bb.115:
	v_lshlrev_b32_e32 v2, 2, v0
	v_lshlrev_b32_e32 v3, 2, v4
	v_add3_u32 v2, 0, v2, v3
	ds_read_b32 v2, v2 offset:96
; %bb.116:
	s_or_b64 exec, exec, s[12:13]
	s_waitcnt lgkmcnt(0)
	ds_bpermute_b32 v3, v6, v2
	v_add_u32_e32 v9, 24, v0
	s_waitcnt lgkmcnt(0)
	v_add_f32_e32 v2, v2, v3
	ds_bpermute_b32 v3, v7, v2
	s_waitcnt lgkmcnt(0)
	v_add_f32_e32 v10, v2, v3
	ds_bpermute_b32 v11, v8, v10
	v_mov_b32_e32 v3, s7
	v_or_b32_e32 v2, s6, v9
	v_cmp_le_i64_e32 vcc, s[10:11], v[2:3]
	s_or_b64 s[12:13], s[2:3], vcc
	s_waitcnt lgkmcnt(0)
	v_add_f32_e32 v2, v10, v11
	s_nor_b64 s[14:15], s[8:9], s[12:13]
	s_and_saveexec_b64 s[12:13], s[14:15]
	s_cbranch_execz .LBB203_118
; %bb.117:
	v_bfe_u32 v3, v2, 16, 1
	s_movk_i32 s14, 0x7fff
	v_add3_u32 v3, v2, v3, s14
	v_cmp_o_f32_e32 vcc, v2, v2
	v_mov_b32_e32 v9, 0x7fc0
	v_lshl_add_u64 v[10:11], s[6:7], 0, v[0:1]
	v_cndmask_b32_sdwa v3, v9, v3, vcc dst_sel:DWORD dst_unused:UNUSED_PAD src0_sel:DWORD src1_sel:WORD_1
	v_lshl_add_u64 v[10:11], v[10:11], 1, s[4:5]
	global_store_short v[10:11], v3, off offset:48
.LBB203_118:
	s_or_b64 exec, exec, s[12:13]
	s_movk_i32 s12, 0x100
	v_cmp_gt_u32_e32 vcc, s12, v5
	s_and_b64 exec, exec, vcc
	s_cbranch_execz .LBB203_123
; %bb.119:
	s_and_saveexec_b64 s[12:13], s[0:1]
; %bb.120:
	v_lshlrev_b32_e32 v2, 2, v0
	v_lshlrev_b32_e32 v3, 2, v4
	v_add3_u32 v2, 0, v2, v3
	ds_read_b32 v2, v2 offset:112
; %bb.121:
	s_or_b64 exec, exec, s[12:13]
	s_waitcnt lgkmcnt(0)
	ds_bpermute_b32 v3, v6, v2
	v_add_u32_e32 v4, 28, v0
	v_or_b32_e32 v4, s6, v4
	v_mov_b32_e32 v5, s7
	v_cmp_le_i64_e32 vcc, s[10:11], v[4:5]
	s_waitcnt lgkmcnt(0)
	v_add_f32_e32 v2, v2, v3
	ds_bpermute_b32 v3, v7, v2
	s_or_b64 s[0:1], s[2:3], vcc
	s_nor_b64 s[0:1], s[8:9], s[0:1]
	s_waitcnt lgkmcnt(0)
	v_add_f32_e32 v2, v2, v3
	ds_bpermute_b32 v3, v8, v2
	s_and_saveexec_b64 s[2:3], s[0:1]
	s_xor_b64 s[2:3], exec, s[2:3]
	s_cbranch_execz .LBB203_123
; %bb.122:
	s_waitcnt lgkmcnt(0)
	v_add_f32_e32 v2, v2, v3
	v_bfe_u32 v3, v2, 16, 1
	s_movk_i32 s0, 0x7fff
	v_add3_u32 v3, v2, v3, s0
	v_cmp_o_f32_e32 vcc, v2, v2
	v_mov_b32_e32 v2, 0x7fc0
	v_lshl_add_u64 v[0:1], s[6:7], 0, v[0:1]
	v_cndmask_b32_sdwa v2, v2, v3, vcc dst_sel:DWORD dst_unused:UNUSED_PAD src0_sel:DWORD src1_sel:WORD_1
	v_lshl_add_u64 v[0:1], v[0:1], 1, s[4:5]
	global_store_short v[0:1], v2, off offset:56
.LBB203_123:
	s_endpgm
	.section	.rodata,"a",@progbits
	.p2align	6, 0x0
	.amdhsa_kernel _ZN2at6native12_GLOBAL__N_135GammaBetaBackwardCUDAKernelTemplateIN3c108BFloat16EfLj32ELj8ELj64ELb0ELb0ELb1EEEvllPKT_S7_PKT0_SA_PS5_SB_
		.amdhsa_group_segment_fixed_size 0
		.amdhsa_private_segment_fixed_size 0
		.amdhsa_kernarg_size 320
		.amdhsa_user_sgpr_count 2
		.amdhsa_user_sgpr_dispatch_ptr 0
		.amdhsa_user_sgpr_queue_ptr 0
		.amdhsa_user_sgpr_kernarg_segment_ptr 1
		.amdhsa_user_sgpr_dispatch_id 0
		.amdhsa_user_sgpr_kernarg_preload_length 0
		.amdhsa_user_sgpr_kernarg_preload_offset 0
		.amdhsa_user_sgpr_private_segment_size 0
		.amdhsa_uses_dynamic_stack 0
		.amdhsa_enable_private_segment 0
		.amdhsa_system_sgpr_workgroup_id_x 1
		.amdhsa_system_sgpr_workgroup_id_y 1
		.amdhsa_system_sgpr_workgroup_id_z 0
		.amdhsa_system_sgpr_workgroup_info 0
		.amdhsa_system_vgpr_workitem_id 1
		.amdhsa_next_free_vgpr 118
		.amdhsa_next_free_sgpr 50
		.amdhsa_accum_offset 120
		.amdhsa_reserve_vcc 1
		.amdhsa_float_round_mode_32 0
		.amdhsa_float_round_mode_16_64 0
		.amdhsa_float_denorm_mode_32 3
		.amdhsa_float_denorm_mode_16_64 3
		.amdhsa_dx10_clamp 1
		.amdhsa_ieee_mode 1
		.amdhsa_fp16_overflow 0
		.amdhsa_tg_split 0
		.amdhsa_exception_fp_ieee_invalid_op 0
		.amdhsa_exception_fp_denorm_src 0
		.amdhsa_exception_fp_ieee_div_zero 0
		.amdhsa_exception_fp_ieee_overflow 0
		.amdhsa_exception_fp_ieee_underflow 0
		.amdhsa_exception_fp_ieee_inexact 0
		.amdhsa_exception_int_div_zero 0
	.end_amdhsa_kernel
	.section	.text._ZN2at6native12_GLOBAL__N_135GammaBetaBackwardCUDAKernelTemplateIN3c108BFloat16EfLj32ELj8ELj64ELb0ELb0ELb1EEEvllPKT_S7_PKT0_SA_PS5_SB_,"axG",@progbits,_ZN2at6native12_GLOBAL__N_135GammaBetaBackwardCUDAKernelTemplateIN3c108BFloat16EfLj32ELj8ELj64ELb0ELb0ELb1EEEvllPKT_S7_PKT0_SA_PS5_SB_,comdat
.Lfunc_end203:
	.size	_ZN2at6native12_GLOBAL__N_135GammaBetaBackwardCUDAKernelTemplateIN3c108BFloat16EfLj32ELj8ELj64ELb0ELb0ELb1EEEvllPKT_S7_PKT0_SA_PS5_SB_, .Lfunc_end203-_ZN2at6native12_GLOBAL__N_135GammaBetaBackwardCUDAKernelTemplateIN3c108BFloat16EfLj32ELj8ELj64ELb0ELb0ELb1EEEvllPKT_S7_PKT0_SA_PS5_SB_
                                        ; -- End function
	.set _ZN2at6native12_GLOBAL__N_135GammaBetaBackwardCUDAKernelTemplateIN3c108BFloat16EfLj32ELj8ELj64ELb0ELb0ELb1EEEvllPKT_S7_PKT0_SA_PS5_SB_.num_vgpr, 118
	.set _ZN2at6native12_GLOBAL__N_135GammaBetaBackwardCUDAKernelTemplateIN3c108BFloat16EfLj32ELj8ELj64ELb0ELb0ELb1EEEvllPKT_S7_PKT0_SA_PS5_SB_.num_agpr, 0
	.set _ZN2at6native12_GLOBAL__N_135GammaBetaBackwardCUDAKernelTemplateIN3c108BFloat16EfLj32ELj8ELj64ELb0ELb0ELb1EEEvllPKT_S7_PKT0_SA_PS5_SB_.numbered_sgpr, 50
	.set _ZN2at6native12_GLOBAL__N_135GammaBetaBackwardCUDAKernelTemplateIN3c108BFloat16EfLj32ELj8ELj64ELb0ELb0ELb1EEEvllPKT_S7_PKT0_SA_PS5_SB_.num_named_barrier, 0
	.set _ZN2at6native12_GLOBAL__N_135GammaBetaBackwardCUDAKernelTemplateIN3c108BFloat16EfLj32ELj8ELj64ELb0ELb0ELb1EEEvllPKT_S7_PKT0_SA_PS5_SB_.private_seg_size, 0
	.set _ZN2at6native12_GLOBAL__N_135GammaBetaBackwardCUDAKernelTemplateIN3c108BFloat16EfLj32ELj8ELj64ELb0ELb0ELb1EEEvllPKT_S7_PKT0_SA_PS5_SB_.uses_vcc, 1
	.set _ZN2at6native12_GLOBAL__N_135GammaBetaBackwardCUDAKernelTemplateIN3c108BFloat16EfLj32ELj8ELj64ELb0ELb0ELb1EEEvllPKT_S7_PKT0_SA_PS5_SB_.uses_flat_scratch, 0
	.set _ZN2at6native12_GLOBAL__N_135GammaBetaBackwardCUDAKernelTemplateIN3c108BFloat16EfLj32ELj8ELj64ELb0ELb0ELb1EEEvllPKT_S7_PKT0_SA_PS5_SB_.has_dyn_sized_stack, 0
	.set _ZN2at6native12_GLOBAL__N_135GammaBetaBackwardCUDAKernelTemplateIN3c108BFloat16EfLj32ELj8ELj64ELb0ELb0ELb1EEEvllPKT_S7_PKT0_SA_PS5_SB_.has_recursion, 0
	.set _ZN2at6native12_GLOBAL__N_135GammaBetaBackwardCUDAKernelTemplateIN3c108BFloat16EfLj32ELj8ELj64ELb0ELb0ELb1EEEvllPKT_S7_PKT0_SA_PS5_SB_.has_indirect_call, 0
	.section	.AMDGPU.csdata,"",@progbits
; Kernel info:
; codeLenInByte = 7948
; TotalNumSgprs: 56
; NumVgprs: 118
; NumAgprs: 0
; TotalNumVgprs: 118
; ScratchSize: 0
; MemoryBound: 0
; FloatMode: 240
; IeeeMode: 1
; LDSByteSize: 0 bytes/workgroup (compile time only)
; SGPRBlocks: 6
; VGPRBlocks: 14
; NumSGPRsForWavesPerEU: 56
; NumVGPRsForWavesPerEU: 118
; AccumOffset: 120
; Occupancy: 4
; WaveLimiterHint : 0
; COMPUTE_PGM_RSRC2:SCRATCH_EN: 0
; COMPUTE_PGM_RSRC2:USER_SGPR: 2
; COMPUTE_PGM_RSRC2:TRAP_HANDLER: 0
; COMPUTE_PGM_RSRC2:TGID_X_EN: 1
; COMPUTE_PGM_RSRC2:TGID_Y_EN: 1
; COMPUTE_PGM_RSRC2:TGID_Z_EN: 0
; COMPUTE_PGM_RSRC2:TIDIG_COMP_CNT: 1
; COMPUTE_PGM_RSRC3_GFX90A:ACCUM_OFFSET: 29
; COMPUTE_PGM_RSRC3_GFX90A:TG_SPLIT: 0
	.section	.text._ZN2at6native12_GLOBAL__N_135GammaBetaBackwardCUDAKernelTemplateIN3c108BFloat16EfLj32ELj16ELj128ELb0ELb1ELb1EEEvllPKT_S7_PKT0_SA_PS5_SB_,"axG",@progbits,_ZN2at6native12_GLOBAL__N_135GammaBetaBackwardCUDAKernelTemplateIN3c108BFloat16EfLj32ELj16ELj128ELb0ELb1ELb1EEEvllPKT_S7_PKT0_SA_PS5_SB_,comdat
	.globl	_ZN2at6native12_GLOBAL__N_135GammaBetaBackwardCUDAKernelTemplateIN3c108BFloat16EfLj32ELj16ELj128ELb0ELb1ELb1EEEvllPKT_S7_PKT0_SA_PS5_SB_ ; -- Begin function _ZN2at6native12_GLOBAL__N_135GammaBetaBackwardCUDAKernelTemplateIN3c108BFloat16EfLj32ELj16ELj128ELb0ELb1ELb1EEEvllPKT_S7_PKT0_SA_PS5_SB_
	.p2align	8
	.type	_ZN2at6native12_GLOBAL__N_135GammaBetaBackwardCUDAKernelTemplateIN3c108BFloat16EfLj32ELj16ELj128ELb0ELb1ELb1EEEvllPKT_S7_PKT0_SA_PS5_SB_,@function
_ZN2at6native12_GLOBAL__N_135GammaBetaBackwardCUDAKernelTemplateIN3c108BFloat16EfLj32ELj16ELj128ELb0ELb1ELb1EEEvllPKT_S7_PKT0_SA_PS5_SB_: ; @_ZN2at6native12_GLOBAL__N_135GammaBetaBackwardCUDAKernelTemplateIN3c108BFloat16EfLj32ELj16ELj128ELb0ELb1ELb1EEEvllPKT_S7_PKT0_SA_PS5_SB_
; %bb.0:
	s_load_dwordx4 s[4:7], s[0:1], 0x0
	s_lshl_b32 s14, s3, 7
	s_mov_b32 s15, 0
	v_mov_b64_e32 v[2:3], s[14:15]
	v_bfe_u32 v12, v0, 10, 10
	s_waitcnt lgkmcnt(0)
	v_cmp_gt_i64_e32 vcc, s[4:5], v[2:3]
	s_cbranch_vccnz .LBB204_2
; %bb.1:
	s_mov_b64 s[8:9], 0
	v_bfe_u32 v2, v0, 10, 10
	s_branch .LBB204_3
.LBB204_2:
	s_mov_b64 s[8:9], -1
                                        ; implicit-def: $vgpr2
.LBB204_3:
	s_load_dwordx2 s[12:13], s[0:1], 0x30
	v_and_b32_e32 v10, 0x3ff, v0
	v_mov_b32_e32 v1, 0
	s_andn2_b64 vcc, exec, s[8:9]
	v_mbcnt_lo_u32_b32 v11, -1, 0
	s_cbranch_vccnz .LBB204_11
; %bb.4:
	s_load_dword s3, s[0:1], 0x4c
	s_load_dword s16, s[0:1], 0x44
	s_load_dwordx2 s[18:19], s[0:1], 0x28
	s_load_dwordx4 s[8:11], s[0:1], 0x10
	v_lshlrev_b32_e32 v0, 3, v12
	s_waitcnt lgkmcnt(0)
	s_and_b32 s0, s3, 0xffff
	v_mad_u32_u24 v1, v12, s0, v10
	v_and_b32_e32 v2, 63, v1
	v_mov_b32_e32 v1, 0
	v_mov_b32_e32 v3, v1
	v_lshl_add_u64 v[8:9], v[0:1], 0, s[14:15]
	v_cmp_gt_u32_e64 s[0:1], 8, v2
	v_mbcnt_hi_u32_b32 v4, -1, v11
	s_lshl_b32 s16, s16, 7
	v_lshl_add_u64 v[2:3], v[8:9], 0, v[2:3]
	v_mul_lo_u32 v0, s7, v8
	v_mul_lo_u32 v21, s6, v9
	v_mad_u64_u32 v[8:9], s[20:21], s6, v8, 0
	v_lshl_add_u32 v6, s2, 5, v10
	v_mov_b32_e32 v7, v1
	v_lshlrev_b32_e32 v4, 2, v4
	s_mul_i32 s3, s7, s16
	s_mul_hi_u32 s20, s6, s16
	s_mov_b32 s17, 0
	v_and_b32_e32 v13, 0x100, v4
	v_add3_u32 v9, v9, v21, v0
	v_lshlrev_b64 v[6:7], 1, v[6:7]
	s_add_i32 s21, s20, s3
	s_mul_i32 s20, s6, s16
	v_or_b32_e32 v14, 4, v13
	v_or_b32_e32 v15, 8, v13
	;; [unrolled: 1-line block ×7, first 2 shown]
	v_lshl_add_u64 v[4:5], v[2:3], 2, s[18:19]
	s_lshl_b64 s[18:19], s[16:17], 2
	v_lshl_add_u64 v[6:7], v[8:9], 1, v[6:7]
	s_lshl_b64 s[20:21], s[20:21], 1
	s_lshl_b64 s[6:7], s[6:7], 1
	v_mov_b64_e32 v[8:9], s[4:5]
	s_branch .LBB204_7
.LBB204_5:                              ;   in Loop: Header=BB204_7 Depth=1
	s_or_b64 exec, exec, s[24:25]
.LBB204_6:                              ;   in Loop: Header=BB204_7 Depth=1
	s_or_b64 exec, exec, s[22:23]
	v_lshl_add_u64 v[22:23], s[8:9], 0, v[6:7]
	v_lshl_add_u64 v[24:25], s[10:11], 0, v[6:7]
	;; [unrolled: 1-line block ×5, first 2 shown]
	global_load_ushort v21, v[22:23], off
	global_load_ushort v34, v[24:25], off
	;; [unrolled: 1-line block ×4, first 2 shown]
	v_lshl_add_u64 v[32:33], v[28:29], 0, s[6:7]
	v_lshl_add_u64 v[22:23], v[30:31], 0, s[6:7]
	global_load_ushort v37, v[30:31], off
	global_load_ushort v38, v[32:33], off
	v_lshl_add_u64 v[24:25], v[32:33], 0, s[6:7]
	global_load_ushort v39, v[22:23], off
	global_load_ushort v40, v[24:25], off
	v_lshl_add_u64 v[22:23], v[22:23], 0, s[6:7]
	v_lshl_add_u64 v[24:25], v[24:25], 0, s[6:7]
	global_load_ushort v41, v[22:23], off
	global_load_ushort v42, v[24:25], off
	v_lshl_add_u64 v[22:23], v[22:23], 0, s[6:7]
	v_lshl_add_u64 v[24:25], v[24:25], 0, s[6:7]
	global_load_ushort v43, v[22:23], off
	global_load_ushort v44, v[24:25], off
	v_lshl_add_u64 v[22:23], v[22:23], 0, s[6:7]
	v_lshl_add_u64 v[24:25], v[24:25], 0, s[6:7]
	global_load_ushort v45, v[22:23], off
	global_load_ushort v46, v[24:25], off
	v_lshl_add_u64 v[22:23], v[22:23], 0, s[6:7]
	v_lshl_add_u64 v[24:25], v[24:25], 0, s[6:7]
	global_load_ushort v47, v[22:23], off
	global_load_ushort v48, v[24:25], off
	s_waitcnt vmcnt(16)
	ds_bpermute_b32 v22, v13, v0
	ds_bpermute_b32 v23, v14, v0
	;; [unrolled: 1-line block ×8, first 2 shown]
	s_add_u32 s14, s14, s16
	s_addc_u32 s15, s15, 0
	v_cmp_lt_i64_e32 vcc, s[14:15], v[8:9]
	v_lshl_add_u64 v[4:5], v[4:5], 0, s[18:19]
	v_lshl_add_u64 v[2:3], v[2:3], 0, s[16:17]
	;; [unrolled: 1-line block ×3, first 2 shown]
	s_and_b64 vcc, exec, vcc
	s_waitcnt vmcnt(15)
	v_lshlrev_b32_e32 v30, 16, v21
	s_waitcnt vmcnt(14)
	v_lshlrev_b32_e32 v32, 16, v34
	;; [unrolled: 2-line block ×4, first 2 shown]
	v_pk_mul_f32 v[30:31], v[30:31], v[32:33]
	s_waitcnt vmcnt(11)
	v_lshlrev_b32_e32 v32, 16, v37
	s_waitcnt vmcnt(10)
	v_lshlrev_b32_e32 v34, 16, v38
	s_waitcnt lgkmcnt(6)
	v_pk_mul_f32 v[22:23], v[30:31], v[22:23]
	s_waitcnt vmcnt(9)
	v_lshlrev_b32_e32 v33, 16, v39
	s_waitcnt vmcnt(8)
	v_lshlrev_b32_e32 v35, 16, v40
	v_add_f32_e32 v21, v1, v22
	v_pk_mul_f32 v[0:1], v[32:33], v[34:35]
	s_waitcnt vmcnt(7)
	v_lshlrev_b32_e32 v22, 16, v41
	s_waitcnt vmcnt(6)
	v_lshlrev_b32_e32 v30, 16, v42
	v_add_f32_e32 v21, v21, v23
	s_waitcnt lgkmcnt(4)
	v_pk_mul_f32 v[0:1], v[0:1], v[24:25]
	s_waitcnt vmcnt(5)
	v_lshlrev_b32_e32 v23, 16, v43
	s_waitcnt vmcnt(4)
	v_lshlrev_b32_e32 v31, 16, v44
	v_add_f32_e32 v21, v21, v0
	v_pk_mul_f32 v[22:23], v[22:23], v[30:31]
	s_waitcnt vmcnt(3)
	v_lshlrev_b32_e32 v0, 16, v45
	s_waitcnt vmcnt(2)
	v_lshlrev_b32_e32 v24, 16, v46
	v_add_f32_e32 v21, v21, v1
	s_waitcnt lgkmcnt(2)
	v_pk_mul_f32 v[22:23], v[22:23], v[26:27]
	s_waitcnt vmcnt(1)
	v_lshlrev_b32_e32 v1, 16, v47
	s_waitcnt vmcnt(0)
	v_lshlrev_b32_e32 v25, 16, v48
	v_add_f32_e32 v21, v21, v22
	v_pk_mul_f32 v[0:1], v[0:1], v[24:25]
	v_add_f32_e32 v21, v21, v23
	s_waitcnt lgkmcnt(0)
	v_pk_mul_f32 v[0:1], v[0:1], v[28:29]
	s_nop 0
	v_add_f32_e32 v0, v21, v0
	v_add_f32_e32 v1, v0, v1
	s_cbranch_vccz .LBB204_10
.LBB204_7:                              ; =>This Inner Loop Header: Depth=1
	v_mov_b32_e32 v0, 0
	s_and_saveexec_b64 s[22:23], s[0:1]
	s_cbranch_execz .LBB204_6
; %bb.8:                                ;   in Loop: Header=BB204_7 Depth=1
	v_cmp_gt_i64_e32 vcc, s[4:5], v[2:3]
	v_mov_b32_e32 v0, 0
	s_and_saveexec_b64 s[24:25], vcc
	s_cbranch_execz .LBB204_5
; %bb.9:                                ;   in Loop: Header=BB204_7 Depth=1
	global_load_dword v0, v[4:5], off
	s_branch .LBB204_5
.LBB204_10:
	v_mov_b32_e32 v2, v12
.LBB204_11:
	v_mad_u32_u24 v0, v2, 33, v10
	v_lshl_add_u32 v3, v0, 2, 0
	v_sub_u32_e32 v2, v0, v2
	s_movk_i32 s0, 0x800
	ds_write_b32 v3, v1
	v_mov_b32_e32 v1, 0
	v_cmp_gt_u32_e32 vcc, s0, v2
	ds_write_b32 v3, v1 offset:2112
	s_waitcnt lgkmcnt(0)
	s_barrier
	s_and_saveexec_b64 s[0:1], vcc
	s_cbranch_execz .LBB204_31
; %bb.12:
	v_and_b32_e32 v1, 63, v2
	v_lshrrev_b32_e32 v0, 6, v2
	v_cmp_gt_u32_e64 s[0:1], 16, v1
	v_mul_u32_u24_e32 v1, 33, v1
                                        ; implicit-def: $vgpr4
	s_and_saveexec_b64 s[4:5], s[0:1]
; %bb.13:
	v_lshlrev_b32_e32 v3, 2, v0
	v_lshlrev_b32_e32 v4, 2, v1
	v_add3_u32 v3, 0, v3, v4
	ds_read_b32 v4, v3
; %bb.14:
	s_or_b64 exec, exec, s[4:5]
	v_mbcnt_hi_u32_b32 v6, -1, v11
	v_and_b32_e32 v3, 64, v6
	v_add_u32_e32 v7, 64, v3
	v_xor_b32_e32 v3, 8, v6
	v_cmp_lt_i32_e32 vcc, v3, v7
	v_xor_b32_e32 v8, 4, v6
	v_xor_b32_e32 v9, 2, v6
	v_cndmask_b32_e32 v3, v6, v3, vcc
	v_lshlrev_b32_e32 v3, 2, v3
	s_waitcnt lgkmcnt(0)
	ds_bpermute_b32 v5, v3, v4
	v_cmp_lt_i32_e32 vcc, v8, v7
	s_cmp_lg_u64 s[12:13], 0
	s_mov_b32 s3, 0
	s_cselect_b64 s[6:7], -1, 0
	s_waitcnt lgkmcnt(0)
	v_add_f32_e32 v5, v4, v5
	v_cndmask_b32_e32 v4, v6, v8, vcc
	v_lshlrev_b32_e32 v4, 2, v4
	ds_bpermute_b32 v8, v4, v5
	v_cmp_lt_i32_e32 vcc, v9, v7
	s_lshl_b64 s[2:3], s[2:3], 6
	s_waitcnt lgkmcnt(0)
	v_add_f32_e32 v8, v5, v8
	v_cndmask_b32_e32 v5, v6, v9, vcc
	v_lshlrev_b32_e32 v5, 2, v5
	ds_bpermute_b32 v9, v5, v8
	v_cmp_eq_u32_e32 vcc, 0, v10
	s_waitcnt lgkmcnt(0)
	v_add_f32_e32 v8, v8, v9
	v_xor_b32_e32 v9, 1, v6
	v_cmp_lt_i32_e64 s[4:5], v9, v7
	s_nop 1
	v_cndmask_b32_e64 v6, v6, v9, s[4:5]
	v_lshlrev_b32_e32 v6, 2, v6
	ds_bpermute_b32 v7, v6, v8
	s_and_b64 s[4:5], vcc, s[6:7]
	s_add_u32 s2, s12, s2
	s_addc_u32 s3, s13, s3
	s_waitcnt lgkmcnt(0)
	v_add_f32_e32 v7, v8, v7
	s_and_saveexec_b64 s[6:7], s[4:5]
	s_cbranch_execz .LBB204_16
; %bb.15:
	v_bfe_u32 v8, v7, 16, 1
	s_movk_i32 s8, 0x7fff
	v_add3_u32 v8, v7, v8, s8
	v_cmp_o_f32_e32 vcc, v7, v7
	v_mov_b32_e32 v9, 0x7fc0
	s_nop 0
	v_cndmask_b32_sdwa v8, v9, v8, vcc dst_sel:DWORD dst_unused:UNUSED_PAD src0_sel:DWORD src1_sel:WORD_1
	v_lshlrev_b32_e32 v9, 1, v0
	global_store_short v9, v8, s[2:3]
.LBB204_16:
	s_or_b64 exec, exec, s[6:7]
	s_movk_i32 s6, 0x600
	v_cmp_gt_u32_e32 vcc, s6, v2
	s_and_b64 exec, exec, vcc
	s_cbranch_execz .LBB204_31
; %bb.17:
	s_and_saveexec_b64 s[6:7], s[0:1]
; %bb.18:
	v_lshlrev_b32_e32 v7, 2, v0
	v_lshlrev_b32_e32 v8, 2, v1
	v_add3_u32 v7, 0, v7, v8
	ds_read_b32 v7, v7 offset:32
; %bb.19:
	s_or_b64 exec, exec, s[6:7]
	s_waitcnt lgkmcnt(0)
	ds_bpermute_b32 v8, v3, v7
	s_waitcnt lgkmcnt(0)
	v_add_f32_e32 v7, v7, v8
	ds_bpermute_b32 v8, v4, v7
	s_waitcnt lgkmcnt(0)
	v_add_f32_e32 v7, v7, v8
	;; [unrolled: 3-line block ×4, first 2 shown]
	s_and_saveexec_b64 s[6:7], s[4:5]
	s_cbranch_execz .LBB204_21
; %bb.20:
	v_bfe_u32 v8, v7, 16, 1
	s_movk_i32 s8, 0x7fff
	v_add3_u32 v8, v7, v8, s8
	v_cmp_o_f32_e32 vcc, v7, v7
	v_mov_b32_e32 v9, 0x7fc0
	s_nop 0
	v_cndmask_b32_sdwa v8, v9, v8, vcc dst_sel:DWORD dst_unused:UNUSED_PAD src0_sel:DWORD src1_sel:WORD_1
	v_lshlrev_b32_e32 v9, 1, v0
	global_store_short v9, v8, s[2:3] offset:16
.LBB204_21:
	s_or_b64 exec, exec, s[6:7]
	s_movk_i32 s6, 0x400
	v_cmp_gt_u32_e32 vcc, s6, v2
	s_and_b64 exec, exec, vcc
	s_cbranch_execz .LBB204_31
; %bb.22:
	s_and_saveexec_b64 s[6:7], s[0:1]
; %bb.23:
	v_lshlrev_b32_e32 v7, 2, v0
	v_lshlrev_b32_e32 v8, 2, v1
	v_add3_u32 v7, 0, v7, v8
	ds_read_b32 v7, v7 offset:64
; %bb.24:
	s_or_b64 exec, exec, s[6:7]
	s_waitcnt lgkmcnt(0)
	ds_bpermute_b32 v8, v3, v7
	s_waitcnt lgkmcnt(0)
	v_add_f32_e32 v7, v7, v8
	ds_bpermute_b32 v8, v4, v7
	s_waitcnt lgkmcnt(0)
	v_add_f32_e32 v7, v7, v8
	;; [unrolled: 3-line block ×4, first 2 shown]
	s_and_saveexec_b64 s[6:7], s[4:5]
	s_cbranch_execz .LBB204_26
; %bb.25:
	v_bfe_u32 v8, v7, 16, 1
	s_movk_i32 s8, 0x7fff
	v_add3_u32 v8, v7, v8, s8
	v_cmp_o_f32_e32 vcc, v7, v7
	v_mov_b32_e32 v9, 0x7fc0
	s_nop 0
	v_cndmask_b32_sdwa v8, v9, v8, vcc dst_sel:DWORD dst_unused:UNUSED_PAD src0_sel:DWORD src1_sel:WORD_1
	v_lshlrev_b32_e32 v9, 1, v0
	global_store_short v9, v8, s[2:3] offset:32
.LBB204_26:
	s_or_b64 exec, exec, s[6:7]
	s_movk_i32 s6, 0x200
	v_cmp_gt_u32_e32 vcc, s6, v2
	s_and_b64 exec, exec, vcc
	s_cbranch_execz .LBB204_31
; %bb.27:
	s_and_saveexec_b64 s[6:7], s[0:1]
; %bb.28:
	v_lshlrev_b32_e32 v2, 2, v0
	v_lshlrev_b32_e32 v1, 2, v1
	v_add3_u32 v1, 0, v2, v1
	ds_read_b32 v7, v1 offset:96
; %bb.29:
	s_or_b64 exec, exec, s[6:7]
	s_waitcnt lgkmcnt(0)
	ds_bpermute_b32 v1, v3, v7
	s_waitcnt lgkmcnt(0)
	v_add_f32_e32 v1, v7, v1
	ds_bpermute_b32 v2, v4, v1
	s_waitcnt lgkmcnt(0)
	v_add_f32_e32 v1, v1, v2
	;; [unrolled: 3-line block ×3, first 2 shown]
	ds_bpermute_b32 v2, v6, v1
	s_and_saveexec_b64 s[0:1], s[4:5]
	s_xor_b64 s[0:1], exec, s[0:1]
	s_cbranch_execz .LBB204_31
; %bb.30:
	s_waitcnt lgkmcnt(0)
	v_add_f32_e32 v1, v1, v2
	v_bfe_u32 v2, v1, 16, 1
	s_movk_i32 s0, 0x7fff
	v_add3_u32 v2, v1, v2, s0
	v_cmp_o_f32_e32 vcc, v1, v1
	v_mov_b32_e32 v1, 0x7fc0
	v_lshlrev_b32_e32 v0, 1, v0
	v_cndmask_b32_sdwa v1, v1, v2, vcc dst_sel:DWORD dst_unused:UNUSED_PAD src0_sel:DWORD src1_sel:WORD_1
	global_store_short v0, v1, s[2:3] offset:48
.LBB204_31:
	s_endpgm
	.section	.rodata,"a",@progbits
	.p2align	6, 0x0
	.amdhsa_kernel _ZN2at6native12_GLOBAL__N_135GammaBetaBackwardCUDAKernelTemplateIN3c108BFloat16EfLj32ELj16ELj128ELb0ELb1ELb1EEEvllPKT_S7_PKT0_SA_PS5_SB_
		.amdhsa_group_segment_fixed_size 0
		.amdhsa_private_segment_fixed_size 0
		.amdhsa_kernarg_size 320
		.amdhsa_user_sgpr_count 2
		.amdhsa_user_sgpr_dispatch_ptr 0
		.amdhsa_user_sgpr_queue_ptr 0
		.amdhsa_user_sgpr_kernarg_segment_ptr 1
		.amdhsa_user_sgpr_dispatch_id 0
		.amdhsa_user_sgpr_kernarg_preload_length 0
		.amdhsa_user_sgpr_kernarg_preload_offset 0
		.amdhsa_user_sgpr_private_segment_size 0
		.amdhsa_uses_dynamic_stack 0
		.amdhsa_enable_private_segment 0
		.amdhsa_system_sgpr_workgroup_id_x 1
		.amdhsa_system_sgpr_workgroup_id_y 1
		.amdhsa_system_sgpr_workgroup_id_z 0
		.amdhsa_system_sgpr_workgroup_info 0
		.amdhsa_system_vgpr_workitem_id 1
		.amdhsa_next_free_vgpr 49
		.amdhsa_next_free_sgpr 26
		.amdhsa_accum_offset 52
		.amdhsa_reserve_vcc 1
		.amdhsa_float_round_mode_32 0
		.amdhsa_float_round_mode_16_64 0
		.amdhsa_float_denorm_mode_32 3
		.amdhsa_float_denorm_mode_16_64 3
		.amdhsa_dx10_clamp 1
		.amdhsa_ieee_mode 1
		.amdhsa_fp16_overflow 0
		.amdhsa_tg_split 0
		.amdhsa_exception_fp_ieee_invalid_op 0
		.amdhsa_exception_fp_denorm_src 0
		.amdhsa_exception_fp_ieee_div_zero 0
		.amdhsa_exception_fp_ieee_overflow 0
		.amdhsa_exception_fp_ieee_underflow 0
		.amdhsa_exception_fp_ieee_inexact 0
		.amdhsa_exception_int_div_zero 0
	.end_amdhsa_kernel
	.section	.text._ZN2at6native12_GLOBAL__N_135GammaBetaBackwardCUDAKernelTemplateIN3c108BFloat16EfLj32ELj16ELj128ELb0ELb1ELb1EEEvllPKT_S7_PKT0_SA_PS5_SB_,"axG",@progbits,_ZN2at6native12_GLOBAL__N_135GammaBetaBackwardCUDAKernelTemplateIN3c108BFloat16EfLj32ELj16ELj128ELb0ELb1ELb1EEEvllPKT_S7_PKT0_SA_PS5_SB_,comdat
.Lfunc_end204:
	.size	_ZN2at6native12_GLOBAL__N_135GammaBetaBackwardCUDAKernelTemplateIN3c108BFloat16EfLj32ELj16ELj128ELb0ELb1ELb1EEEvllPKT_S7_PKT0_SA_PS5_SB_, .Lfunc_end204-_ZN2at6native12_GLOBAL__N_135GammaBetaBackwardCUDAKernelTemplateIN3c108BFloat16EfLj32ELj16ELj128ELb0ELb1ELb1EEEvllPKT_S7_PKT0_SA_PS5_SB_
                                        ; -- End function
	.set _ZN2at6native12_GLOBAL__N_135GammaBetaBackwardCUDAKernelTemplateIN3c108BFloat16EfLj32ELj16ELj128ELb0ELb1ELb1EEEvllPKT_S7_PKT0_SA_PS5_SB_.num_vgpr, 49
	.set _ZN2at6native12_GLOBAL__N_135GammaBetaBackwardCUDAKernelTemplateIN3c108BFloat16EfLj32ELj16ELj128ELb0ELb1ELb1EEEvllPKT_S7_PKT0_SA_PS5_SB_.num_agpr, 0
	.set _ZN2at6native12_GLOBAL__N_135GammaBetaBackwardCUDAKernelTemplateIN3c108BFloat16EfLj32ELj16ELj128ELb0ELb1ELb1EEEvllPKT_S7_PKT0_SA_PS5_SB_.numbered_sgpr, 26
	.set _ZN2at6native12_GLOBAL__N_135GammaBetaBackwardCUDAKernelTemplateIN3c108BFloat16EfLj32ELj16ELj128ELb0ELb1ELb1EEEvllPKT_S7_PKT0_SA_PS5_SB_.num_named_barrier, 0
	.set _ZN2at6native12_GLOBAL__N_135GammaBetaBackwardCUDAKernelTemplateIN3c108BFloat16EfLj32ELj16ELj128ELb0ELb1ELb1EEEvllPKT_S7_PKT0_SA_PS5_SB_.private_seg_size, 0
	.set _ZN2at6native12_GLOBAL__N_135GammaBetaBackwardCUDAKernelTemplateIN3c108BFloat16EfLj32ELj16ELj128ELb0ELb1ELb1EEEvllPKT_S7_PKT0_SA_PS5_SB_.uses_vcc, 1
	.set _ZN2at6native12_GLOBAL__N_135GammaBetaBackwardCUDAKernelTemplateIN3c108BFloat16EfLj32ELj16ELj128ELb0ELb1ELb1EEEvllPKT_S7_PKT0_SA_PS5_SB_.uses_flat_scratch, 0
	.set _ZN2at6native12_GLOBAL__N_135GammaBetaBackwardCUDAKernelTemplateIN3c108BFloat16EfLj32ELj16ELj128ELb0ELb1ELb1EEEvllPKT_S7_PKT0_SA_PS5_SB_.has_dyn_sized_stack, 0
	.set _ZN2at6native12_GLOBAL__N_135GammaBetaBackwardCUDAKernelTemplateIN3c108BFloat16EfLj32ELj16ELj128ELb0ELb1ELb1EEEvllPKT_S7_PKT0_SA_PS5_SB_.has_recursion, 0
	.set _ZN2at6native12_GLOBAL__N_135GammaBetaBackwardCUDAKernelTemplateIN3c108BFloat16EfLj32ELj16ELj128ELb0ELb1ELb1EEEvllPKT_S7_PKT0_SA_PS5_SB_.has_indirect_call, 0
	.section	.AMDGPU.csdata,"",@progbits
; Kernel info:
; codeLenInByte = 1940
; TotalNumSgprs: 32
; NumVgprs: 49
; NumAgprs: 0
; TotalNumVgprs: 49
; ScratchSize: 0
; MemoryBound: 0
; FloatMode: 240
; IeeeMode: 1
; LDSByteSize: 0 bytes/workgroup (compile time only)
; SGPRBlocks: 3
; VGPRBlocks: 6
; NumSGPRsForWavesPerEU: 32
; NumVGPRsForWavesPerEU: 49
; AccumOffset: 52
; Occupancy: 8
; WaveLimiterHint : 0
; COMPUTE_PGM_RSRC2:SCRATCH_EN: 0
; COMPUTE_PGM_RSRC2:USER_SGPR: 2
; COMPUTE_PGM_RSRC2:TRAP_HANDLER: 0
; COMPUTE_PGM_RSRC2:TGID_X_EN: 1
; COMPUTE_PGM_RSRC2:TGID_Y_EN: 1
; COMPUTE_PGM_RSRC2:TGID_Z_EN: 0
; COMPUTE_PGM_RSRC2:TIDIG_COMP_CNT: 1
; COMPUTE_PGM_RSRC3_GFX90A:ACCUM_OFFSET: 12
; COMPUTE_PGM_RSRC3_GFX90A:TG_SPLIT: 0
	.section	.text._ZN2at6native12_GLOBAL__N_135GammaBetaBackwardCUDAKernelTemplateIN3c108BFloat16EfLj32ELj16ELj128ELb0ELb0ELb1EEEvllPKT_S7_PKT0_SA_PS5_SB_,"axG",@progbits,_ZN2at6native12_GLOBAL__N_135GammaBetaBackwardCUDAKernelTemplateIN3c108BFloat16EfLj32ELj16ELj128ELb0ELb0ELb1EEEvllPKT_S7_PKT0_SA_PS5_SB_,comdat
	.globl	_ZN2at6native12_GLOBAL__N_135GammaBetaBackwardCUDAKernelTemplateIN3c108BFloat16EfLj32ELj16ELj128ELb0ELb0ELb1EEEvllPKT_S7_PKT0_SA_PS5_SB_ ; -- Begin function _ZN2at6native12_GLOBAL__N_135GammaBetaBackwardCUDAKernelTemplateIN3c108BFloat16EfLj32ELj16ELj128ELb0ELb0ELb1EEEvllPKT_S7_PKT0_SA_PS5_SB_
	.p2align	8
	.type	_ZN2at6native12_GLOBAL__N_135GammaBetaBackwardCUDAKernelTemplateIN3c108BFloat16EfLj32ELj16ELj128ELb0ELb0ELb1EEEvllPKT_S7_PKT0_SA_PS5_SB_,@function
_ZN2at6native12_GLOBAL__N_135GammaBetaBackwardCUDAKernelTemplateIN3c108BFloat16EfLj32ELj16ELj128ELb0ELb0ELb1EEEvllPKT_S7_PKT0_SA_PS5_SB_: ; @_ZN2at6native12_GLOBAL__N_135GammaBetaBackwardCUDAKernelTemplateIN3c108BFloat16EfLj32ELj16ELj128ELb0ELb0ELb1EEEvllPKT_S7_PKT0_SA_PS5_SB_
; %bb.0:
	s_load_dwordx8 s[8:15], s[0:1], 0x0
	s_load_dwordx2 s[16:17], s[0:1], 0x28
	s_lshl_b32 s33, s2, 5
	s_mov_b32 s19, 0
	s_lshl_b32 s18, s3, 7
	s_or_b32 s4, s33, 31
	v_mov_b64_e32 v[4:5], s[18:19]
	v_mov_b32_e32 v2, s4
	v_mov_b32_e32 v3, 0
	s_waitcnt lgkmcnt(0)
	v_cmp_gt_i64_e64 s[4:5], s[8:9], v[4:5]
	v_cmp_le_i64_e32 vcc, s[10:11], v[2:3]
	s_nop 0
	v_cndmask_b32_e64 v1, 0, 1, s[4:5]
	v_cmp_ne_u32_e64 s[4:5], 1, v1
	s_cbranch_vccz .LBB205_49
; %bb.1:
	s_and_b64 vcc, exec, s[4:5]
	s_cbranch_vccnz .LBB205_50
; %bb.2:
	v_and_b32_e32 v1, 0x3ff, v0
	v_mov_b32_e32 v2, 0
	v_bfe_u32 v58, v0, 10, 10
	v_add_u32_e32 v4, s33, v1
	v_mov_b32_e32 v5, v2
	v_lshlrev_b32_e32 v20, 3, v58
	v_mov_b32_e32 v21, v2
	v_cmp_gt_i64_e64 s[6:7], s[10:11], v[4:5]
	v_lshlrev_b64 v[22:23], 1, v[4:5]
	v_lshl_add_u64 v[4:5], v[20:21], 0, s[18:19]
	v_mul_lo_u32 v3, s11, v4
	v_mul_lo_u32 v8, s10, v5
	v_mad_u64_u32 v[6:7], s[22:23], s10, v4, 0
	v_add3_u32 v7, v7, v8, v3
	v_lshlrev_b64 v[6:7], 1, v[6:7]
	v_lshl_add_u64 v[24:25], s[12:13], 0, v[6:7]
	v_lshl_add_u64 v[26:27], s[14:15], 0, v[6:7]
	v_lshl_add_u64 v[6:7], v[4:5], 0, 7
	v_mul_lo_u32 v9, s11, v6
	v_mul_lo_u32 v10, s10, v7
	v_mad_u64_u32 v[6:7], s[24:25], s10, v6, 0
	v_add3_u32 v7, v7, v10, v9
	v_lshlrev_b64 v[6:7], 1, v[6:7]
	v_lshl_add_u64 v[28:29], s[12:13], 0, v[6:7]
	v_lshl_add_u64 v[30:31], s[14:15], 0, v[6:7]
	;; [unrolled: 8-line block ×5, first 2 shown]
	v_lshl_add_u64 v[6:7], v[4:5], 0, 3
	v_mul_lo_u32 v9, s11, v6
	v_mul_lo_u32 v10, s10, v7
	v_mad_u64_u32 v[6:7], s[24:25], s10, v6, 0
	v_add3_u32 v7, v7, v10, v9
	s_load_dword s3, s[0:1], 0x44
	v_lshlrev_b64 v[6:7], 1, v[6:7]
	v_lshl_add_u64 v[44:45], s[12:13], 0, v[6:7]
	v_lshl_add_u64 v[46:47], s[14:15], 0, v[6:7]
	v_lshl_add_u64 v[6:7], v[4:5], 0, 2
	v_mul_lo_u32 v5, s11, v6
	v_mul_lo_u32 v9, s10, v7
	v_mad_u64_u32 v[6:7], s[24:25], s10, v6, 0
	v_add3_u32 v7, v7, v9, v5
	s_add_u32 s20, s0, 64
	v_lshlrev_b64 v[6:7], 1, v[6:7]
	s_addc_u32 s21, s1, 0
	s_waitcnt lgkmcnt(0)
	s_lshl_b32 s3, s3, 7
	v_lshl_add_u64 v[48:49], s[12:13], 0, v[6:7]
	v_lshl_add_u64 v[50:51], s[14:15], 0, v[6:7]
	v_mov_b64_e32 v[6:7], s[10:11]
	s_mul_i32 s22, s11, s3
	s_mul_hi_u32 s23, s10, s3
	v_mad_u64_u32 v[4:5], s[24:25], s10, v4, v[6:7]
	s_add_i32 s23, s23, s22
	s_mul_i32 s22, s10, s3
	v_add3_u32 v5, v3, v5, v8
	v_mbcnt_lo_u32_b32 v3, -1, 0
	s_lshl_b64 s[22:23], s[22:23], 1
	v_mbcnt_hi_u32_b32 v3, -1, v3
	v_lshlrev_b64 v[4:5], 1, v[4:5]
	s_add_u32 s24, s18, 0x7f
	s_movk_i32 s26, 0xff81
	s_movk_i32 s28, 0xff82
	;; [unrolled: 1-line block ×8, first 2 shown]
	v_lshlrev_b32_e32 v3, 2, v3
	v_lshl_add_u64 v[52:53], s[12:13], 0, v[4:5]
	v_lshl_add_u64 v[54:55], s[14:15], 0, v[4:5]
	s_addc_u32 s25, 0, 0
	s_mov_b32 s27, -1
	s_mov_b32 s29, -1
	;; [unrolled: 1-line block ×8, first 2 shown]
	v_and_b32_e32 v59, 0x100, v3
	s_mov_b64 s[44:45], s[18:19]
	v_mov_b32_e32 v60, 0
.LBB205_3:                              ; =>This Inner Loop Header: Depth=1
	v_mov_b64_e32 v[4:5], s[8:9]
	v_cmp_ge_i64_e32 vcc, s[24:25], v[4:5]
	v_lshl_add_u64 v[56:57], v[20:21], 0, s[24:25]
	s_mov_b64 s[46:47], -1
	s_and_b64 vcc, exec, vcc
                                        ; implicit-def: $vgpr4_vgpr5_vgpr6_vgpr7_vgpr8_vgpr9_vgpr10_vgpr11
                                        ; implicit-def: $vgpr3
                                        ; implicit-def: $vgpr12_vgpr13_vgpr14_vgpr15_vgpr16_vgpr17_vgpr18_vgpr19
                                        ; implicit-def: $vgpr4
	s_cbranch_vccz .LBB205_25
; %bb.4:                                ;   in Loop: Header=BB205_3 Depth=1
	s_load_dword s46, s[20:21], 0xc
	v_mov_b32_e32 v61, 0
	s_waitcnt lgkmcnt(0)
	s_and_b32 s46, s46, 0xffff
	v_mad_u32_u24 v3, v58, s46, v1
	v_and_b32_e32 v4, 63, v3
	v_cmp_gt_u32_e32 vcc, 8, v4
	s_and_saveexec_b64 s[46:47], vcc
	s_cbranch_execz .LBB205_8
; %bb.5:                                ;   in Loop: Header=BB205_3 Depth=1
	v_mov_b32_e32 v5, v2
	v_lshl_add_u64 v[4:5], v[56:57], 0, v[4:5]
	v_lshl_add_u64 v[4:5], v[4:5], 0, s[26:27]
	v_cmp_gt_i64_e32 vcc, s[8:9], v[4:5]
	v_mov_b32_e32 v61, 0
	s_and_saveexec_b64 s[48:49], vcc
	s_cbranch_execz .LBB205_7
; %bb.6:                                ;   in Loop: Header=BB205_3 Depth=1
	v_lshl_add_u64 v[4:5], v[4:5], 2, s[16:17]
	global_load_dword v61, v[4:5], off
.LBB205_7:                              ;   in Loop: Header=BB205_3 Depth=1
	s_or_b64 exec, exec, s[48:49]
.LBB205_8:                              ;   in Loop: Header=BB205_3 Depth=1
	s_or_b64 exec, exec, s[46:47]
	v_lshl_add_u64 v[4:5], v[56:57], 0, s[26:27]
	v_mov_b32_e32 v8, v2
	v_mov_b32_e32 v9, v2
	v_cmp_gt_i64_e32 vcc, s[8:9], v[4:5]
	v_mov_b32_e32 v3, v2
	v_mov_b32_e32 v4, v2
	;; [unrolled: 1-line block ×5, first 2 shown]
	v_mov_b64_e32 v[18:19], v[8:9]
	v_mov_b64_e32 v[16:17], v[6:7]
	;; [unrolled: 1-line block ×5, first 2 shown]
	s_and_b64 s[48:49], s[6:7], vcc
	v_mov_b64_e32 v[8:9], v[6:7]
	v_mov_b64_e32 v[6:7], v[4:5]
	;; [unrolled: 1-line block ×3, first 2 shown]
	s_and_saveexec_b64 s[46:47], s[48:49]
	s_cbranch_execz .LBB205_10
; %bb.9:                                ;   in Loop: Header=BB205_3 Depth=1
	v_lshl_add_u64 v[4:5], v[24:25], 0, v[22:23]
	global_load_ushort v3, v[4:5], off
	v_lshl_add_u64 v[4:5], v[26:27], 0, v[22:23]
	global_load_ushort v12, v[4:5], off
	v_mov_b32_e32 v5, v2
	v_mov_b32_e32 v6, v2
	;; [unrolled: 1-line block ×14, first 2 shown]
	s_waitcnt vmcnt(1)
	v_lshlrev_b32_e32 v4, 16, v3
	s_waitcnt vmcnt(0)
	v_lshlrev_b32_e32 v12, 16, v12
.LBB205_10:                             ;   in Loop: Header=BB205_3 Depth=1
	s_or_b64 exec, exec, s[46:47]
	v_lshl_add_u64 v[62:63], v[56:57], 0, s[28:29]
	v_cmp_gt_i64_e32 vcc, s[8:9], v[62:63]
	s_and_b64 s[48:49], s[6:7], vcc
	s_and_saveexec_b64 s[46:47], s[48:49]
	s_cbranch_execz .LBB205_12
; %bb.11:                               ;   in Loop: Header=BB205_3 Depth=1
	v_lshl_add_u64 v[62:63], v[52:53], 0, v[22:23]
	global_load_ushort v3, v[62:63], off
	v_lshl_add_u64 v[62:63], v[54:55], 0, v[22:23]
	global_load_ushort v13, v[62:63], off
	s_waitcnt vmcnt(1)
	v_lshlrev_b32_e32 v5, 16, v3
	s_waitcnt vmcnt(0)
	v_lshlrev_b32_e32 v13, 16, v13
.LBB205_12:                             ;   in Loop: Header=BB205_3 Depth=1
	s_or_b64 exec, exec, s[46:47]
	v_lshl_add_u64 v[62:63], v[56:57], 0, s[30:31]
	v_cmp_gt_i64_e32 vcc, s[8:9], v[62:63]
	s_and_b64 s[48:49], s[6:7], vcc
	s_and_saveexec_b64 s[46:47], s[48:49]
	s_cbranch_execz .LBB205_14
; %bb.13:                               ;   in Loop: Header=BB205_3 Depth=1
	v_lshl_add_u64 v[62:63], v[48:49], 0, v[22:23]
	global_load_ushort v3, v[62:63], off
	v_lshl_add_u64 v[62:63], v[50:51], 0, v[22:23]
	global_load_ushort v14, v[62:63], off
	s_waitcnt vmcnt(1)
	v_lshlrev_b32_e32 v6, 16, v3
	s_waitcnt vmcnt(0)
	v_lshlrev_b32_e32 v14, 16, v14
.LBB205_14:                             ;   in Loop: Header=BB205_3 Depth=1
	;; [unrolled: 16-line block ×7, first 2 shown]
	s_or_b64 exec, exec, s[46:47]
	s_waitcnt vmcnt(0)
	ds_bpermute_b32 v3, v59, v61
	ds_bpermute_b32 v62, v59, v61 offset:4
	ds_bpermute_b32 v63, v59, v61 offset:8
	v_mul_f32_e32 v4, v12, v4
	v_pk_mul_f32 v[8:9], v[16:17], v[8:9]
	s_waitcnt lgkmcnt(2)
	v_fma_f32 v16, v4, v3, v60
	v_pk_mul_f32 v[6:7], v[14:15], v[6:7]
	v_mul_f32_e32 v3, v13, v5
	ds_bpermute_b32 v14, v59, v61 offset:12
	ds_bpermute_b32 v15, v59, v61 offset:16
	v_pk_mov_b32 v[12:13], v[2:3], v[6:7] op_sel:[1,0]
	v_pk_mov_b32 v[6:7], v[6:7], v[8:9] op_sel:[1,0]
	s_waitcnt lgkmcnt(2)
	v_pk_mul_f32 v[12:13], v[12:13], v[62:63]
	v_mul_f32_e32 v4, v18, v10
	v_add_f32_e32 v3, v16, v12
	v_add_f32_e32 v3, v3, v13
	ds_bpermute_b32 v12, v59, v61 offset:20
	ds_bpermute_b32 v13, v59, v61 offset:24
	s_waitcnt lgkmcnt(2)
	v_pk_mul_f32 v[6:7], v[6:7], v[14:15]
	s_mov_b64 s[46:47], 0
	v_add_f32_e32 v3, v3, v6
	v_add_f32_e32 v3, v3, v7
	v_pk_mov_b32 v[6:7], v[8:9], v[4:5] op_sel:[1,0]
	ds_bpermute_b32 v4, v59, v61 offset:28
	s_waitcnt lgkmcnt(1)
	v_pk_mul_f32 v[6:7], v[6:7], v[12:13]
	s_nop 0
	v_add_f32_e32 v3, v3, v6
	v_add_f32_e32 v3, v3, v7
.LBB205_25:                             ;   in Loop: Header=BB205_3 Depth=1
	s_and_b64 vcc, exec, s[46:47]
	s_cbranch_vccz .LBB205_40
; %bb.26:                               ;   in Loop: Header=BB205_3 Depth=1
	s_load_dword s46, s[20:21], 0x0
	v_mov_b32_e32 v61, 0
	s_waitcnt lgkmcnt(0)
	s_cmp_lt_u32 s2, s46
	s_cselect_b32 s46, 12, 18
	s_add_u32 s46, s20, s46
	s_addc_u32 s47, s21, 0
	global_load_ushort v3, v2, s[46:47]
	s_waitcnt vmcnt(0)
	v_mad_u32_u24 v3, v58, v3, v1
	v_and_b32_e32 v4, 63, v3
	v_cmp_gt_u32_e32 vcc, 8, v4
	s_and_saveexec_b64 s[46:47], vcc
	s_cbranch_execz .LBB205_30
; %bb.27:                               ;   in Loop: Header=BB205_3 Depth=1
	v_mov_b32_e32 v5, v2
	v_lshl_add_u64 v[4:5], v[56:57], 0, v[4:5]
	v_lshl_add_u64 v[4:5], v[4:5], 0, s[26:27]
	v_cmp_gt_i64_e32 vcc, s[8:9], v[4:5]
	v_mov_b32_e32 v61, 0
	s_and_saveexec_b64 s[48:49], vcc
	s_cbranch_execz .LBB205_29
; %bb.28:                               ;   in Loop: Header=BB205_3 Depth=1
	v_lshl_add_u64 v[4:5], v[4:5], 2, s[16:17]
	global_load_dword v61, v[4:5], off
.LBB205_29:                             ;   in Loop: Header=BB205_3 Depth=1
	s_or_b64 exec, exec, s[48:49]
.LBB205_30:                             ;   in Loop: Header=BB205_3 Depth=1
	s_or_b64 exec, exec, s[46:47]
	v_mov_b32_e32 v8, v2
	v_mov_b32_e32 v9, v2
	;; [unrolled: 1-line block ×7, first 2 shown]
	v_mov_b64_e32 v[18:19], v[8:9]
	v_mov_b64_e32 v[16:17], v[6:7]
	;; [unrolled: 1-line block ×8, first 2 shown]
	s_and_saveexec_b64 s[46:47], s[6:7]
	s_cbranch_execnz .LBB205_42
; %bb.31:                               ;   in Loop: Header=BB205_3 Depth=1
	s_or_b64 exec, exec, s[46:47]
	s_and_saveexec_b64 s[46:47], s[6:7]
	s_cbranch_execnz .LBB205_43
.LBB205_32:                             ;   in Loop: Header=BB205_3 Depth=1
	s_or_b64 exec, exec, s[46:47]
	s_and_saveexec_b64 s[46:47], s[6:7]
	s_cbranch_execnz .LBB205_44
.LBB205_33:                             ;   in Loop: Header=BB205_3 Depth=1
	s_or_b64 exec, exec, s[46:47]
	s_and_saveexec_b64 s[46:47], s[6:7]
	s_cbranch_execnz .LBB205_45
.LBB205_34:                             ;   in Loop: Header=BB205_3 Depth=1
	s_or_b64 exec, exec, s[46:47]
	s_and_saveexec_b64 s[46:47], s[6:7]
	s_cbranch_execnz .LBB205_46
.LBB205_35:                             ;   in Loop: Header=BB205_3 Depth=1
	s_or_b64 exec, exec, s[46:47]
	s_and_saveexec_b64 s[46:47], s[6:7]
	s_cbranch_execnz .LBB205_47
.LBB205_36:                             ;   in Loop: Header=BB205_3 Depth=1
	s_or_b64 exec, exec, s[46:47]
	s_and_saveexec_b64 s[46:47], s[6:7]
	s_cbranch_execnz .LBB205_48
.LBB205_37:                             ;   in Loop: Header=BB205_3 Depth=1
	s_or_b64 exec, exec, s[46:47]
	s_and_saveexec_b64 s[46:47], s[6:7]
	s_cbranch_execz .LBB205_39
.LBB205_38:                             ;   in Loop: Header=BB205_3 Depth=1
	v_lshl_add_u64 v[56:57], v[28:29], 0, v[22:23]
	global_load_ushort v3, v[56:57], off
	v_lshl_add_u64 v[56:57], v[30:31], 0, v[22:23]
	global_load_ushort v19, v[56:57], off
	s_waitcnt vmcnt(1)
	v_lshlrev_b32_e32 v11, 16, v3
	s_waitcnt vmcnt(0)
	v_lshlrev_b32_e32 v19, 16, v19
.LBB205_39:                             ;   in Loop: Header=BB205_3 Depth=1
	s_or_b64 exec, exec, s[46:47]
	s_waitcnt vmcnt(0)
	ds_bpermute_b32 v3, v59, v61
	ds_bpermute_b32 v56, v59, v61 offset:4
	ds_bpermute_b32 v57, v59, v61 offset:8
	v_mul_f32_e32 v4, v12, v4
	v_pk_mul_f32 v[6:7], v[14:15], v[6:7]
	s_waitcnt lgkmcnt(2)
	v_fmac_f32_e32 v60, v4, v3
	v_mul_f32_e32 v3, v13, v5
	v_pk_mov_b32 v[4:5], v[2:3], v[6:7] op_sel:[1,0]
	ds_bpermute_b32 v12, v59, v61 offset:12
	ds_bpermute_b32 v13, v59, v61 offset:16
	s_waitcnt lgkmcnt(2)
	v_pk_mul_f32 v[4:5], v[4:5], v[56:57]
	v_pk_mul_f32 v[8:9], v[16:17], v[8:9]
	v_add_f32_e32 v3, v60, v4
	v_add_f32_e32 v3, v3, v5
	v_pk_mov_b32 v[4:5], v[6:7], v[8:9] op_sel:[1,0]
	ds_bpermute_b32 v6, v59, v61 offset:20
	ds_bpermute_b32 v7, v59, v61 offset:24
	s_waitcnt lgkmcnt(2)
	v_pk_mul_f32 v[4:5], v[4:5], v[12:13]
	v_mul_f32_e32 v10, v18, v10
	v_add_f32_e32 v3, v3, v4
	ds_bpermute_b32 v4, v59, v61 offset:28
	v_pk_mov_b32 v[8:9], v[8:9], v[10:11] op_sel:[1,0]
	v_add_f32_e32 v3, v3, v5
	s_waitcnt lgkmcnt(1)
	v_pk_mul_f32 v[6:7], v[8:9], v[6:7]
	s_nop 0
	v_add_f32_e32 v3, v3, v6
	v_add_f32_e32 v3, v3, v7
.LBB205_40:                             ;   in Loop: Header=BB205_3 Depth=1
	v_mul_f32_e32 v5, v11, v19
	s_add_u32 s44, s44, s3
	s_waitcnt lgkmcnt(0)
	v_fmac_f32_e32 v3, v5, v4
	s_addc_u32 s45, s45, 0
	v_mov_b64_e32 v[4:5], s[8:9]
	s_add_u32 s24, s24, s3
	v_cmp_lt_i64_e32 vcc, s[44:45], v[4:5]
	v_lshl_add_u64 v[24:25], v[24:25], 0, s[22:23]
	v_lshl_add_u64 v[26:27], v[26:27], 0, s[22:23]
	;; [unrolled: 1-line block ×16, first 2 shown]
	s_addc_u32 s25, s25, 0
	s_cbranch_vccz .LBB205_50
; %bb.41:                               ;   in Loop: Header=BB205_3 Depth=1
	v_mov_b32_e32 v60, v3
	s_branch .LBB205_3
.LBB205_42:                             ;   in Loop: Header=BB205_3 Depth=1
	v_lshl_add_u64 v[4:5], v[24:25], 0, v[22:23]
	global_load_ushort v3, v[4:5], off
	v_lshl_add_u64 v[4:5], v[26:27], 0, v[22:23]
	global_load_ushort v12, v[4:5], off
	v_mov_b32_e32 v5, v2
	v_mov_b32_e32 v6, v2
	;; [unrolled: 1-line block ×14, first 2 shown]
	s_waitcnt vmcnt(1)
	v_lshlrev_b32_e32 v4, 16, v3
	s_waitcnt vmcnt(0)
	v_lshlrev_b32_e32 v12, 16, v12
	s_or_b64 exec, exec, s[46:47]
	s_and_saveexec_b64 s[46:47], s[6:7]
	s_cbranch_execz .LBB205_32
.LBB205_43:                             ;   in Loop: Header=BB205_3 Depth=1
	v_lshl_add_u64 v[56:57], v[52:53], 0, v[22:23]
	global_load_ushort v3, v[56:57], off
	v_lshl_add_u64 v[56:57], v[54:55], 0, v[22:23]
	global_load_ushort v13, v[56:57], off
	s_waitcnt vmcnt(1)
	v_lshlrev_b32_e32 v5, 16, v3
	s_waitcnt vmcnt(0)
	v_lshlrev_b32_e32 v13, 16, v13
	s_or_b64 exec, exec, s[46:47]
	s_and_saveexec_b64 s[46:47], s[6:7]
	s_cbranch_execz .LBB205_33
.LBB205_44:                             ;   in Loop: Header=BB205_3 Depth=1
	v_lshl_add_u64 v[56:57], v[48:49], 0, v[22:23]
	global_load_ushort v3, v[56:57], off
	v_lshl_add_u64 v[56:57], v[50:51], 0, v[22:23]
	global_load_ushort v14, v[56:57], off
	s_waitcnt vmcnt(1)
	v_lshlrev_b32_e32 v6, 16, v3
	s_waitcnt vmcnt(0)
	v_lshlrev_b32_e32 v14, 16, v14
	s_or_b64 exec, exec, s[46:47]
	s_and_saveexec_b64 s[46:47], s[6:7]
	s_cbranch_execz .LBB205_34
.LBB205_45:                             ;   in Loop: Header=BB205_3 Depth=1
	v_lshl_add_u64 v[56:57], v[44:45], 0, v[22:23]
	global_load_ushort v3, v[56:57], off
	v_lshl_add_u64 v[56:57], v[46:47], 0, v[22:23]
	global_load_ushort v15, v[56:57], off
	s_waitcnt vmcnt(1)
	v_lshlrev_b32_e32 v7, 16, v3
	s_waitcnt vmcnt(0)
	v_lshlrev_b32_e32 v15, 16, v15
	s_or_b64 exec, exec, s[46:47]
	s_and_saveexec_b64 s[46:47], s[6:7]
	s_cbranch_execz .LBB205_35
.LBB205_46:                             ;   in Loop: Header=BB205_3 Depth=1
	v_lshl_add_u64 v[56:57], v[40:41], 0, v[22:23]
	global_load_ushort v3, v[56:57], off
	v_lshl_add_u64 v[56:57], v[42:43], 0, v[22:23]
	global_load_ushort v16, v[56:57], off
	s_waitcnt vmcnt(1)
	v_lshlrev_b32_e32 v8, 16, v3
	s_waitcnt vmcnt(0)
	v_lshlrev_b32_e32 v16, 16, v16
	s_or_b64 exec, exec, s[46:47]
	s_and_saveexec_b64 s[46:47], s[6:7]
	s_cbranch_execz .LBB205_36
.LBB205_47:                             ;   in Loop: Header=BB205_3 Depth=1
	v_lshl_add_u64 v[56:57], v[36:37], 0, v[22:23]
	global_load_ushort v3, v[56:57], off
	v_lshl_add_u64 v[56:57], v[38:39], 0, v[22:23]
	global_load_ushort v17, v[56:57], off
	s_waitcnt vmcnt(1)
	v_lshlrev_b32_e32 v9, 16, v3
	s_waitcnt vmcnt(0)
	v_lshlrev_b32_e32 v17, 16, v17
	s_or_b64 exec, exec, s[46:47]
	s_and_saveexec_b64 s[46:47], s[6:7]
	s_cbranch_execz .LBB205_37
.LBB205_48:                             ;   in Loop: Header=BB205_3 Depth=1
	v_lshl_add_u64 v[56:57], v[32:33], 0, v[22:23]
	global_load_ushort v3, v[56:57], off
	v_lshl_add_u64 v[56:57], v[34:35], 0, v[22:23]
	global_load_ushort v18, v[56:57], off
	s_waitcnt vmcnt(1)
	v_lshlrev_b32_e32 v10, 16, v3
	s_waitcnt vmcnt(0)
	v_lshlrev_b32_e32 v18, 16, v18
	s_or_b64 exec, exec, s[46:47]
	s_and_saveexec_b64 s[46:47], s[6:7]
	s_cbranch_execnz .LBB205_38
	s_branch .LBB205_39
.LBB205_49:
                                        ; implicit-def: $vgpr3
	s_branch .LBB205_51
.LBB205_50:
	s_cbranch_execnz .LBB205_83
.LBB205_51:
	s_and_b64 vcc, exec, s[4:5]
	v_mov_b32_e32 v3, 0
	s_cbranch_vccnz .LBB205_83
; %bb.52:
	v_mov_b32_e32 v2, 0
	v_bfe_u32 v86, v0, 10, 10
	v_lshlrev_b32_e32 v6, 4, v86
	v_mov_b32_e32 v7, v2
	v_lshl_add_u64 v[6:7], s[18:19], 1, v[6:7]
	v_lshl_add_u64 v[8:9], v[6:7], 0, 2
	v_mov_b64_e32 v[10:11], s[12:13]
	v_lshl_add_u64 v[12:13], v[6:7], 0, 4
	v_lshl_add_u64 v[14:15], v[6:7], 0, 6
	;; [unrolled: 1-line block ×6, first 2 shown]
	v_mad_u64_u32 v[22:23], s[4:5], s10, v8, v[10:11]
	v_mad_u64_u32 v[24:25], s[4:5], s10, v12, v[10:11]
	;; [unrolled: 1-line block ×7, first 2 shown]
	v_mov_b64_e32 v[10:11], s[14:15]
	v_mul_lo_u32 v9, s10, v9
	v_mul_lo_u32 v38, s11, v8
	v_mad_u64_u32 v[36:37], s[4:5], s10, v8, v[10:11]
	v_add3_u32 v23, v38, v23, v9
	v_mul_lo_u32 v13, s10, v13
	v_mul_lo_u32 v40, s11, v12
	v_add3_u32 v37, v38, v37, v9
	v_mad_u64_u32 v[38:39], s[4:5], s10, v12, v[10:11]
	v_add3_u32 v25, v40, v25, v13
	v_mul_lo_u32 v15, s10, v15
	v_mul_lo_u32 v42, s11, v14
	v_add3_u32 v39, v40, v39, v13
	;; [unrolled: 5-line block ×3, first 2 shown]
	v_mad_u64_u32 v[42:43], s[4:5], s10, v16, v[10:11]
	v_lshlrev_b32_e32 v20, 3, v86
	v_mov_b32_e32 v21, v2
	v_add3_u32 v29, v44, v29, v17
	v_mul_lo_u32 v19, s10, v19
	v_mul_lo_u32 v48, s11, v18
	;; [unrolled: 1-line block ×4, first 2 shown]
	v_add3_u32 v43, v44, v43, v17
	v_mad_u64_u32 v[44:45], s[4:5], s10, v18, v[10:11]
	v_mad_u64_u32 v[46:47], s[4:5], s10, v46, v[10:11]
	v_lshl_add_u64 v[4:5], v[20:21], 0, s[18:19]
	v_add3_u32 v31, v48, v31, v19
	v_add3_u32 v33, v51, v33, v49
	v_mul_lo_u32 v7, s10, v7
	v_mul_lo_u32 v8, s11, v6
	v_add3_u32 v45, v48, v45, v19
	v_add3_u32 v47, v51, v47, v49
	v_mad_u64_u32 v[48:49], s[4:5], s10, v6, v[10:11]
	v_add3_u32 v35, v8, v35, v7
	v_add3_u32 v49, v8, v49, v7
	v_lshl_add_u64 v[6:7], v[4:5], 0, 7
	v_mul_lo_u32 v8, s11, v6
	v_mul_lo_u32 v9, s10, v7
	v_mad_u64_u32 v[6:7], s[4:5], s10, v6, 0
	v_add3_u32 v7, v7, v9, v8
	v_lshl_add_u64 v[8:9], v[4:5], 0, 6
	v_mul_lo_u32 v10, s11, v8
	v_mul_lo_u32 v11, s10, v9
	v_mad_u64_u32 v[8:9], s[4:5], s10, v8, 0
	;; [unrolled: 5-line block ×5, first 2 shown]
	v_add3_u32 v15, v15, v17, v16
	v_lshl_add_u64 v[16:17], v[4:5], 0, 2
	v_mul_lo_u32 v50, s10, v5
	v_mul_lo_u32 v5, s11, v16
	;; [unrolled: 1-line block ×3, first 2 shown]
	v_mad_u64_u32 v[16:17], s[4:5], s10, v16, 0
	v_add3_u32 v17, v17, v18, v5
	v_mov_b64_e32 v[18:19], s[10:11]
	v_mul_lo_u32 v3, s11, v4
	v_mad_u64_u32 v[18:19], s[4:5], s10, v4, v[18:19]
	v_mad_u64_u32 v[4:5], s[4:5], s10, v4, 0
	s_load_dword s3, s[0:1], 0x44
	v_add3_u32 v5, v5, v50, v3
	v_lshlrev_b64 v[4:5], 1, v[4:5]
	v_lshl_add_u64 v[52:53], s[12:13], 0, v[4:5]
	v_lshl_add_u64 v[54:55], s[14:15], 0, v[4:5]
	v_lshlrev_b64 v[4:5], 1, v[6:7]
	v_lshl_add_u64 v[56:57], s[12:13], 0, v[4:5]
	v_lshl_add_u64 v[58:59], s[14:15], 0, v[4:5]
	v_lshlrev_b64 v[4:5], 1, v[8:9]
	s_add_u32 s4, s0, 64
	v_lshl_add_u64 v[60:61], s[12:13], 0, v[4:5]
	v_lshl_add_u64 v[62:63], s[14:15], 0, v[4:5]
	v_lshlrev_b64 v[4:5], 1, v[10:11]
	s_addc_u32 s5, s1, 0
	s_waitcnt lgkmcnt(0)
	s_lshl_b32 s3, s3, 7
	v_lshl_add_u64 v[64:65], s[12:13], 0, v[4:5]
	v_lshl_add_u64 v[66:67], s[14:15], 0, v[4:5]
	v_lshlrev_b64 v[4:5], 1, v[12:13]
	s_mul_i32 s6, s11, s3
	s_mul_hi_u32 s7, s10, s3
	v_lshl_add_u64 v[68:69], s[12:13], 0, v[4:5]
	v_lshl_add_u64 v[70:71], s[14:15], 0, v[4:5]
	v_lshlrev_b64 v[4:5], 1, v[14:15]
	v_add3_u32 v19, v3, v19, v50
	s_add_i32 s7, s7, s6
	s_mul_i32 s6, s10, s3
	v_lshl_add_u64 v[72:73], s[12:13], 0, v[4:5]
	v_lshl_add_u64 v[74:75], s[14:15], 0, v[4:5]
	v_lshlrev_b64 v[4:5], 1, v[16:17]
	v_mbcnt_lo_u32_b32 v3, -1, 0
	v_and_b32_e32 v1, 0x3ff, v0
	s_lshl_b64 s[6:7], s[6:7], 1
	v_lshl_add_u64 v[76:77], s[12:13], 0, v[4:5]
	v_lshl_add_u64 v[78:79], s[14:15], 0, v[4:5]
	v_lshlrev_b64 v[4:5], 1, v[18:19]
	v_mbcnt_hi_u32_b32 v3, -1, v3
	v_add_u32_e32 v50, s33, v1
	v_mov_b32_e32 v51, v2
	s_add_u32 s20, s18, 0x7f
	v_lshl_add_u64 v[80:81], s[12:13], 0, v[4:5]
	v_lshl_add_u64 v[82:83], s[14:15], 0, v[4:5]
	s_movk_i32 s12, 0xff81
	s_movk_i32 s14, 0xff82
	;; [unrolled: 1-line block ×8, first 2 shown]
	v_lshlrev_b32_e32 v3, 2, v3
	v_lshlrev_b64 v[50:51], 1, v[50:51]
	s_addc_u32 s21, 0, 0
	s_mov_b32 s13, -1
	s_mov_b32 s15, -1
	;; [unrolled: 1-line block ×8, first 2 shown]
	v_and_b32_e32 v87, 0x100, v3
	v_mov_b32_e32 v88, 0
.LBB205_53:                             ; =>This Inner Loop Header: Depth=1
	v_mov_b64_e32 v[4:5], s[8:9]
	v_cmp_ge_i64_e32 vcc, s[20:21], v[4:5]
	v_lshl_add_u64 v[84:85], v[20:21], 0, s[20:21]
	s_mov_b64 s[36:37], -1
                                        ; implicit-def: $vgpr3
	s_cbranch_vccz .LBB205_75
; %bb.54:                               ;   in Loop: Header=BB205_53 Depth=1
	s_load_dword s33, s[4:5], 0xc
	v_mov_b32_e32 v89, 0
	s_waitcnt lgkmcnt(0)
	s_and_b32 s33, s33, 0xffff
	v_mad_u32_u24 v3, v86, s33, v1
	v_and_b32_e32 v4, 63, v3
	v_cmp_gt_u32_e32 vcc, 8, v4
	s_and_saveexec_b64 s[36:37], vcc
	s_cbranch_execz .LBB205_58
; %bb.55:                               ;   in Loop: Header=BB205_53 Depth=1
	v_mov_b32_e32 v5, v2
	v_lshl_add_u64 v[4:5], v[84:85], 0, v[4:5]
	v_lshl_add_u64 v[4:5], v[4:5], 0, s[12:13]
	v_cmp_gt_i64_e32 vcc, s[8:9], v[4:5]
	v_mov_b32_e32 v89, 0
	s_and_saveexec_b64 s[38:39], vcc
	s_cbranch_execz .LBB205_57
; %bb.56:                               ;   in Loop: Header=BB205_53 Depth=1
	v_lshl_add_u64 v[4:5], v[4:5], 2, s[16:17]
	global_load_dword v89, v[4:5], off
.LBB205_57:                             ;   in Loop: Header=BB205_53 Depth=1
	s_or_b64 exec, exec, s[38:39]
.LBB205_58:                             ;   in Loop: Header=BB205_53 Depth=1
	s_or_b64 exec, exec, s[36:37]
	v_lshl_add_u64 v[4:5], v[84:85], 0, s[12:13]
	v_mov_b32_e32 v8, v2
	v_mov_b32_e32 v9, v2
	v_cmp_gt_i64_e32 vcc, s[8:9], v[4:5]
	v_mov_b32_e32 v3, v2
	v_mov_b32_e32 v4, v2
	v_mov_b32_e32 v5, v2
	v_mov_b32_e32 v6, v2
	v_mov_b32_e32 v7, v2
	v_mov_b64_e32 v[18:19], v[8:9]
	v_mov_b64_e32 v[16:17], v[6:7]
	;; [unrolled: 1-line block ×8, first 2 shown]
	s_and_saveexec_b64 s[36:37], vcc
	s_cbranch_execz .LBB205_60
; %bb.59:                               ;   in Loop: Header=BB205_53 Depth=1
	v_lshl_add_u64 v[4:5], v[52:53], 0, v[50:51]
	global_load_ushort v3, v[4:5], off
	v_lshl_add_u64 v[4:5], v[54:55], 0, v[50:51]
	global_load_ushort v12, v[4:5], off
	v_mov_b32_e32 v5, v2
	v_mov_b32_e32 v6, v2
	;; [unrolled: 1-line block ×14, first 2 shown]
	s_waitcnt vmcnt(1)
	v_lshlrev_b32_e32 v4, 16, v3
	s_waitcnt vmcnt(0)
	v_lshlrev_b32_e32 v12, 16, v12
.LBB205_60:                             ;   in Loop: Header=BB205_53 Depth=1
	s_or_b64 exec, exec, s[36:37]
	v_lshl_add_u64 v[90:91], v[84:85], 0, s[14:15]
	v_cmp_gt_i64_e32 vcc, s[8:9], v[90:91]
	s_and_saveexec_b64 s[36:37], vcc
	s_cbranch_execz .LBB205_62
; %bb.61:                               ;   in Loop: Header=BB205_53 Depth=1
	v_lshl_add_u64 v[90:91], v[80:81], 0, v[50:51]
	global_load_ushort v3, v[90:91], off
	v_lshl_add_u64 v[90:91], v[82:83], 0, v[50:51]
	global_load_ushort v13, v[90:91], off
	s_waitcnt vmcnt(1)
	v_lshlrev_b32_e32 v5, 16, v3
	s_waitcnt vmcnt(0)
	v_lshlrev_b32_e32 v13, 16, v13
.LBB205_62:                             ;   in Loop: Header=BB205_53 Depth=1
	s_or_b64 exec, exec, s[36:37]
	v_lshl_add_u64 v[90:91], v[84:85], 0, s[22:23]
	v_cmp_gt_i64_e32 vcc, s[8:9], v[90:91]
	s_and_saveexec_b64 s[36:37], vcc
	s_cbranch_execz .LBB205_64
; %bb.63:                               ;   in Loop: Header=BB205_53 Depth=1
	v_lshl_add_u64 v[90:91], v[76:77], 0, v[50:51]
	global_load_ushort v3, v[90:91], off
	v_lshl_add_u64 v[90:91], v[78:79], 0, v[50:51]
	global_load_ushort v14, v[90:91], off
	s_waitcnt vmcnt(1)
	v_lshlrev_b32_e32 v6, 16, v3
	s_waitcnt vmcnt(0)
	v_lshlrev_b32_e32 v14, 16, v14
.LBB205_64:                             ;   in Loop: Header=BB205_53 Depth=1
	;; [unrolled: 15-line block ×7, first 2 shown]
	s_or_b64 exec, exec, s[36:37]
	s_waitcnt vmcnt(0)
	ds_bpermute_b32 v90, v87, v89
	ds_bpermute_b32 v91, v87, v89 offset:4
	v_pk_mul_f32 v[6:7], v[14:15], v[6:7]
	ds_bpermute_b32 v14, v87, v89 offset:8
	ds_bpermute_b32 v15, v87, v89 offset:12
	v_pk_mul_f32 v[4:5], v[12:13], v[4:5]
	ds_bpermute_b32 v12, v87, v89 offset:24
	s_waitcnt lgkmcnt(3)
	v_pk_mul_f32 v[4:5], v[4:5], v[90:91]
	ds_bpermute_b32 v13, v87, v89 offset:28
	v_add_f32_e32 v3, v88, v4
	v_add_f32_e32 v3, v3, v5
	s_waitcnt lgkmcnt(2)
	v_pk_mul_f32 v[4:5], v[6:7], v[14:15]
	ds_bpermute_b32 v6, v87, v89 offset:16
	ds_bpermute_b32 v7, v87, v89 offset:20
	v_pk_mul_f32 v[8:9], v[16:17], v[8:9]
	v_add_f32_e32 v3, v3, v4
	v_add_f32_e32 v3, v3, v5
	v_pk_mul_f32 v[10:11], v[18:19], v[10:11]
	s_waitcnt lgkmcnt(0)
	v_pk_mul_f32 v[4:5], v[8:9], v[6:7]
	s_mov_b64 s[36:37], 0
	v_add_f32_e32 v3, v3, v4
	v_add_f32_e32 v3, v3, v5
	v_pk_mul_f32 v[4:5], v[10:11], v[12:13]
	s_nop 0
	v_add_f32_e32 v3, v3, v4
	v_add_f32_e32 v3, v3, v5
.LBB205_75:                             ;   in Loop: Header=BB205_53 Depth=1
	s_and_b64 vcc, exec, s[36:37]
	s_cbranch_vccz .LBB205_81
; %bb.76:                               ;   in Loop: Header=BB205_53 Depth=1
	s_load_dword s33, s[4:5], 0x0
	s_waitcnt lgkmcnt(0)
	s_cmp_lt_u32 s2, s33
	s_cselect_b32 s33, 12, 18
	s_add_u32 s36, s4, s33
	s_addc_u32 s37, s5, 0
	global_load_ushort v3, v2, s[36:37]
	s_waitcnt vmcnt(0)
	v_mad_u32_u24 v3, v86, v3, v1
	v_and_b32_e32 v4, 63, v3
	v_cmp_gt_u32_e32 vcc, 8, v4
	v_mov_b32_e32 v3, 0
	s_and_saveexec_b64 s[36:37], vcc
	s_cbranch_execz .LBB205_80
; %bb.77:                               ;   in Loop: Header=BB205_53 Depth=1
	v_mov_b32_e32 v5, v2
	v_lshl_add_u64 v[4:5], v[84:85], 0, v[4:5]
	v_lshl_add_u64 v[4:5], v[4:5], 0, s[12:13]
	v_cmp_gt_i64_e32 vcc, s[8:9], v[4:5]
	v_mov_b32_e32 v3, 0
	s_and_saveexec_b64 s[38:39], vcc
	s_cbranch_execz .LBB205_79
; %bb.78:                               ;   in Loop: Header=BB205_53 Depth=1
	v_lshl_add_u64 v[4:5], v[4:5], 2, s[16:17]
	global_load_dword v3, v[4:5], off
.LBB205_79:                             ;   in Loop: Header=BB205_53 Depth=1
	s_or_b64 exec, exec, s[38:39]
.LBB205_80:                             ;   in Loop: Header=BB205_53 Depth=1
	s_or_b64 exec, exec, s[36:37]
	v_lshl_add_u64 v[8:9], v[22:23], 0, v[50:51]
	v_lshl_add_u64 v[94:95], v[44:45], 0, v[50:51]
	;; [unrolled: 1-line block ×16, first 2 shown]
	global_load_ushort v89, v[8:9], off
	global_load_ushort v104, v[4:5], off
	global_load_ushort v105, v[10:11], off
	global_load_ushort v106, v[6:7], off
	global_load_ushort v107, v[16:17], off
	global_load_ushort v108, v[12:13], off
	global_load_ushort v109, v[18:19], off
	global_load_ushort v110, v[14:15], off
	global_load_ushort v111, v[92:93], off
	global_load_ushort v112, v[84:85], off
	global_load_ushort v113, v[94:95], off
	global_load_ushort v114, v[90:91], off
	global_load_ushort v115, v[100:101], off
	global_load_ushort v116, v[96:97], off
	global_load_ushort v117, v[102:103], off
                                        ; kill: killed $vgpr8_vgpr9
                                        ; kill: killed $vgpr100_vgpr101
                                        ; kill: killed $vgpr18_vgpr19
                                        ; kill: killed $vgpr4_vgpr5
                                        ; kill: killed $vgpr96_vgpr97
                                        ; kill: killed $vgpr14_vgpr15
                                        ; kill: killed $vgpr92_vgpr93
                                        ; kill: killed $vgpr10_vgpr11
                                        ; kill: killed $vgpr102_vgpr103
                                        ; kill: killed $vgpr84_vgpr85
                                        ; kill: killed $vgpr6_vgpr7
                                        ; kill: killed $vgpr16_vgpr17
                                        ; kill: killed $vgpr94_vgpr95
                                        ; kill: killed $vgpr12_vgpr13
                                        ; kill: killed $vgpr90_vgpr91
	s_nop 0
	global_load_ushort v94, v[98:99], off
	s_waitcnt vmcnt(16)
	ds_bpermute_b32 v4, v87, v3
	ds_bpermute_b32 v5, v87, v3 offset:4
	ds_bpermute_b32 v6, v87, v3 offset:8
	;; [unrolled: 1-line block ×7, first 2 shown]
	s_waitcnt vmcnt(15)
	v_lshlrev_b32_e32 v13, 16, v89
	s_waitcnt vmcnt(14)
	v_lshlrev_b32_e32 v12, 16, v104
	;; [unrolled: 2-line block ×4, first 2 shown]
	v_pk_mul_f32 v[12:13], v[12:13], v[14:15]
	s_waitcnt vmcnt(11)
	v_lshlrev_b32_e32 v17, 16, v107
	s_waitcnt vmcnt(10)
	v_lshlrev_b32_e32 v16, 16, v108
	;; [unrolled: 2-line block ×4, first 2 shown]
	s_waitcnt lgkmcnt(6)
	v_pk_mul_f32 v[4:5], v[12:13], v[4:5]
	v_pk_mul_f32 v[14:15], v[16:17], v[18:19]
	v_add_f32_e32 v3, v88, v4
	s_waitcnt vmcnt(7)
	v_lshlrev_b32_e32 v85, 16, v111
	s_waitcnt vmcnt(6)
	v_lshlrev_b32_e32 v84, 16, v112
	;; [unrolled: 2-line block ×4, first 2 shown]
	s_waitcnt lgkmcnt(4)
	v_pk_mul_f32 v[6:7], v[14:15], v[6:7]
	v_add_f32_e32 v3, v3, v5
	v_pk_mul_f32 v[16:17], v[84:85], v[90:91]
	v_add_f32_e32 v3, v3, v6
	s_waitcnt vmcnt(3)
	v_lshlrev_b32_e32 v93, 16, v115
	s_waitcnt vmcnt(2)
	v_lshlrev_b32_e32 v92, 16, v116
	;; [unrolled: 2-line block ×3, first 2 shown]
	s_waitcnt lgkmcnt(2)
	v_pk_mul_f32 v[8:9], v[16:17], v[8:9]
	v_add_f32_e32 v3, v3, v7
	v_add_f32_e32 v3, v3, v8
	;; [unrolled: 1-line block ×3, first 2 shown]
	s_waitcnt vmcnt(0)
	v_lshlrev_b32_e32 v94, 16, v94
	v_pk_mul_f32 v[18:19], v[92:93], v[94:95]
	s_waitcnt lgkmcnt(0)
	v_pk_mul_f32 v[4:5], v[18:19], v[10:11]
	s_nop 0
	v_add_f32_e32 v3, v3, v4
	v_add_f32_e32 v3, v3, v5
.LBB205_81:                             ;   in Loop: Header=BB205_53 Depth=1
	s_add_u32 s18, s18, s3
	s_addc_u32 s19, s19, 0
	v_mov_b64_e32 v[4:5], s[8:9]
	s_add_u32 s20, s20, s3
	v_cmp_ge_i64_e32 vcc, s[18:19], v[4:5]
	v_lshl_add_u64 v[52:53], v[52:53], 0, s[6:7]
	v_lshl_add_u64 v[54:55], v[54:55], 0, s[6:7]
	s_addc_u32 s21, s21, 0
	v_lshl_add_u64 v[22:23], v[22:23], 0, s[6:7]
	v_lshl_add_u64 v[24:25], v[24:25], 0, s[6:7]
	;; [unrolled: 1-line block ×28, first 2 shown]
	s_cbranch_vccnz .LBB205_83
; %bb.82:                               ;   in Loop: Header=BB205_53 Depth=1
	v_mov_b32_e32 v88, v3
	s_branch .LBB205_53
.LBB205_83:
	v_and_b32_e32 v1, 0x3ff, v0
	v_bfe_u32 v0, v0, 10, 10
	v_mad_u32_u24 v2, v0, 33, v1
	v_lshl_add_u32 v4, v2, 2, 0
	v_sub_u32_e32 v5, v2, v0
	s_movk_i32 s3, 0x800
	ds_write_b32 v4, v3
	v_mov_b32_e32 v3, 0
	v_cmp_gt_u32_e32 vcc, s3, v5
	ds_write_b32 v4, v3 offset:2112
	s_waitcnt lgkmcnt(0)
	s_barrier
	s_and_saveexec_b64 s[4:5], vcc
	s_cbranch_execz .LBB205_103
; %bb.84:
	s_load_dwordx2 s[4:5], s[0:1], 0x30
	v_and_b32_e32 v2, 63, v5
	v_lshrrev_b32_e32 v0, 6, v5
	v_cmp_gt_u32_e64 s[0:1], 16, v2
	v_mul_u32_u24_e32 v4, 33, v2
                                        ; implicit-def: $vgpr2
	s_and_saveexec_b64 s[6:7], s[0:1]
; %bb.85:
	v_lshlrev_b32_e32 v2, 2, v0
	v_lshlrev_b32_e32 v3, 2, v4
	v_add3_u32 v2, 0, v2, v3
	ds_read_b32 v2, v2
; %bb.86:
	s_or_b64 exec, exec, s[6:7]
	v_mbcnt_lo_u32_b32 v3, -1, 0
	v_mbcnt_hi_u32_b32 v3, -1, v3
	v_and_b32_e32 v6, 64, v3
	v_add_u32_e32 v9, 64, v6
	v_xor_b32_e32 v6, 8, v3
	v_cmp_lt_i32_e32 vcc, v6, v9
	v_xor_b32_e32 v8, 4, v3
	v_xor_b32_e32 v10, 2, v3
	v_cndmask_b32_e32 v6, v3, v6, vcc
	v_lshlrev_b32_e32 v6, 2, v6
	s_waitcnt lgkmcnt(0)
	ds_bpermute_b32 v7, v6, v2
	v_cmp_lt_i32_e32 vcc, v8, v9
	v_xor_b32_e32 v11, 1, v3
	s_mov_b32 s3, 0
	s_lshl_b64 s[6:7], s[2:3], 5
	s_waitcnt lgkmcnt(0)
	v_add_f32_e32 v2, v2, v7
	v_cndmask_b32_e32 v7, v3, v8, vcc
	v_lshlrev_b32_e32 v7, 2, v7
	ds_bpermute_b32 v8, v7, v2
	v_cmp_lt_i32_e32 vcc, v10, v9
	v_cmp_ne_u32_e64 s[2:3], 0, v1
	s_cmp_eq_u64 s[4:5], 0
	s_cselect_b64 s[8:9], -1, 0
	s_waitcnt lgkmcnt(0)
	v_add_f32_e32 v2, v2, v8
	v_cndmask_b32_e32 v8, v3, v10, vcc
	v_lshlrev_b32_e32 v8, 2, v8
	ds_bpermute_b32 v10, v8, v2
	v_cmp_lt_i32_e32 vcc, v11, v9
	s_waitcnt lgkmcnt(0)
	v_add_f32_e32 v2, v2, v10
	v_cndmask_b32_e32 v3, v3, v11, vcc
	v_lshlrev_b32_e32 v9, 2, v3
	ds_bpermute_b32 v3, v9, v2
	s_waitcnt lgkmcnt(0)
	v_add_f32_e32 v10, v2, v3
	v_or_b32_e32 v2, s6, v0
	v_mov_b32_e32 v3, s7
	v_cmp_le_i64_e32 vcc, s[10:11], v[2:3]
	s_or_b64 s[12:13], s[2:3], vcc
	s_nor_b64 s[14:15], s[8:9], s[12:13]
	s_and_saveexec_b64 s[12:13], s[14:15]
	s_cbranch_execz .LBB205_88
; %bb.87:
	v_bfe_u32 v1, v10, 16, 1
	s_movk_i32 s14, 0x7fff
	v_add3_u32 v1, v10, v1, s14
	v_cmp_o_f32_e32 vcc, v10, v10
	v_mov_b32_e32 v11, 0x7fc0
	v_lshl_add_u64 v[2:3], v[2:3], 1, s[4:5]
	v_cndmask_b32_sdwa v1, v11, v1, vcc dst_sel:DWORD dst_unused:UNUSED_PAD src0_sel:DWORD src1_sel:WORD_1
	global_store_short v[2:3], v1, off
.LBB205_88:
	s_or_b64 exec, exec, s[12:13]
	s_movk_i32 s12, 0x600
	v_cmp_gt_u32_e32 vcc, s12, v5
	s_and_b64 exec, exec, vcc
	s_cbranch_execz .LBB205_103
; %bb.89:
	v_mov_b32_e32 v1, 0
	s_and_saveexec_b64 s[12:13], s[0:1]
; %bb.90:
	v_lshlrev_b32_e32 v2, 2, v0
	v_lshlrev_b32_e32 v3, 2, v4
	v_add3_u32 v2, 0, v2, v3
	ds_read_b32 v10, v2 offset:32
; %bb.91:
	s_or_b64 exec, exec, s[12:13]
	s_waitcnt lgkmcnt(0)
	ds_bpermute_b32 v2, v6, v10
	s_waitcnt lgkmcnt(0)
	v_add_f32_e32 v2, v10, v2
	ds_bpermute_b32 v3, v7, v2
	s_waitcnt lgkmcnt(0)
	v_add_f32_e32 v3, v2, v3
	ds_bpermute_b32 v10, v8, v3
	v_add_u32_e32 v2, 8, v0
	s_waitcnt lgkmcnt(0)
	v_add_f32_e32 v10, v3, v10
	ds_bpermute_b32 v11, v9, v10
	v_mov_b32_e32 v3, v1
	v_lshl_add_u64 v[2:3], s[6:7], 0, v[2:3]
	v_cmp_le_i64_e32 vcc, s[10:11], v[2:3]
	s_or_b64 s[12:13], s[2:3], vcc
	s_waitcnt lgkmcnt(0)
	v_add_f32_e32 v2, v10, v11
	s_nor_b64 s[14:15], s[8:9], s[12:13]
	s_and_saveexec_b64 s[12:13], s[14:15]
	s_cbranch_execz .LBB205_93
; %bb.92:
	v_bfe_u32 v3, v2, 16, 1
	s_movk_i32 s14, 0x7fff
	v_add3_u32 v3, v2, v3, s14
	v_cmp_o_f32_e32 vcc, v2, v2
	v_mov_b32_e32 v10, 0x7fc0
	s_nop 0
	v_cndmask_b32_sdwa v3, v10, v3, vcc dst_sel:DWORD dst_unused:UNUSED_PAD src0_sel:DWORD src1_sel:WORD_1
	v_lshl_add_u64 v[10:11], s[6:7], 0, v[0:1]
	v_lshl_add_u64 v[10:11], v[10:11], 1, s[4:5]
	global_store_short v[10:11], v3, off offset:16
.LBB205_93:
	s_or_b64 exec, exec, s[12:13]
	s_movk_i32 s12, 0x400
	v_cmp_gt_u32_e32 vcc, s12, v5
	s_and_b64 exec, exec, vcc
	s_cbranch_execz .LBB205_103
; %bb.94:
	s_and_saveexec_b64 s[12:13], s[0:1]
; %bb.95:
	v_lshlrev_b32_e32 v2, 2, v0
	v_lshlrev_b32_e32 v3, 2, v4
	v_add3_u32 v2, 0, v2, v3
	ds_read_b32 v2, v2 offset:64
; %bb.96:
	s_or_b64 exec, exec, s[12:13]
	s_waitcnt lgkmcnt(0)
	ds_bpermute_b32 v3, v6, v2
	v_add_u32_e32 v10, 16, v0
	s_waitcnt lgkmcnt(0)
	v_add_f32_e32 v2, v2, v3
	ds_bpermute_b32 v3, v7, v2
	s_waitcnt lgkmcnt(0)
	v_add_f32_e32 v2, v2, v3
	ds_bpermute_b32 v3, v8, v2
	;; [unrolled: 3-line block ×3, first 2 shown]
	v_mov_b32_e32 v3, s7
	v_or_b32_e32 v2, s6, v10
	v_cmp_le_i64_e32 vcc, s[10:11], v[2:3]
	s_or_b64 s[12:13], s[2:3], vcc
	s_waitcnt lgkmcnt(0)
	v_add_f32_e32 v2, v11, v12
	s_nor_b64 s[14:15], s[8:9], s[12:13]
	s_and_saveexec_b64 s[12:13], s[14:15]
	s_cbranch_execz .LBB205_98
; %bb.97:
	v_bfe_u32 v3, v2, 16, 1
	s_movk_i32 s14, 0x7fff
	v_add3_u32 v3, v2, v3, s14
	v_cmp_o_f32_e32 vcc, v2, v2
	v_mov_b32_e32 v10, 0x7fc0
	s_nop 0
	v_cndmask_b32_sdwa v3, v10, v3, vcc dst_sel:DWORD dst_unused:UNUSED_PAD src0_sel:DWORD src1_sel:WORD_1
	v_lshl_add_u64 v[10:11], s[6:7], 0, v[0:1]
	v_lshl_add_u64 v[10:11], v[10:11], 1, s[4:5]
	global_store_short v[10:11], v3, off offset:32
.LBB205_98:
	s_or_b64 exec, exec, s[12:13]
	s_movk_i32 s12, 0x200
	v_cmp_gt_u32_e32 vcc, s12, v5
	s_and_b64 exec, exec, vcc
	s_cbranch_execz .LBB205_103
; %bb.99:
	s_and_saveexec_b64 s[12:13], s[0:1]
; %bb.100:
	v_lshlrev_b32_e32 v2, 2, v0
	v_lshlrev_b32_e32 v3, 2, v4
	v_add3_u32 v2, 0, v2, v3
	ds_read_b32 v2, v2 offset:96
; %bb.101:
	s_or_b64 exec, exec, s[12:13]
	s_waitcnt lgkmcnt(0)
	ds_bpermute_b32 v3, v6, v2
	v_add_u32_e32 v4, 24, v0
	v_or_b32_e32 v4, s6, v4
	v_mov_b32_e32 v5, s7
	v_cmp_le_i64_e32 vcc, s[10:11], v[4:5]
	s_waitcnt lgkmcnt(0)
	v_add_f32_e32 v2, v2, v3
	ds_bpermute_b32 v3, v7, v2
	s_or_b64 s[0:1], s[2:3], vcc
	s_nor_b64 s[0:1], s[8:9], s[0:1]
	s_waitcnt lgkmcnt(0)
	v_add_f32_e32 v2, v2, v3
	ds_bpermute_b32 v3, v8, v2
	s_waitcnt lgkmcnt(0)
	v_add_f32_e32 v2, v2, v3
	ds_bpermute_b32 v3, v9, v2
	s_and_saveexec_b64 s[2:3], s[0:1]
	s_xor_b64 s[2:3], exec, s[2:3]
	s_cbranch_execz .LBB205_103
; %bb.102:
	s_waitcnt lgkmcnt(0)
	v_add_f32_e32 v2, v2, v3
	v_bfe_u32 v3, v2, 16, 1
	s_movk_i32 s0, 0x7fff
	v_add3_u32 v3, v2, v3, s0
	v_cmp_o_f32_e32 vcc, v2, v2
	v_mov_b32_e32 v2, 0x7fc0
	v_lshl_add_u64 v[0:1], s[6:7], 0, v[0:1]
	v_cndmask_b32_sdwa v2, v2, v3, vcc dst_sel:DWORD dst_unused:UNUSED_PAD src0_sel:DWORD src1_sel:WORD_1
	v_lshl_add_u64 v[0:1], v[0:1], 1, s[4:5]
	global_store_short v[0:1], v2, off offset:48
.LBB205_103:
	s_endpgm
	.section	.rodata,"a",@progbits
	.p2align	6, 0x0
	.amdhsa_kernel _ZN2at6native12_GLOBAL__N_135GammaBetaBackwardCUDAKernelTemplateIN3c108BFloat16EfLj32ELj16ELj128ELb0ELb0ELb1EEEvllPKT_S7_PKT0_SA_PS5_SB_
		.amdhsa_group_segment_fixed_size 0
		.amdhsa_private_segment_fixed_size 0
		.amdhsa_kernarg_size 320
		.amdhsa_user_sgpr_count 2
		.amdhsa_user_sgpr_dispatch_ptr 0
		.amdhsa_user_sgpr_queue_ptr 0
		.amdhsa_user_sgpr_kernarg_segment_ptr 1
		.amdhsa_user_sgpr_dispatch_id 0
		.amdhsa_user_sgpr_kernarg_preload_length 0
		.amdhsa_user_sgpr_kernarg_preload_offset 0
		.amdhsa_user_sgpr_private_segment_size 0
		.amdhsa_uses_dynamic_stack 0
		.amdhsa_enable_private_segment 0
		.amdhsa_system_sgpr_workgroup_id_x 1
		.amdhsa_system_sgpr_workgroup_id_y 1
		.amdhsa_system_sgpr_workgroup_id_z 0
		.amdhsa_system_sgpr_workgroup_info 0
		.amdhsa_system_vgpr_workitem_id 1
		.amdhsa_next_free_vgpr 118
		.amdhsa_next_free_sgpr 50
		.amdhsa_accum_offset 120
		.amdhsa_reserve_vcc 1
		.amdhsa_float_round_mode_32 0
		.amdhsa_float_round_mode_16_64 0
		.amdhsa_float_denorm_mode_32 3
		.amdhsa_float_denorm_mode_16_64 3
		.amdhsa_dx10_clamp 1
		.amdhsa_ieee_mode 1
		.amdhsa_fp16_overflow 0
		.amdhsa_tg_split 0
		.amdhsa_exception_fp_ieee_invalid_op 0
		.amdhsa_exception_fp_denorm_src 0
		.amdhsa_exception_fp_ieee_div_zero 0
		.amdhsa_exception_fp_ieee_overflow 0
		.amdhsa_exception_fp_ieee_underflow 0
		.amdhsa_exception_fp_ieee_inexact 0
		.amdhsa_exception_int_div_zero 0
	.end_amdhsa_kernel
	.section	.text._ZN2at6native12_GLOBAL__N_135GammaBetaBackwardCUDAKernelTemplateIN3c108BFloat16EfLj32ELj16ELj128ELb0ELb0ELb1EEEvllPKT_S7_PKT0_SA_PS5_SB_,"axG",@progbits,_ZN2at6native12_GLOBAL__N_135GammaBetaBackwardCUDAKernelTemplateIN3c108BFloat16EfLj32ELj16ELj128ELb0ELb0ELb1EEEvllPKT_S7_PKT0_SA_PS5_SB_,comdat
.Lfunc_end205:
	.size	_ZN2at6native12_GLOBAL__N_135GammaBetaBackwardCUDAKernelTemplateIN3c108BFloat16EfLj32ELj16ELj128ELb0ELb0ELb1EEEvllPKT_S7_PKT0_SA_PS5_SB_, .Lfunc_end205-_ZN2at6native12_GLOBAL__N_135GammaBetaBackwardCUDAKernelTemplateIN3c108BFloat16EfLj32ELj16ELj128ELb0ELb0ELb1EEEvllPKT_S7_PKT0_SA_PS5_SB_
                                        ; -- End function
	.set _ZN2at6native12_GLOBAL__N_135GammaBetaBackwardCUDAKernelTemplateIN3c108BFloat16EfLj32ELj16ELj128ELb0ELb0ELb1EEEvllPKT_S7_PKT0_SA_PS5_SB_.num_vgpr, 118
	.set _ZN2at6native12_GLOBAL__N_135GammaBetaBackwardCUDAKernelTemplateIN3c108BFloat16EfLj32ELj16ELj128ELb0ELb0ELb1EEEvllPKT_S7_PKT0_SA_PS5_SB_.num_agpr, 0
	.set _ZN2at6native12_GLOBAL__N_135GammaBetaBackwardCUDAKernelTemplateIN3c108BFloat16EfLj32ELj16ELj128ELb0ELb0ELb1EEEvllPKT_S7_PKT0_SA_PS5_SB_.numbered_sgpr, 50
	.set _ZN2at6native12_GLOBAL__N_135GammaBetaBackwardCUDAKernelTemplateIN3c108BFloat16EfLj32ELj16ELj128ELb0ELb0ELb1EEEvllPKT_S7_PKT0_SA_PS5_SB_.num_named_barrier, 0
	.set _ZN2at6native12_GLOBAL__N_135GammaBetaBackwardCUDAKernelTemplateIN3c108BFloat16EfLj32ELj16ELj128ELb0ELb0ELb1EEEvllPKT_S7_PKT0_SA_PS5_SB_.private_seg_size, 0
	.set _ZN2at6native12_GLOBAL__N_135GammaBetaBackwardCUDAKernelTemplateIN3c108BFloat16EfLj32ELj16ELj128ELb0ELb0ELb1EEEvllPKT_S7_PKT0_SA_PS5_SB_.uses_vcc, 1
	.set _ZN2at6native12_GLOBAL__N_135GammaBetaBackwardCUDAKernelTemplateIN3c108BFloat16EfLj32ELj16ELj128ELb0ELb0ELb1EEEvllPKT_S7_PKT0_SA_PS5_SB_.uses_flat_scratch, 0
	.set _ZN2at6native12_GLOBAL__N_135GammaBetaBackwardCUDAKernelTemplateIN3c108BFloat16EfLj32ELj16ELj128ELb0ELb0ELb1EEEvllPKT_S7_PKT0_SA_PS5_SB_.has_dyn_sized_stack, 0
	.set _ZN2at6native12_GLOBAL__N_135GammaBetaBackwardCUDAKernelTemplateIN3c108BFloat16EfLj32ELj16ELj128ELb0ELb0ELb1EEEvllPKT_S7_PKT0_SA_PS5_SB_.has_recursion, 0
	.set _ZN2at6native12_GLOBAL__N_135GammaBetaBackwardCUDAKernelTemplateIN3c108BFloat16EfLj32ELj16ELj128ELb0ELb0ELb1EEEvllPKT_S7_PKT0_SA_PS5_SB_.has_indirect_call, 0
	.section	.AMDGPU.csdata,"",@progbits
; Kernel info:
; codeLenInByte = 7232
; TotalNumSgprs: 56
; NumVgprs: 118
; NumAgprs: 0
; TotalNumVgprs: 118
; ScratchSize: 0
; MemoryBound: 0
; FloatMode: 240
; IeeeMode: 1
; LDSByteSize: 0 bytes/workgroup (compile time only)
; SGPRBlocks: 6
; VGPRBlocks: 14
; NumSGPRsForWavesPerEU: 56
; NumVGPRsForWavesPerEU: 118
; AccumOffset: 120
; Occupancy: 4
; WaveLimiterHint : 0
; COMPUTE_PGM_RSRC2:SCRATCH_EN: 0
; COMPUTE_PGM_RSRC2:USER_SGPR: 2
; COMPUTE_PGM_RSRC2:TRAP_HANDLER: 0
; COMPUTE_PGM_RSRC2:TGID_X_EN: 1
; COMPUTE_PGM_RSRC2:TGID_Y_EN: 1
; COMPUTE_PGM_RSRC2:TGID_Z_EN: 0
; COMPUTE_PGM_RSRC2:TIDIG_COMP_CNT: 1
; COMPUTE_PGM_RSRC3_GFX90A:ACCUM_OFFSET: 29
; COMPUTE_PGM_RSRC3_GFX90A:TG_SPLIT: 0
	.section	.text._ZN2at6native12_GLOBAL__N_135GammaBetaBackwardCUDAKernelTemplateIN3c108BFloat16EfLj32ELj32ELj256ELb0ELb1ELb1EEEvllPKT_S7_PKT0_SA_PS5_SB_,"axG",@progbits,_ZN2at6native12_GLOBAL__N_135GammaBetaBackwardCUDAKernelTemplateIN3c108BFloat16EfLj32ELj32ELj256ELb0ELb1ELb1EEEvllPKT_S7_PKT0_SA_PS5_SB_,comdat
	.globl	_ZN2at6native12_GLOBAL__N_135GammaBetaBackwardCUDAKernelTemplateIN3c108BFloat16EfLj32ELj32ELj256ELb0ELb1ELb1EEEvllPKT_S7_PKT0_SA_PS5_SB_ ; -- Begin function _ZN2at6native12_GLOBAL__N_135GammaBetaBackwardCUDAKernelTemplateIN3c108BFloat16EfLj32ELj32ELj256ELb0ELb1ELb1EEEvllPKT_S7_PKT0_SA_PS5_SB_
	.p2align	8
	.type	_ZN2at6native12_GLOBAL__N_135GammaBetaBackwardCUDAKernelTemplateIN3c108BFloat16EfLj32ELj32ELj256ELb0ELb1ELb1EEEvllPKT_S7_PKT0_SA_PS5_SB_,@function
_ZN2at6native12_GLOBAL__N_135GammaBetaBackwardCUDAKernelTemplateIN3c108BFloat16EfLj32ELj32ELj256ELb0ELb1ELb1EEEvllPKT_S7_PKT0_SA_PS5_SB_: ; @_ZN2at6native12_GLOBAL__N_135GammaBetaBackwardCUDAKernelTemplateIN3c108BFloat16EfLj32ELj32ELj256ELb0ELb1ELb1EEEvllPKT_S7_PKT0_SA_PS5_SB_
; %bb.0:
	s_load_dwordx4 s[4:7], s[0:1], 0x0
	s_lshl_b32 s14, s3, 8
	s_mov_b32 s15, 0
	v_mov_b64_e32 v[2:3], s[14:15]
	v_bfe_u32 v12, v0, 10, 10
	s_waitcnt lgkmcnt(0)
	v_cmp_gt_i64_e32 vcc, s[4:5], v[2:3]
	s_cbranch_vccnz .LBB206_2
; %bb.1:
	s_mov_b64 s[8:9], 0
	v_bfe_u32 v2, v0, 10, 10
	s_branch .LBB206_3
.LBB206_2:
	s_mov_b64 s[8:9], -1
                                        ; implicit-def: $vgpr2
.LBB206_3:
	s_load_dwordx2 s[12:13], s[0:1], 0x30
	v_and_b32_e32 v10, 0x3ff, v0
	v_mov_b32_e32 v1, 0
	s_andn2_b64 vcc, exec, s[8:9]
	v_mbcnt_lo_u32_b32 v11, -1, 0
	s_cbranch_vccnz .LBB206_11
; %bb.4:
	s_load_dword s3, s[0:1], 0x4c
	s_load_dword s16, s[0:1], 0x44
	s_load_dwordx2 s[18:19], s[0:1], 0x28
	s_load_dwordx4 s[8:11], s[0:1], 0x10
	v_lshlrev_b32_e32 v0, 3, v12
	s_waitcnt lgkmcnt(0)
	s_and_b32 s0, s3, 0xffff
	v_mad_u32_u24 v1, v12, s0, v10
	v_and_b32_e32 v2, 63, v1
	v_mov_b32_e32 v1, 0
	v_mov_b32_e32 v3, v1
	v_lshl_add_u64 v[8:9], v[0:1], 0, s[14:15]
	v_cmp_gt_u32_e64 s[0:1], 8, v2
	v_mbcnt_hi_u32_b32 v4, -1, v11
	s_lshl_b32 s16, s16, 8
	v_lshl_add_u64 v[2:3], v[8:9], 0, v[2:3]
	v_mul_lo_u32 v0, s7, v8
	v_mul_lo_u32 v21, s6, v9
	v_mad_u64_u32 v[8:9], s[20:21], s6, v8, 0
	v_lshl_add_u32 v6, s2, 5, v10
	v_mov_b32_e32 v7, v1
	v_lshlrev_b32_e32 v4, 2, v4
	s_mul_i32 s3, s7, s16
	s_mul_hi_u32 s20, s6, s16
	s_mov_b32 s17, 0
	v_and_b32_e32 v13, 0x100, v4
	v_add3_u32 v9, v9, v21, v0
	v_lshlrev_b64 v[6:7], 1, v[6:7]
	s_add_i32 s21, s20, s3
	s_mul_i32 s20, s6, s16
	v_or_b32_e32 v14, 4, v13
	v_or_b32_e32 v15, 8, v13
	;; [unrolled: 1-line block ×7, first 2 shown]
	v_lshl_add_u64 v[4:5], v[2:3], 2, s[18:19]
	s_lshl_b64 s[18:19], s[16:17], 2
	v_lshl_add_u64 v[6:7], v[8:9], 1, v[6:7]
	s_lshl_b64 s[20:21], s[20:21], 1
	s_lshl_b64 s[6:7], s[6:7], 1
	v_mov_b64_e32 v[8:9], s[4:5]
	s_branch .LBB206_7
.LBB206_5:                              ;   in Loop: Header=BB206_7 Depth=1
	s_or_b64 exec, exec, s[24:25]
.LBB206_6:                              ;   in Loop: Header=BB206_7 Depth=1
	s_or_b64 exec, exec, s[22:23]
	v_lshl_add_u64 v[22:23], s[8:9], 0, v[6:7]
	v_lshl_add_u64 v[24:25], s[10:11], 0, v[6:7]
	;; [unrolled: 1-line block ×5, first 2 shown]
	global_load_ushort v21, v[22:23], off
	global_load_ushort v34, v[24:25], off
	;; [unrolled: 1-line block ×4, first 2 shown]
	v_lshl_add_u64 v[32:33], v[28:29], 0, s[6:7]
	v_lshl_add_u64 v[22:23], v[30:31], 0, s[6:7]
	global_load_ushort v37, v[30:31], off
	global_load_ushort v38, v[32:33], off
	v_lshl_add_u64 v[24:25], v[32:33], 0, s[6:7]
	global_load_ushort v39, v[22:23], off
	global_load_ushort v40, v[24:25], off
	v_lshl_add_u64 v[22:23], v[22:23], 0, s[6:7]
	v_lshl_add_u64 v[24:25], v[24:25], 0, s[6:7]
	global_load_ushort v41, v[22:23], off
	global_load_ushort v42, v[24:25], off
	v_lshl_add_u64 v[22:23], v[22:23], 0, s[6:7]
	;; [unrolled: 4-line block ×4, first 2 shown]
	v_lshl_add_u64 v[24:25], v[24:25], 0, s[6:7]
	global_load_ushort v47, v[22:23], off
	global_load_ushort v48, v[24:25], off
	s_waitcnt vmcnt(16)
	ds_bpermute_b32 v22, v13, v0
	ds_bpermute_b32 v23, v14, v0
	;; [unrolled: 1-line block ×8, first 2 shown]
	s_add_u32 s14, s14, s16
	s_addc_u32 s15, s15, 0
	v_cmp_lt_i64_e32 vcc, s[14:15], v[8:9]
	v_lshl_add_u64 v[4:5], v[4:5], 0, s[18:19]
	v_lshl_add_u64 v[2:3], v[2:3], 0, s[16:17]
	;; [unrolled: 1-line block ×3, first 2 shown]
	s_and_b64 vcc, exec, vcc
	s_waitcnt vmcnt(15)
	v_lshlrev_b32_e32 v30, 16, v21
	s_waitcnt vmcnt(14)
	v_lshlrev_b32_e32 v32, 16, v34
	;; [unrolled: 2-line block ×4, first 2 shown]
	v_pk_mul_f32 v[30:31], v[30:31], v[32:33]
	s_waitcnt vmcnt(11)
	v_lshlrev_b32_e32 v32, 16, v37
	s_waitcnt vmcnt(10)
	v_lshlrev_b32_e32 v34, 16, v38
	s_waitcnt lgkmcnt(6)
	v_pk_mul_f32 v[22:23], v[30:31], v[22:23]
	s_waitcnt vmcnt(9)
	v_lshlrev_b32_e32 v33, 16, v39
	s_waitcnt vmcnt(8)
	v_lshlrev_b32_e32 v35, 16, v40
	v_add_f32_e32 v21, v1, v22
	v_pk_mul_f32 v[0:1], v[32:33], v[34:35]
	s_waitcnt vmcnt(7)
	v_lshlrev_b32_e32 v22, 16, v41
	s_waitcnt vmcnt(6)
	v_lshlrev_b32_e32 v30, 16, v42
	v_add_f32_e32 v21, v21, v23
	s_waitcnt lgkmcnt(4)
	v_pk_mul_f32 v[0:1], v[0:1], v[24:25]
	s_waitcnt vmcnt(5)
	v_lshlrev_b32_e32 v23, 16, v43
	s_waitcnt vmcnt(4)
	v_lshlrev_b32_e32 v31, 16, v44
	v_add_f32_e32 v21, v21, v0
	v_pk_mul_f32 v[22:23], v[22:23], v[30:31]
	s_waitcnt vmcnt(3)
	v_lshlrev_b32_e32 v0, 16, v45
	s_waitcnt vmcnt(2)
	v_lshlrev_b32_e32 v24, 16, v46
	v_add_f32_e32 v21, v21, v1
	s_waitcnt lgkmcnt(2)
	v_pk_mul_f32 v[22:23], v[22:23], v[26:27]
	s_waitcnt vmcnt(1)
	v_lshlrev_b32_e32 v1, 16, v47
	s_waitcnt vmcnt(0)
	v_lshlrev_b32_e32 v25, 16, v48
	v_add_f32_e32 v21, v21, v22
	v_pk_mul_f32 v[0:1], v[0:1], v[24:25]
	v_add_f32_e32 v21, v21, v23
	s_waitcnt lgkmcnt(0)
	v_pk_mul_f32 v[0:1], v[0:1], v[28:29]
	s_nop 0
	v_add_f32_e32 v0, v21, v0
	v_add_f32_e32 v1, v0, v1
	s_cbranch_vccz .LBB206_10
.LBB206_7:                              ; =>This Inner Loop Header: Depth=1
	v_mov_b32_e32 v0, 0
	s_and_saveexec_b64 s[22:23], s[0:1]
	s_cbranch_execz .LBB206_6
; %bb.8:                                ;   in Loop: Header=BB206_7 Depth=1
	v_cmp_gt_i64_e32 vcc, s[4:5], v[2:3]
	v_mov_b32_e32 v0, 0
	s_and_saveexec_b64 s[24:25], vcc
	s_cbranch_execz .LBB206_5
; %bb.9:                                ;   in Loop: Header=BB206_7 Depth=1
	global_load_dword v0, v[4:5], off
	s_branch .LBB206_5
.LBB206_10:
	v_mov_b32_e32 v2, v12
.LBB206_11:
	v_mad_u32_u24 v0, v2, 33, v10
	v_lshl_add_u32 v3, v0, 2, 0
	v_sub_u32_e32 v2, v0, v2
	s_movk_i32 s0, 0x800
	ds_write_b32 v3, v1
	v_mov_b32_e32 v1, 0
	v_cmp_gt_u32_e32 vcc, s0, v2
	ds_write_b32 v3, v1 offset:4224
	s_waitcnt lgkmcnt(0)
	s_barrier
	s_and_saveexec_b64 s[0:1], vcc
	s_cbranch_execz .LBB206_21
; %bb.12:
	v_and_b32_e32 v1, 63, v2
	v_lshrrev_b32_e32 v0, 6, v2
	v_cmp_gt_u32_e64 s[0:1], 32, v1
	v_mul_u32_u24_e32 v1, 33, v1
                                        ; implicit-def: $vgpr4
	s_and_saveexec_b64 s[4:5], s[0:1]
; %bb.13:
	v_lshlrev_b32_e32 v3, 2, v0
	v_lshlrev_b32_e32 v4, 2, v1
	v_add3_u32 v3, 0, v3, v4
	ds_read_b32 v4, v3
; %bb.14:
	s_or_b64 exec, exec, s[4:5]
	v_mbcnt_hi_u32_b32 v7, -1, v11
	v_and_b32_e32 v3, 64, v7
	v_add_u32_e32 v8, 64, v3
	v_xor_b32_e32 v3, 16, v7
	v_cmp_lt_i32_e32 vcc, v3, v8
	v_xor_b32_e32 v6, 8, v7
	v_xor_b32_e32 v9, 4, v7
	v_cndmask_b32_e32 v3, v7, v3, vcc
	v_lshlrev_b32_e32 v3, 2, v3
	s_waitcnt lgkmcnt(0)
	ds_bpermute_b32 v5, v3, v4
	v_cmp_lt_i32_e32 vcc, v6, v8
	v_xor_b32_e32 v11, 2, v7
	s_cmp_lg_u64 s[12:13], 0
	s_mov_b32 s3, 0
	s_waitcnt lgkmcnt(0)
	v_add_f32_e32 v5, v4, v5
	v_cndmask_b32_e32 v4, v7, v6, vcc
	v_lshlrev_b32_e32 v4, 2, v4
	ds_bpermute_b32 v6, v4, v5
	v_cmp_lt_i32_e32 vcc, v9, v8
	s_cselect_b64 s[6:7], -1, 0
	s_lshl_b64 s[2:3], s[2:3], 6
	s_waitcnt lgkmcnt(0)
	v_add_f32_e32 v6, v5, v6
	v_cndmask_b32_e32 v5, v7, v9, vcc
	v_lshlrev_b32_e32 v5, 2, v5
	ds_bpermute_b32 v9, v5, v6
	v_cmp_lt_i32_e32 vcc, v11, v8
	s_waitcnt lgkmcnt(0)
	v_add_f32_e32 v9, v6, v9
	v_cndmask_b32_e32 v6, v7, v11, vcc
	v_lshlrev_b32_e32 v6, 2, v6
	ds_bpermute_b32 v11, v6, v9
	v_cmp_eq_u32_e32 vcc, 0, v10
	v_xor_b32_e32 v10, 1, v7
	v_cmp_lt_i32_e64 s[4:5], v10, v8
	s_waitcnt lgkmcnt(0)
	v_add_f32_e32 v9, v9, v11
	v_cndmask_b32_e64 v7, v7, v10, s[4:5]
	v_lshlrev_b32_e32 v7, 2, v7
	ds_bpermute_b32 v8, v7, v9
	s_and_b64 s[4:5], vcc, s[6:7]
	s_add_u32 s2, s12, s2
	s_addc_u32 s3, s13, s3
	s_waitcnt lgkmcnt(0)
	v_add_f32_e32 v8, v9, v8
	s_and_saveexec_b64 s[6:7], s[4:5]
	s_cbranch_execz .LBB206_16
; %bb.15:
	v_bfe_u32 v9, v8, 16, 1
	s_movk_i32 s8, 0x7fff
	v_add3_u32 v9, v8, v9, s8
	v_cmp_o_f32_e32 vcc, v8, v8
	v_mov_b32_e32 v10, 0x7fc0
	s_nop 0
	v_cndmask_b32_sdwa v9, v10, v9, vcc dst_sel:DWORD dst_unused:UNUSED_PAD src0_sel:DWORD src1_sel:WORD_1
	v_lshlrev_b32_e32 v10, 1, v0
	global_store_short v10, v9, s[2:3]
.LBB206_16:
	s_or_b64 exec, exec, s[6:7]
	s_movk_i32 s6, 0x400
	v_cmp_gt_u32_e32 vcc, s6, v2
	s_and_b64 exec, exec, vcc
	s_cbranch_execz .LBB206_21
; %bb.17:
	s_and_saveexec_b64 s[6:7], s[0:1]
; %bb.18:
	v_lshlrev_b32_e32 v2, 2, v0
	v_lshlrev_b32_e32 v1, 2, v1
	v_add3_u32 v1, 0, v2, v1
	ds_read_b32 v8, v1 offset:64
; %bb.19:
	s_or_b64 exec, exec, s[6:7]
	s_waitcnt lgkmcnt(0)
	ds_bpermute_b32 v1, v3, v8
	s_waitcnt lgkmcnt(0)
	v_add_f32_e32 v1, v8, v1
	ds_bpermute_b32 v2, v4, v1
	s_waitcnt lgkmcnt(0)
	v_add_f32_e32 v1, v1, v2
	;; [unrolled: 3-line block ×4, first 2 shown]
	ds_bpermute_b32 v2, v7, v1
	s_and_saveexec_b64 s[0:1], s[4:5]
	s_xor_b64 s[0:1], exec, s[0:1]
	s_cbranch_execz .LBB206_21
; %bb.20:
	s_waitcnt lgkmcnt(0)
	v_add_f32_e32 v1, v1, v2
	v_bfe_u32 v2, v1, 16, 1
	s_movk_i32 s0, 0x7fff
	v_add3_u32 v2, v1, v2, s0
	v_cmp_o_f32_e32 vcc, v1, v1
	v_mov_b32_e32 v1, 0x7fc0
	v_lshlrev_b32_e32 v0, 1, v0
	v_cndmask_b32_sdwa v1, v1, v2, vcc dst_sel:DWORD dst_unused:UNUSED_PAD src0_sel:DWORD src1_sel:WORD_1
	global_store_short v0, v1, s[2:3] offset:32
.LBB206_21:
	s_endpgm
	.section	.rodata,"a",@progbits
	.p2align	6, 0x0
	.amdhsa_kernel _ZN2at6native12_GLOBAL__N_135GammaBetaBackwardCUDAKernelTemplateIN3c108BFloat16EfLj32ELj32ELj256ELb0ELb1ELb1EEEvllPKT_S7_PKT0_SA_PS5_SB_
		.amdhsa_group_segment_fixed_size 0
		.amdhsa_private_segment_fixed_size 0
		.amdhsa_kernarg_size 320
		.amdhsa_user_sgpr_count 2
		.amdhsa_user_sgpr_dispatch_ptr 0
		.amdhsa_user_sgpr_queue_ptr 0
		.amdhsa_user_sgpr_kernarg_segment_ptr 1
		.amdhsa_user_sgpr_dispatch_id 0
		.amdhsa_user_sgpr_kernarg_preload_length 0
		.amdhsa_user_sgpr_kernarg_preload_offset 0
		.amdhsa_user_sgpr_private_segment_size 0
		.amdhsa_uses_dynamic_stack 0
		.amdhsa_enable_private_segment 0
		.amdhsa_system_sgpr_workgroup_id_x 1
		.amdhsa_system_sgpr_workgroup_id_y 1
		.amdhsa_system_sgpr_workgroup_id_z 0
		.amdhsa_system_sgpr_workgroup_info 0
		.amdhsa_system_vgpr_workitem_id 1
		.amdhsa_next_free_vgpr 49
		.amdhsa_next_free_sgpr 26
		.amdhsa_accum_offset 52
		.amdhsa_reserve_vcc 1
		.amdhsa_float_round_mode_32 0
		.amdhsa_float_round_mode_16_64 0
		.amdhsa_float_denorm_mode_32 3
		.amdhsa_float_denorm_mode_16_64 3
		.amdhsa_dx10_clamp 1
		.amdhsa_ieee_mode 1
		.amdhsa_fp16_overflow 0
		.amdhsa_tg_split 0
		.amdhsa_exception_fp_ieee_invalid_op 0
		.amdhsa_exception_fp_denorm_src 0
		.amdhsa_exception_fp_ieee_div_zero 0
		.amdhsa_exception_fp_ieee_overflow 0
		.amdhsa_exception_fp_ieee_underflow 0
		.amdhsa_exception_fp_ieee_inexact 0
		.amdhsa_exception_int_div_zero 0
	.end_amdhsa_kernel
	.section	.text._ZN2at6native12_GLOBAL__N_135GammaBetaBackwardCUDAKernelTemplateIN3c108BFloat16EfLj32ELj32ELj256ELb0ELb1ELb1EEEvllPKT_S7_PKT0_SA_PS5_SB_,"axG",@progbits,_ZN2at6native12_GLOBAL__N_135GammaBetaBackwardCUDAKernelTemplateIN3c108BFloat16EfLj32ELj32ELj256ELb0ELb1ELb1EEEvllPKT_S7_PKT0_SA_PS5_SB_,comdat
.Lfunc_end206:
	.size	_ZN2at6native12_GLOBAL__N_135GammaBetaBackwardCUDAKernelTemplateIN3c108BFloat16EfLj32ELj32ELj256ELb0ELb1ELb1EEEvllPKT_S7_PKT0_SA_PS5_SB_, .Lfunc_end206-_ZN2at6native12_GLOBAL__N_135GammaBetaBackwardCUDAKernelTemplateIN3c108BFloat16EfLj32ELj32ELj256ELb0ELb1ELb1EEEvllPKT_S7_PKT0_SA_PS5_SB_
                                        ; -- End function
	.set _ZN2at6native12_GLOBAL__N_135GammaBetaBackwardCUDAKernelTemplateIN3c108BFloat16EfLj32ELj32ELj256ELb0ELb1ELb1EEEvllPKT_S7_PKT0_SA_PS5_SB_.num_vgpr, 49
	.set _ZN2at6native12_GLOBAL__N_135GammaBetaBackwardCUDAKernelTemplateIN3c108BFloat16EfLj32ELj32ELj256ELb0ELb1ELb1EEEvllPKT_S7_PKT0_SA_PS5_SB_.num_agpr, 0
	.set _ZN2at6native12_GLOBAL__N_135GammaBetaBackwardCUDAKernelTemplateIN3c108BFloat16EfLj32ELj32ELj256ELb0ELb1ELb1EEEvllPKT_S7_PKT0_SA_PS5_SB_.numbered_sgpr, 26
	.set _ZN2at6native12_GLOBAL__N_135GammaBetaBackwardCUDAKernelTemplateIN3c108BFloat16EfLj32ELj32ELj256ELb0ELb1ELb1EEEvllPKT_S7_PKT0_SA_PS5_SB_.num_named_barrier, 0
	.set _ZN2at6native12_GLOBAL__N_135GammaBetaBackwardCUDAKernelTemplateIN3c108BFloat16EfLj32ELj32ELj256ELb0ELb1ELb1EEEvllPKT_S7_PKT0_SA_PS5_SB_.private_seg_size, 0
	.set _ZN2at6native12_GLOBAL__N_135GammaBetaBackwardCUDAKernelTemplateIN3c108BFloat16EfLj32ELj32ELj256ELb0ELb1ELb1EEEvllPKT_S7_PKT0_SA_PS5_SB_.uses_vcc, 1
	.set _ZN2at6native12_GLOBAL__N_135GammaBetaBackwardCUDAKernelTemplateIN3c108BFloat16EfLj32ELj32ELj256ELb0ELb1ELb1EEEvllPKT_S7_PKT0_SA_PS5_SB_.uses_flat_scratch, 0
	.set _ZN2at6native12_GLOBAL__N_135GammaBetaBackwardCUDAKernelTemplateIN3c108BFloat16EfLj32ELj32ELj256ELb0ELb1ELb1EEEvllPKT_S7_PKT0_SA_PS5_SB_.has_dyn_sized_stack, 0
	.set _ZN2at6native12_GLOBAL__N_135GammaBetaBackwardCUDAKernelTemplateIN3c108BFloat16EfLj32ELj32ELj256ELb0ELb1ELb1EEEvllPKT_S7_PKT0_SA_PS5_SB_.has_recursion, 0
	.set _ZN2at6native12_GLOBAL__N_135GammaBetaBackwardCUDAKernelTemplateIN3c108BFloat16EfLj32ELj32ELj256ELb0ELb1ELb1EEEvllPKT_S7_PKT0_SA_PS5_SB_.has_indirect_call, 0
	.section	.AMDGPU.csdata,"",@progbits
; Kernel info:
; codeLenInByte = 1616
; TotalNumSgprs: 32
; NumVgprs: 49
; NumAgprs: 0
; TotalNumVgprs: 49
; ScratchSize: 0
; MemoryBound: 0
; FloatMode: 240
; IeeeMode: 1
; LDSByteSize: 0 bytes/workgroup (compile time only)
; SGPRBlocks: 3
; VGPRBlocks: 6
; NumSGPRsForWavesPerEU: 32
; NumVGPRsForWavesPerEU: 49
; AccumOffset: 52
; Occupancy: 8
; WaveLimiterHint : 0
; COMPUTE_PGM_RSRC2:SCRATCH_EN: 0
; COMPUTE_PGM_RSRC2:USER_SGPR: 2
; COMPUTE_PGM_RSRC2:TRAP_HANDLER: 0
; COMPUTE_PGM_RSRC2:TGID_X_EN: 1
; COMPUTE_PGM_RSRC2:TGID_Y_EN: 1
; COMPUTE_PGM_RSRC2:TGID_Z_EN: 0
; COMPUTE_PGM_RSRC2:TIDIG_COMP_CNT: 1
; COMPUTE_PGM_RSRC3_GFX90A:ACCUM_OFFSET: 12
; COMPUTE_PGM_RSRC3_GFX90A:TG_SPLIT: 0
	.section	.text._ZN2at6native12_GLOBAL__N_135GammaBetaBackwardCUDAKernelTemplateIN3c108BFloat16EfLj32ELj32ELj256ELb0ELb0ELb1EEEvllPKT_S7_PKT0_SA_PS5_SB_,"axG",@progbits,_ZN2at6native12_GLOBAL__N_135GammaBetaBackwardCUDAKernelTemplateIN3c108BFloat16EfLj32ELj32ELj256ELb0ELb0ELb1EEEvllPKT_S7_PKT0_SA_PS5_SB_,comdat
	.globl	_ZN2at6native12_GLOBAL__N_135GammaBetaBackwardCUDAKernelTemplateIN3c108BFloat16EfLj32ELj32ELj256ELb0ELb0ELb1EEEvllPKT_S7_PKT0_SA_PS5_SB_ ; -- Begin function _ZN2at6native12_GLOBAL__N_135GammaBetaBackwardCUDAKernelTemplateIN3c108BFloat16EfLj32ELj32ELj256ELb0ELb0ELb1EEEvllPKT_S7_PKT0_SA_PS5_SB_
	.p2align	8
	.type	_ZN2at6native12_GLOBAL__N_135GammaBetaBackwardCUDAKernelTemplateIN3c108BFloat16EfLj32ELj32ELj256ELb0ELb0ELb1EEEvllPKT_S7_PKT0_SA_PS5_SB_,@function
_ZN2at6native12_GLOBAL__N_135GammaBetaBackwardCUDAKernelTemplateIN3c108BFloat16EfLj32ELj32ELj256ELb0ELb0ELb1EEEvllPKT_S7_PKT0_SA_PS5_SB_: ; @_ZN2at6native12_GLOBAL__N_135GammaBetaBackwardCUDAKernelTemplateIN3c108BFloat16EfLj32ELj32ELj256ELb0ELb0ELb1EEEvllPKT_S7_PKT0_SA_PS5_SB_
; %bb.0:
	s_load_dwordx8 s[8:15], s[0:1], 0x0
	s_load_dwordx2 s[16:17], s[0:1], 0x28
	s_lshl_b32 s33, s2, 5
	s_mov_b32 s19, 0
	s_lshl_b32 s18, s3, 8
	s_or_b32 s4, s33, 31
	v_mov_b64_e32 v[4:5], s[18:19]
	v_mov_b32_e32 v2, s4
	v_mov_b32_e32 v3, 0
	s_waitcnt lgkmcnt(0)
	v_cmp_gt_i64_e64 s[4:5], s[8:9], v[4:5]
	v_cmp_le_i64_e32 vcc, s[10:11], v[2:3]
	s_nop 0
	v_cndmask_b32_e64 v1, 0, 1, s[4:5]
	v_cmp_ne_u32_e64 s[4:5], 1, v1
	s_cbranch_vccz .LBB207_49
; %bb.1:
	s_and_b64 vcc, exec, s[4:5]
	s_cbranch_vccnz .LBB207_50
; %bb.2:
	v_and_b32_e32 v1, 0x3ff, v0
	v_mov_b32_e32 v2, 0
	v_bfe_u32 v58, v0, 10, 10
	v_add_u32_e32 v4, s33, v1
	v_mov_b32_e32 v5, v2
	v_lshlrev_b32_e32 v20, 3, v58
	v_mov_b32_e32 v21, v2
	v_cmp_gt_i64_e64 s[6:7], s[10:11], v[4:5]
	v_lshlrev_b64 v[22:23], 1, v[4:5]
	v_lshl_add_u64 v[4:5], v[20:21], 0, s[18:19]
	v_mul_lo_u32 v3, s11, v4
	v_mul_lo_u32 v8, s10, v5
	v_mad_u64_u32 v[6:7], s[22:23], s10, v4, 0
	v_add3_u32 v7, v7, v8, v3
	v_lshlrev_b64 v[6:7], 1, v[6:7]
	v_lshl_add_u64 v[24:25], s[12:13], 0, v[6:7]
	v_lshl_add_u64 v[26:27], s[14:15], 0, v[6:7]
	v_lshl_add_u64 v[6:7], v[4:5], 0, 7
	v_mul_lo_u32 v9, s11, v6
	v_mul_lo_u32 v10, s10, v7
	v_mad_u64_u32 v[6:7], s[24:25], s10, v6, 0
	v_add3_u32 v7, v7, v10, v9
	v_lshlrev_b64 v[6:7], 1, v[6:7]
	v_lshl_add_u64 v[28:29], s[12:13], 0, v[6:7]
	v_lshl_add_u64 v[30:31], s[14:15], 0, v[6:7]
	;; [unrolled: 8-line block ×5, first 2 shown]
	v_lshl_add_u64 v[6:7], v[4:5], 0, 3
	v_mul_lo_u32 v9, s11, v6
	v_mul_lo_u32 v10, s10, v7
	v_mad_u64_u32 v[6:7], s[24:25], s10, v6, 0
	v_add3_u32 v7, v7, v10, v9
	s_load_dword s3, s[0:1], 0x44
	v_lshlrev_b64 v[6:7], 1, v[6:7]
	v_lshl_add_u64 v[44:45], s[12:13], 0, v[6:7]
	v_lshl_add_u64 v[46:47], s[14:15], 0, v[6:7]
	;; [unrolled: 1-line block ×3, first 2 shown]
	v_mul_lo_u32 v5, s11, v6
	v_mul_lo_u32 v9, s10, v7
	v_mad_u64_u32 v[6:7], s[24:25], s10, v6, 0
	v_add3_u32 v7, v7, v9, v5
	s_add_u32 s20, s0, 64
	v_lshlrev_b64 v[6:7], 1, v[6:7]
	s_addc_u32 s21, s1, 0
	s_waitcnt lgkmcnt(0)
	s_lshl_b32 s3, s3, 8
	v_lshl_add_u64 v[48:49], s[12:13], 0, v[6:7]
	v_lshl_add_u64 v[50:51], s[14:15], 0, v[6:7]
	v_mov_b64_e32 v[6:7], s[10:11]
	s_mul_i32 s22, s11, s3
	s_mul_hi_u32 s23, s10, s3
	v_mad_u64_u32 v[4:5], s[24:25], s10, v4, v[6:7]
	s_add_i32 s23, s23, s22
	s_mul_i32 s22, s10, s3
	v_add3_u32 v5, v3, v5, v8
	v_mbcnt_lo_u32_b32 v3, -1, 0
	s_lshl_b64 s[22:23], s[22:23], 1
	v_mbcnt_hi_u32_b32 v3, -1, v3
	v_lshlrev_b64 v[4:5], 1, v[4:5]
	s_add_u32 s24, s18, 0xff
	s_movk_i32 s26, 0xff01
	s_movk_i32 s28, 0xff02
	;; [unrolled: 1-line block ×8, first 2 shown]
	v_lshlrev_b32_e32 v3, 2, v3
	v_lshl_add_u64 v[52:53], s[12:13], 0, v[4:5]
	v_lshl_add_u64 v[54:55], s[14:15], 0, v[4:5]
	s_addc_u32 s25, 0, 0
	s_mov_b32 s27, -1
	s_mov_b32 s29, -1
	;; [unrolled: 1-line block ×8, first 2 shown]
	v_and_b32_e32 v59, 0x100, v3
	s_mov_b64 s[44:45], s[18:19]
	v_mov_b32_e32 v60, 0
.LBB207_3:                              ; =>This Inner Loop Header: Depth=1
	v_mov_b64_e32 v[4:5], s[8:9]
	v_cmp_ge_i64_e32 vcc, s[24:25], v[4:5]
	v_lshl_add_u64 v[56:57], v[20:21], 0, s[24:25]
	s_mov_b64 s[46:47], -1
	s_and_b64 vcc, exec, vcc
                                        ; implicit-def: $vgpr4_vgpr5_vgpr6_vgpr7_vgpr8_vgpr9_vgpr10_vgpr11
                                        ; implicit-def: $vgpr3
                                        ; implicit-def: $vgpr12_vgpr13_vgpr14_vgpr15_vgpr16_vgpr17_vgpr18_vgpr19
                                        ; implicit-def: $vgpr4
	s_cbranch_vccz .LBB207_25
; %bb.4:                                ;   in Loop: Header=BB207_3 Depth=1
	s_load_dword s46, s[20:21], 0xc
	v_mov_b32_e32 v61, 0
	s_waitcnt lgkmcnt(0)
	s_and_b32 s46, s46, 0xffff
	v_mad_u32_u24 v3, v58, s46, v1
	v_and_b32_e32 v4, 63, v3
	v_cmp_gt_u32_e32 vcc, 8, v4
	s_and_saveexec_b64 s[46:47], vcc
	s_cbranch_execz .LBB207_8
; %bb.5:                                ;   in Loop: Header=BB207_3 Depth=1
	v_mov_b32_e32 v5, v2
	v_lshl_add_u64 v[4:5], v[56:57], 0, v[4:5]
	v_lshl_add_u64 v[4:5], v[4:5], 0, s[26:27]
	v_cmp_gt_i64_e32 vcc, s[8:9], v[4:5]
	v_mov_b32_e32 v61, 0
	s_and_saveexec_b64 s[48:49], vcc
	s_cbranch_execz .LBB207_7
; %bb.6:                                ;   in Loop: Header=BB207_3 Depth=1
	v_lshl_add_u64 v[4:5], v[4:5], 2, s[16:17]
	global_load_dword v61, v[4:5], off
.LBB207_7:                              ;   in Loop: Header=BB207_3 Depth=1
	s_or_b64 exec, exec, s[48:49]
.LBB207_8:                              ;   in Loop: Header=BB207_3 Depth=1
	s_or_b64 exec, exec, s[46:47]
	v_lshl_add_u64 v[4:5], v[56:57], 0, s[26:27]
	v_mov_b32_e32 v8, v2
	v_mov_b32_e32 v9, v2
	v_cmp_gt_i64_e32 vcc, s[8:9], v[4:5]
	v_mov_b32_e32 v3, v2
	v_mov_b32_e32 v4, v2
	;; [unrolled: 1-line block ×5, first 2 shown]
	v_mov_b64_e32 v[18:19], v[8:9]
	v_mov_b64_e32 v[16:17], v[6:7]
	;; [unrolled: 1-line block ×5, first 2 shown]
	s_and_b64 s[48:49], s[6:7], vcc
	v_mov_b64_e32 v[8:9], v[6:7]
	v_mov_b64_e32 v[6:7], v[4:5]
	;; [unrolled: 1-line block ×3, first 2 shown]
	s_and_saveexec_b64 s[46:47], s[48:49]
	s_cbranch_execz .LBB207_10
; %bb.9:                                ;   in Loop: Header=BB207_3 Depth=1
	v_lshl_add_u64 v[4:5], v[24:25], 0, v[22:23]
	global_load_ushort v3, v[4:5], off
	v_lshl_add_u64 v[4:5], v[26:27], 0, v[22:23]
	global_load_ushort v12, v[4:5], off
	v_mov_b32_e32 v5, v2
	v_mov_b32_e32 v6, v2
	;; [unrolled: 1-line block ×14, first 2 shown]
	s_waitcnt vmcnt(1)
	v_lshlrev_b32_e32 v4, 16, v3
	s_waitcnt vmcnt(0)
	v_lshlrev_b32_e32 v12, 16, v12
.LBB207_10:                             ;   in Loop: Header=BB207_3 Depth=1
	s_or_b64 exec, exec, s[46:47]
	v_lshl_add_u64 v[62:63], v[56:57], 0, s[28:29]
	v_cmp_gt_i64_e32 vcc, s[8:9], v[62:63]
	s_and_b64 s[48:49], s[6:7], vcc
	s_and_saveexec_b64 s[46:47], s[48:49]
	s_cbranch_execz .LBB207_12
; %bb.11:                               ;   in Loop: Header=BB207_3 Depth=1
	v_lshl_add_u64 v[62:63], v[52:53], 0, v[22:23]
	global_load_ushort v3, v[62:63], off
	v_lshl_add_u64 v[62:63], v[54:55], 0, v[22:23]
	global_load_ushort v13, v[62:63], off
	s_waitcnt vmcnt(1)
	v_lshlrev_b32_e32 v5, 16, v3
	s_waitcnt vmcnt(0)
	v_lshlrev_b32_e32 v13, 16, v13
.LBB207_12:                             ;   in Loop: Header=BB207_3 Depth=1
	s_or_b64 exec, exec, s[46:47]
	v_lshl_add_u64 v[62:63], v[56:57], 0, s[30:31]
	v_cmp_gt_i64_e32 vcc, s[8:9], v[62:63]
	s_and_b64 s[48:49], s[6:7], vcc
	s_and_saveexec_b64 s[46:47], s[48:49]
	s_cbranch_execz .LBB207_14
; %bb.13:                               ;   in Loop: Header=BB207_3 Depth=1
	v_lshl_add_u64 v[62:63], v[48:49], 0, v[22:23]
	global_load_ushort v3, v[62:63], off
	v_lshl_add_u64 v[62:63], v[50:51], 0, v[22:23]
	global_load_ushort v14, v[62:63], off
	s_waitcnt vmcnt(1)
	v_lshlrev_b32_e32 v6, 16, v3
	s_waitcnt vmcnt(0)
	v_lshlrev_b32_e32 v14, 16, v14
.LBB207_14:                             ;   in Loop: Header=BB207_3 Depth=1
	;; [unrolled: 16-line block ×7, first 2 shown]
	s_or_b64 exec, exec, s[46:47]
	s_waitcnt vmcnt(0)
	ds_bpermute_b32 v3, v59, v61
	ds_bpermute_b32 v62, v59, v61 offset:4
	ds_bpermute_b32 v63, v59, v61 offset:8
	v_mul_f32_e32 v4, v12, v4
	v_pk_mul_f32 v[8:9], v[16:17], v[8:9]
	s_waitcnt lgkmcnt(2)
	v_fma_f32 v16, v4, v3, v60
	v_pk_mul_f32 v[6:7], v[14:15], v[6:7]
	v_mul_f32_e32 v3, v13, v5
	ds_bpermute_b32 v14, v59, v61 offset:12
	ds_bpermute_b32 v15, v59, v61 offset:16
	v_pk_mov_b32 v[12:13], v[2:3], v[6:7] op_sel:[1,0]
	v_pk_mov_b32 v[6:7], v[6:7], v[8:9] op_sel:[1,0]
	s_waitcnt lgkmcnt(2)
	v_pk_mul_f32 v[12:13], v[12:13], v[62:63]
	v_mul_f32_e32 v4, v18, v10
	v_add_f32_e32 v3, v16, v12
	v_add_f32_e32 v3, v3, v13
	ds_bpermute_b32 v12, v59, v61 offset:20
	ds_bpermute_b32 v13, v59, v61 offset:24
	s_waitcnt lgkmcnt(2)
	v_pk_mul_f32 v[6:7], v[6:7], v[14:15]
	s_mov_b64 s[46:47], 0
	v_add_f32_e32 v3, v3, v6
	v_add_f32_e32 v3, v3, v7
	v_pk_mov_b32 v[6:7], v[8:9], v[4:5] op_sel:[1,0]
	ds_bpermute_b32 v4, v59, v61 offset:28
	s_waitcnt lgkmcnt(1)
	v_pk_mul_f32 v[6:7], v[6:7], v[12:13]
	s_nop 0
	v_add_f32_e32 v3, v3, v6
	v_add_f32_e32 v3, v3, v7
.LBB207_25:                             ;   in Loop: Header=BB207_3 Depth=1
	s_and_b64 vcc, exec, s[46:47]
	s_cbranch_vccz .LBB207_40
; %bb.26:                               ;   in Loop: Header=BB207_3 Depth=1
	s_load_dword s46, s[20:21], 0x0
	v_mov_b32_e32 v61, 0
	s_waitcnt lgkmcnt(0)
	s_cmp_lt_u32 s2, s46
	s_cselect_b32 s46, 12, 18
	s_add_u32 s46, s20, s46
	s_addc_u32 s47, s21, 0
	global_load_ushort v3, v2, s[46:47]
	s_waitcnt vmcnt(0)
	v_mad_u32_u24 v3, v58, v3, v1
	v_and_b32_e32 v4, 63, v3
	v_cmp_gt_u32_e32 vcc, 8, v4
	s_and_saveexec_b64 s[46:47], vcc
	s_cbranch_execz .LBB207_30
; %bb.27:                               ;   in Loop: Header=BB207_3 Depth=1
	v_mov_b32_e32 v5, v2
	v_lshl_add_u64 v[4:5], v[56:57], 0, v[4:5]
	v_lshl_add_u64 v[4:5], v[4:5], 0, s[26:27]
	v_cmp_gt_i64_e32 vcc, s[8:9], v[4:5]
	v_mov_b32_e32 v61, 0
	s_and_saveexec_b64 s[48:49], vcc
	s_cbranch_execz .LBB207_29
; %bb.28:                               ;   in Loop: Header=BB207_3 Depth=1
	v_lshl_add_u64 v[4:5], v[4:5], 2, s[16:17]
	global_load_dword v61, v[4:5], off
.LBB207_29:                             ;   in Loop: Header=BB207_3 Depth=1
	s_or_b64 exec, exec, s[48:49]
.LBB207_30:                             ;   in Loop: Header=BB207_3 Depth=1
	s_or_b64 exec, exec, s[46:47]
	v_mov_b32_e32 v8, v2
	v_mov_b32_e32 v9, v2
	;; [unrolled: 1-line block ×7, first 2 shown]
	v_mov_b64_e32 v[18:19], v[8:9]
	v_mov_b64_e32 v[16:17], v[6:7]
	;; [unrolled: 1-line block ×8, first 2 shown]
	s_and_saveexec_b64 s[46:47], s[6:7]
	s_cbranch_execnz .LBB207_42
; %bb.31:                               ;   in Loop: Header=BB207_3 Depth=1
	s_or_b64 exec, exec, s[46:47]
	s_and_saveexec_b64 s[46:47], s[6:7]
	s_cbranch_execnz .LBB207_43
.LBB207_32:                             ;   in Loop: Header=BB207_3 Depth=1
	s_or_b64 exec, exec, s[46:47]
	s_and_saveexec_b64 s[46:47], s[6:7]
	s_cbranch_execnz .LBB207_44
.LBB207_33:                             ;   in Loop: Header=BB207_3 Depth=1
	s_or_b64 exec, exec, s[46:47]
	s_and_saveexec_b64 s[46:47], s[6:7]
	s_cbranch_execnz .LBB207_45
.LBB207_34:                             ;   in Loop: Header=BB207_3 Depth=1
	s_or_b64 exec, exec, s[46:47]
	s_and_saveexec_b64 s[46:47], s[6:7]
	s_cbranch_execnz .LBB207_46
.LBB207_35:                             ;   in Loop: Header=BB207_3 Depth=1
	s_or_b64 exec, exec, s[46:47]
	s_and_saveexec_b64 s[46:47], s[6:7]
	s_cbranch_execnz .LBB207_47
.LBB207_36:                             ;   in Loop: Header=BB207_3 Depth=1
	s_or_b64 exec, exec, s[46:47]
	s_and_saveexec_b64 s[46:47], s[6:7]
	s_cbranch_execnz .LBB207_48
.LBB207_37:                             ;   in Loop: Header=BB207_3 Depth=1
	s_or_b64 exec, exec, s[46:47]
	s_and_saveexec_b64 s[46:47], s[6:7]
	s_cbranch_execz .LBB207_39
.LBB207_38:                             ;   in Loop: Header=BB207_3 Depth=1
	v_lshl_add_u64 v[56:57], v[28:29], 0, v[22:23]
	global_load_ushort v3, v[56:57], off
	v_lshl_add_u64 v[56:57], v[30:31], 0, v[22:23]
	global_load_ushort v19, v[56:57], off
	s_waitcnt vmcnt(1)
	v_lshlrev_b32_e32 v11, 16, v3
	s_waitcnt vmcnt(0)
	v_lshlrev_b32_e32 v19, 16, v19
.LBB207_39:                             ;   in Loop: Header=BB207_3 Depth=1
	s_or_b64 exec, exec, s[46:47]
	s_waitcnt vmcnt(0)
	ds_bpermute_b32 v3, v59, v61
	ds_bpermute_b32 v56, v59, v61 offset:4
	ds_bpermute_b32 v57, v59, v61 offset:8
	v_mul_f32_e32 v4, v12, v4
	v_pk_mul_f32 v[6:7], v[14:15], v[6:7]
	s_waitcnt lgkmcnt(2)
	v_fmac_f32_e32 v60, v4, v3
	v_mul_f32_e32 v3, v13, v5
	v_pk_mov_b32 v[4:5], v[2:3], v[6:7] op_sel:[1,0]
	ds_bpermute_b32 v12, v59, v61 offset:12
	ds_bpermute_b32 v13, v59, v61 offset:16
	s_waitcnt lgkmcnt(2)
	v_pk_mul_f32 v[4:5], v[4:5], v[56:57]
	v_pk_mul_f32 v[8:9], v[16:17], v[8:9]
	v_add_f32_e32 v3, v60, v4
	v_add_f32_e32 v3, v3, v5
	v_pk_mov_b32 v[4:5], v[6:7], v[8:9] op_sel:[1,0]
	ds_bpermute_b32 v6, v59, v61 offset:20
	ds_bpermute_b32 v7, v59, v61 offset:24
	s_waitcnt lgkmcnt(2)
	v_pk_mul_f32 v[4:5], v[4:5], v[12:13]
	v_mul_f32_e32 v10, v18, v10
	v_add_f32_e32 v3, v3, v4
	ds_bpermute_b32 v4, v59, v61 offset:28
	v_pk_mov_b32 v[8:9], v[8:9], v[10:11] op_sel:[1,0]
	v_add_f32_e32 v3, v3, v5
	s_waitcnt lgkmcnt(1)
	v_pk_mul_f32 v[6:7], v[8:9], v[6:7]
	s_nop 0
	v_add_f32_e32 v3, v3, v6
	v_add_f32_e32 v3, v3, v7
.LBB207_40:                             ;   in Loop: Header=BB207_3 Depth=1
	v_mul_f32_e32 v5, v11, v19
	s_add_u32 s44, s44, s3
	s_waitcnt lgkmcnt(0)
	v_fmac_f32_e32 v3, v5, v4
	s_addc_u32 s45, s45, 0
	v_mov_b64_e32 v[4:5], s[8:9]
	s_add_u32 s24, s24, s3
	v_cmp_lt_i64_e32 vcc, s[44:45], v[4:5]
	v_lshl_add_u64 v[24:25], v[24:25], 0, s[22:23]
	v_lshl_add_u64 v[26:27], v[26:27], 0, s[22:23]
	;; [unrolled: 1-line block ×16, first 2 shown]
	s_addc_u32 s25, s25, 0
	s_cbranch_vccz .LBB207_50
; %bb.41:                               ;   in Loop: Header=BB207_3 Depth=1
	v_mov_b32_e32 v60, v3
	s_branch .LBB207_3
.LBB207_42:                             ;   in Loop: Header=BB207_3 Depth=1
	v_lshl_add_u64 v[4:5], v[24:25], 0, v[22:23]
	global_load_ushort v3, v[4:5], off
	v_lshl_add_u64 v[4:5], v[26:27], 0, v[22:23]
	global_load_ushort v12, v[4:5], off
	v_mov_b32_e32 v5, v2
	v_mov_b32_e32 v6, v2
	;; [unrolled: 1-line block ×14, first 2 shown]
	s_waitcnt vmcnt(1)
	v_lshlrev_b32_e32 v4, 16, v3
	s_waitcnt vmcnt(0)
	v_lshlrev_b32_e32 v12, 16, v12
	s_or_b64 exec, exec, s[46:47]
	s_and_saveexec_b64 s[46:47], s[6:7]
	s_cbranch_execz .LBB207_32
.LBB207_43:                             ;   in Loop: Header=BB207_3 Depth=1
	v_lshl_add_u64 v[56:57], v[52:53], 0, v[22:23]
	global_load_ushort v3, v[56:57], off
	v_lshl_add_u64 v[56:57], v[54:55], 0, v[22:23]
	global_load_ushort v13, v[56:57], off
	s_waitcnt vmcnt(1)
	v_lshlrev_b32_e32 v5, 16, v3
	s_waitcnt vmcnt(0)
	v_lshlrev_b32_e32 v13, 16, v13
	s_or_b64 exec, exec, s[46:47]
	s_and_saveexec_b64 s[46:47], s[6:7]
	s_cbranch_execz .LBB207_33
.LBB207_44:                             ;   in Loop: Header=BB207_3 Depth=1
	v_lshl_add_u64 v[56:57], v[48:49], 0, v[22:23]
	global_load_ushort v3, v[56:57], off
	v_lshl_add_u64 v[56:57], v[50:51], 0, v[22:23]
	global_load_ushort v14, v[56:57], off
	s_waitcnt vmcnt(1)
	v_lshlrev_b32_e32 v6, 16, v3
	s_waitcnt vmcnt(0)
	v_lshlrev_b32_e32 v14, 16, v14
	s_or_b64 exec, exec, s[46:47]
	s_and_saveexec_b64 s[46:47], s[6:7]
	s_cbranch_execz .LBB207_34
.LBB207_45:                             ;   in Loop: Header=BB207_3 Depth=1
	v_lshl_add_u64 v[56:57], v[44:45], 0, v[22:23]
	global_load_ushort v3, v[56:57], off
	v_lshl_add_u64 v[56:57], v[46:47], 0, v[22:23]
	global_load_ushort v15, v[56:57], off
	s_waitcnt vmcnt(1)
	v_lshlrev_b32_e32 v7, 16, v3
	s_waitcnt vmcnt(0)
	v_lshlrev_b32_e32 v15, 16, v15
	s_or_b64 exec, exec, s[46:47]
	s_and_saveexec_b64 s[46:47], s[6:7]
	s_cbranch_execz .LBB207_35
.LBB207_46:                             ;   in Loop: Header=BB207_3 Depth=1
	v_lshl_add_u64 v[56:57], v[40:41], 0, v[22:23]
	global_load_ushort v3, v[56:57], off
	v_lshl_add_u64 v[56:57], v[42:43], 0, v[22:23]
	global_load_ushort v16, v[56:57], off
	s_waitcnt vmcnt(1)
	v_lshlrev_b32_e32 v8, 16, v3
	s_waitcnt vmcnt(0)
	v_lshlrev_b32_e32 v16, 16, v16
	s_or_b64 exec, exec, s[46:47]
	s_and_saveexec_b64 s[46:47], s[6:7]
	s_cbranch_execz .LBB207_36
.LBB207_47:                             ;   in Loop: Header=BB207_3 Depth=1
	v_lshl_add_u64 v[56:57], v[36:37], 0, v[22:23]
	global_load_ushort v3, v[56:57], off
	v_lshl_add_u64 v[56:57], v[38:39], 0, v[22:23]
	global_load_ushort v17, v[56:57], off
	s_waitcnt vmcnt(1)
	v_lshlrev_b32_e32 v9, 16, v3
	s_waitcnt vmcnt(0)
	v_lshlrev_b32_e32 v17, 16, v17
	s_or_b64 exec, exec, s[46:47]
	s_and_saveexec_b64 s[46:47], s[6:7]
	s_cbranch_execz .LBB207_37
.LBB207_48:                             ;   in Loop: Header=BB207_3 Depth=1
	v_lshl_add_u64 v[56:57], v[32:33], 0, v[22:23]
	global_load_ushort v3, v[56:57], off
	v_lshl_add_u64 v[56:57], v[34:35], 0, v[22:23]
	global_load_ushort v18, v[56:57], off
	s_waitcnt vmcnt(1)
	v_lshlrev_b32_e32 v10, 16, v3
	s_waitcnt vmcnt(0)
	v_lshlrev_b32_e32 v18, 16, v18
	s_or_b64 exec, exec, s[46:47]
	s_and_saveexec_b64 s[46:47], s[6:7]
	s_cbranch_execnz .LBB207_38
	s_branch .LBB207_39
.LBB207_49:
                                        ; implicit-def: $vgpr3
	s_branch .LBB207_51
.LBB207_50:
	s_cbranch_execnz .LBB207_83
.LBB207_51:
	s_and_b64 vcc, exec, s[4:5]
	v_mov_b32_e32 v3, 0
	s_cbranch_vccnz .LBB207_83
; %bb.52:
	v_mov_b32_e32 v2, 0
	v_bfe_u32 v86, v0, 10, 10
	v_lshlrev_b32_e32 v6, 4, v86
	v_mov_b32_e32 v7, v2
	v_lshl_add_u64 v[6:7], s[18:19], 1, v[6:7]
	v_lshl_add_u64 v[8:9], v[6:7], 0, 2
	v_mov_b64_e32 v[10:11], s[12:13]
	v_lshl_add_u64 v[12:13], v[6:7], 0, 4
	v_lshl_add_u64 v[14:15], v[6:7], 0, 6
	;; [unrolled: 1-line block ×6, first 2 shown]
	v_mad_u64_u32 v[22:23], s[4:5], s10, v8, v[10:11]
	v_mad_u64_u32 v[24:25], s[4:5], s10, v12, v[10:11]
	;; [unrolled: 1-line block ×7, first 2 shown]
	v_mov_b64_e32 v[10:11], s[14:15]
	v_mul_lo_u32 v9, s10, v9
	v_mul_lo_u32 v38, s11, v8
	v_mad_u64_u32 v[36:37], s[4:5], s10, v8, v[10:11]
	v_add3_u32 v23, v38, v23, v9
	v_mul_lo_u32 v13, s10, v13
	v_mul_lo_u32 v40, s11, v12
	v_add3_u32 v37, v38, v37, v9
	v_mad_u64_u32 v[38:39], s[4:5], s10, v12, v[10:11]
	v_add3_u32 v25, v40, v25, v13
	v_mul_lo_u32 v15, s10, v15
	v_mul_lo_u32 v42, s11, v14
	v_add3_u32 v39, v40, v39, v13
	;; [unrolled: 5-line block ×3, first 2 shown]
	v_mad_u64_u32 v[42:43], s[4:5], s10, v16, v[10:11]
	v_lshlrev_b32_e32 v20, 3, v86
	v_mov_b32_e32 v21, v2
	v_add3_u32 v29, v44, v29, v17
	v_mul_lo_u32 v19, s10, v19
	v_mul_lo_u32 v48, s11, v18
	;; [unrolled: 1-line block ×4, first 2 shown]
	v_add3_u32 v43, v44, v43, v17
	v_mad_u64_u32 v[44:45], s[4:5], s10, v18, v[10:11]
	v_mad_u64_u32 v[46:47], s[4:5], s10, v46, v[10:11]
	v_lshl_add_u64 v[4:5], v[20:21], 0, s[18:19]
	v_add3_u32 v31, v48, v31, v19
	v_add3_u32 v33, v51, v33, v49
	v_mul_lo_u32 v7, s10, v7
	v_mul_lo_u32 v8, s11, v6
	v_add3_u32 v45, v48, v45, v19
	v_add3_u32 v47, v51, v47, v49
	v_mad_u64_u32 v[48:49], s[4:5], s10, v6, v[10:11]
	v_add3_u32 v35, v8, v35, v7
	v_add3_u32 v49, v8, v49, v7
	v_lshl_add_u64 v[6:7], v[4:5], 0, 7
	v_mul_lo_u32 v8, s11, v6
	v_mul_lo_u32 v9, s10, v7
	v_mad_u64_u32 v[6:7], s[4:5], s10, v6, 0
	v_add3_u32 v7, v7, v9, v8
	v_lshl_add_u64 v[8:9], v[4:5], 0, 6
	v_mul_lo_u32 v10, s11, v8
	v_mul_lo_u32 v11, s10, v9
	v_mad_u64_u32 v[8:9], s[4:5], s10, v8, 0
	;; [unrolled: 5-line block ×5, first 2 shown]
	v_add3_u32 v15, v15, v17, v16
	v_lshl_add_u64 v[16:17], v[4:5], 0, 2
	v_mul_lo_u32 v50, s10, v5
	v_mul_lo_u32 v5, s11, v16
	;; [unrolled: 1-line block ×3, first 2 shown]
	v_mad_u64_u32 v[16:17], s[4:5], s10, v16, 0
	v_add3_u32 v17, v17, v18, v5
	v_mov_b64_e32 v[18:19], s[10:11]
	v_mul_lo_u32 v3, s11, v4
	v_mad_u64_u32 v[18:19], s[4:5], s10, v4, v[18:19]
	v_mad_u64_u32 v[4:5], s[4:5], s10, v4, 0
	s_load_dword s3, s[0:1], 0x44
	v_add3_u32 v5, v5, v50, v3
	v_lshlrev_b64 v[4:5], 1, v[4:5]
	v_lshl_add_u64 v[52:53], s[12:13], 0, v[4:5]
	v_lshl_add_u64 v[54:55], s[14:15], 0, v[4:5]
	v_lshlrev_b64 v[4:5], 1, v[6:7]
	v_lshl_add_u64 v[56:57], s[12:13], 0, v[4:5]
	v_lshl_add_u64 v[58:59], s[14:15], 0, v[4:5]
	v_lshlrev_b64 v[4:5], 1, v[8:9]
	s_add_u32 s4, s0, 64
	v_lshl_add_u64 v[60:61], s[12:13], 0, v[4:5]
	v_lshl_add_u64 v[62:63], s[14:15], 0, v[4:5]
	v_lshlrev_b64 v[4:5], 1, v[10:11]
	s_addc_u32 s5, s1, 0
	s_waitcnt lgkmcnt(0)
	s_lshl_b32 s3, s3, 8
	v_lshl_add_u64 v[64:65], s[12:13], 0, v[4:5]
	v_lshl_add_u64 v[66:67], s[14:15], 0, v[4:5]
	v_lshlrev_b64 v[4:5], 1, v[12:13]
	s_mul_i32 s6, s11, s3
	s_mul_hi_u32 s7, s10, s3
	v_lshl_add_u64 v[68:69], s[12:13], 0, v[4:5]
	v_lshl_add_u64 v[70:71], s[14:15], 0, v[4:5]
	v_lshlrev_b64 v[4:5], 1, v[14:15]
	v_add3_u32 v19, v3, v19, v50
	s_add_i32 s7, s7, s6
	s_mul_i32 s6, s10, s3
	v_lshl_add_u64 v[72:73], s[12:13], 0, v[4:5]
	v_lshl_add_u64 v[74:75], s[14:15], 0, v[4:5]
	v_lshlrev_b64 v[4:5], 1, v[16:17]
	v_mbcnt_lo_u32_b32 v3, -1, 0
	v_and_b32_e32 v1, 0x3ff, v0
	s_lshl_b64 s[6:7], s[6:7], 1
	v_lshl_add_u64 v[76:77], s[12:13], 0, v[4:5]
	v_lshl_add_u64 v[78:79], s[14:15], 0, v[4:5]
	v_lshlrev_b64 v[4:5], 1, v[18:19]
	v_mbcnt_hi_u32_b32 v3, -1, v3
	v_add_u32_e32 v50, s33, v1
	v_mov_b32_e32 v51, v2
	s_add_u32 s20, s18, 0xff
	v_lshl_add_u64 v[80:81], s[12:13], 0, v[4:5]
	v_lshl_add_u64 v[82:83], s[14:15], 0, v[4:5]
	s_movk_i32 s12, 0xff01
	s_movk_i32 s14, 0xff02
	;; [unrolled: 1-line block ×8, first 2 shown]
	v_lshlrev_b32_e32 v3, 2, v3
	v_lshlrev_b64 v[50:51], 1, v[50:51]
	s_addc_u32 s21, 0, 0
	s_mov_b32 s13, -1
	s_mov_b32 s15, -1
	s_mov_b32 s23, -1
	s_mov_b32 s25, -1
	s_mov_b32 s27, -1
	s_mov_b32 s29, -1
	s_mov_b32 s31, -1
	s_mov_b32 s35, -1
	v_and_b32_e32 v87, 0x100, v3
	v_mov_b32_e32 v88, 0
.LBB207_53:                             ; =>This Inner Loop Header: Depth=1
	v_mov_b64_e32 v[4:5], s[8:9]
	v_cmp_ge_i64_e32 vcc, s[20:21], v[4:5]
	v_lshl_add_u64 v[84:85], v[20:21], 0, s[20:21]
	s_mov_b64 s[36:37], -1
                                        ; implicit-def: $vgpr3
	s_cbranch_vccz .LBB207_75
; %bb.54:                               ;   in Loop: Header=BB207_53 Depth=1
	s_load_dword s33, s[4:5], 0xc
	v_mov_b32_e32 v89, 0
	s_waitcnt lgkmcnt(0)
	s_and_b32 s33, s33, 0xffff
	v_mad_u32_u24 v3, v86, s33, v1
	v_and_b32_e32 v4, 63, v3
	v_cmp_gt_u32_e32 vcc, 8, v4
	s_and_saveexec_b64 s[36:37], vcc
	s_cbranch_execz .LBB207_58
; %bb.55:                               ;   in Loop: Header=BB207_53 Depth=1
	v_mov_b32_e32 v5, v2
	v_lshl_add_u64 v[4:5], v[84:85], 0, v[4:5]
	v_lshl_add_u64 v[4:5], v[4:5], 0, s[12:13]
	v_cmp_gt_i64_e32 vcc, s[8:9], v[4:5]
	v_mov_b32_e32 v89, 0
	s_and_saveexec_b64 s[38:39], vcc
	s_cbranch_execz .LBB207_57
; %bb.56:                               ;   in Loop: Header=BB207_53 Depth=1
	v_lshl_add_u64 v[4:5], v[4:5], 2, s[16:17]
	global_load_dword v89, v[4:5], off
.LBB207_57:                             ;   in Loop: Header=BB207_53 Depth=1
	s_or_b64 exec, exec, s[38:39]
.LBB207_58:                             ;   in Loop: Header=BB207_53 Depth=1
	s_or_b64 exec, exec, s[36:37]
	v_lshl_add_u64 v[4:5], v[84:85], 0, s[12:13]
	v_mov_b32_e32 v8, v2
	v_mov_b32_e32 v9, v2
	v_cmp_gt_i64_e32 vcc, s[8:9], v[4:5]
	v_mov_b32_e32 v3, v2
	v_mov_b32_e32 v4, v2
	;; [unrolled: 1-line block ×5, first 2 shown]
	v_mov_b64_e32 v[18:19], v[8:9]
	v_mov_b64_e32 v[16:17], v[6:7]
	;; [unrolled: 1-line block ×8, first 2 shown]
	s_and_saveexec_b64 s[36:37], vcc
	s_cbranch_execz .LBB207_60
; %bb.59:                               ;   in Loop: Header=BB207_53 Depth=1
	v_lshl_add_u64 v[4:5], v[52:53], 0, v[50:51]
	global_load_ushort v3, v[4:5], off
	v_lshl_add_u64 v[4:5], v[54:55], 0, v[50:51]
	global_load_ushort v12, v[4:5], off
	v_mov_b32_e32 v5, v2
	v_mov_b32_e32 v6, v2
	;; [unrolled: 1-line block ×14, first 2 shown]
	s_waitcnt vmcnt(1)
	v_lshlrev_b32_e32 v4, 16, v3
	s_waitcnt vmcnt(0)
	v_lshlrev_b32_e32 v12, 16, v12
.LBB207_60:                             ;   in Loop: Header=BB207_53 Depth=1
	s_or_b64 exec, exec, s[36:37]
	v_lshl_add_u64 v[90:91], v[84:85], 0, s[14:15]
	v_cmp_gt_i64_e32 vcc, s[8:9], v[90:91]
	s_and_saveexec_b64 s[36:37], vcc
	s_cbranch_execz .LBB207_62
; %bb.61:                               ;   in Loop: Header=BB207_53 Depth=1
	v_lshl_add_u64 v[90:91], v[80:81], 0, v[50:51]
	global_load_ushort v3, v[90:91], off
	v_lshl_add_u64 v[90:91], v[82:83], 0, v[50:51]
	global_load_ushort v13, v[90:91], off
	s_waitcnt vmcnt(1)
	v_lshlrev_b32_e32 v5, 16, v3
	s_waitcnt vmcnt(0)
	v_lshlrev_b32_e32 v13, 16, v13
.LBB207_62:                             ;   in Loop: Header=BB207_53 Depth=1
	s_or_b64 exec, exec, s[36:37]
	v_lshl_add_u64 v[90:91], v[84:85], 0, s[22:23]
	v_cmp_gt_i64_e32 vcc, s[8:9], v[90:91]
	s_and_saveexec_b64 s[36:37], vcc
	s_cbranch_execz .LBB207_64
; %bb.63:                               ;   in Loop: Header=BB207_53 Depth=1
	v_lshl_add_u64 v[90:91], v[76:77], 0, v[50:51]
	global_load_ushort v3, v[90:91], off
	v_lshl_add_u64 v[90:91], v[78:79], 0, v[50:51]
	global_load_ushort v14, v[90:91], off
	s_waitcnt vmcnt(1)
	v_lshlrev_b32_e32 v6, 16, v3
	s_waitcnt vmcnt(0)
	v_lshlrev_b32_e32 v14, 16, v14
.LBB207_64:                             ;   in Loop: Header=BB207_53 Depth=1
	;; [unrolled: 15-line block ×7, first 2 shown]
	s_or_b64 exec, exec, s[36:37]
	s_waitcnt vmcnt(0)
	ds_bpermute_b32 v90, v87, v89
	ds_bpermute_b32 v91, v87, v89 offset:4
	v_pk_mul_f32 v[6:7], v[14:15], v[6:7]
	ds_bpermute_b32 v14, v87, v89 offset:8
	ds_bpermute_b32 v15, v87, v89 offset:12
	v_pk_mul_f32 v[4:5], v[12:13], v[4:5]
	ds_bpermute_b32 v12, v87, v89 offset:24
	s_waitcnt lgkmcnt(3)
	v_pk_mul_f32 v[4:5], v[4:5], v[90:91]
	ds_bpermute_b32 v13, v87, v89 offset:28
	v_add_f32_e32 v3, v88, v4
	v_add_f32_e32 v3, v3, v5
	s_waitcnt lgkmcnt(2)
	v_pk_mul_f32 v[4:5], v[6:7], v[14:15]
	ds_bpermute_b32 v6, v87, v89 offset:16
	ds_bpermute_b32 v7, v87, v89 offset:20
	v_pk_mul_f32 v[8:9], v[16:17], v[8:9]
	v_add_f32_e32 v3, v3, v4
	v_add_f32_e32 v3, v3, v5
	v_pk_mul_f32 v[10:11], v[18:19], v[10:11]
	s_waitcnt lgkmcnt(0)
	v_pk_mul_f32 v[4:5], v[8:9], v[6:7]
	s_mov_b64 s[36:37], 0
	v_add_f32_e32 v3, v3, v4
	v_add_f32_e32 v3, v3, v5
	v_pk_mul_f32 v[4:5], v[10:11], v[12:13]
	s_nop 0
	v_add_f32_e32 v3, v3, v4
	v_add_f32_e32 v3, v3, v5
.LBB207_75:                             ;   in Loop: Header=BB207_53 Depth=1
	s_and_b64 vcc, exec, s[36:37]
	s_cbranch_vccz .LBB207_81
; %bb.76:                               ;   in Loop: Header=BB207_53 Depth=1
	s_load_dword s33, s[4:5], 0x0
	s_waitcnt lgkmcnt(0)
	s_cmp_lt_u32 s2, s33
	s_cselect_b32 s33, 12, 18
	s_add_u32 s36, s4, s33
	s_addc_u32 s37, s5, 0
	global_load_ushort v3, v2, s[36:37]
	s_waitcnt vmcnt(0)
	v_mad_u32_u24 v3, v86, v3, v1
	v_and_b32_e32 v4, 63, v3
	v_cmp_gt_u32_e32 vcc, 8, v4
	v_mov_b32_e32 v3, 0
	s_and_saveexec_b64 s[36:37], vcc
	s_cbranch_execz .LBB207_80
; %bb.77:                               ;   in Loop: Header=BB207_53 Depth=1
	v_mov_b32_e32 v5, v2
	v_lshl_add_u64 v[4:5], v[84:85], 0, v[4:5]
	v_lshl_add_u64 v[4:5], v[4:5], 0, s[12:13]
	v_cmp_gt_i64_e32 vcc, s[8:9], v[4:5]
	v_mov_b32_e32 v3, 0
	s_and_saveexec_b64 s[38:39], vcc
	s_cbranch_execz .LBB207_79
; %bb.78:                               ;   in Loop: Header=BB207_53 Depth=1
	v_lshl_add_u64 v[4:5], v[4:5], 2, s[16:17]
	global_load_dword v3, v[4:5], off
.LBB207_79:                             ;   in Loop: Header=BB207_53 Depth=1
	s_or_b64 exec, exec, s[38:39]
.LBB207_80:                             ;   in Loop: Header=BB207_53 Depth=1
	s_or_b64 exec, exec, s[36:37]
	v_lshl_add_u64 v[8:9], v[22:23], 0, v[50:51]
	v_lshl_add_u64 v[16:17], v[26:27], 0, v[50:51]
	;; [unrolled: 1-line block ×16, first 2 shown]
	global_load_ushort v89, v[8:9], off
	global_load_ushort v104, v[4:5], off
	;; [unrolled: 1-line block ×4, first 2 shown]
	s_nop 0
	global_load_ushort v16, v[16:17], off
	s_nop 0
	global_load_ushort v107, v[12:13], off
	;; [unrolled: 2-line block ×9, first 2 shown]
	global_load_ushort v95, v[96:97], off
	s_nop 0
	global_load_ushort v96, v[102:103], off
	global_load_ushort v97, v[98:99], off
	s_waitcnt vmcnt(16)
	ds_bpermute_b32 v4, v87, v3
	ds_bpermute_b32 v5, v87, v3 offset:4
	ds_bpermute_b32 v6, v87, v3 offset:8
	ds_bpermute_b32 v7, v87, v3 offset:12
	ds_bpermute_b32 v8, v87, v3 offset:16
	ds_bpermute_b32 v9, v87, v3 offset:20
	ds_bpermute_b32 v10, v87, v3 offset:24
	ds_bpermute_b32 v11, v87, v3 offset:28
	s_waitcnt vmcnt(15)
	v_lshlrev_b32_e32 v13, 16, v89
	s_waitcnt vmcnt(14)
	v_lshlrev_b32_e32 v12, 16, v104
	;; [unrolled: 2-line block ×4, first 2 shown]
	v_pk_mul_f32 v[12:13], v[12:13], v[14:15]
	s_waitcnt vmcnt(11)
	v_lshlrev_b32_e32 v17, 16, v16
	s_waitcnt vmcnt(10)
	v_lshlrev_b32_e32 v16, 16, v107
	;; [unrolled: 2-line block ×4, first 2 shown]
	s_waitcnt lgkmcnt(6)
	v_pk_mul_f32 v[4:5], v[12:13], v[4:5]
	v_pk_mul_f32 v[14:15], v[16:17], v[18:19]
	v_add_f32_e32 v3, v88, v4
	s_waitcnt vmcnt(7)
	v_lshlrev_b32_e32 v85, 16, v92
	s_waitcnt vmcnt(6)
	v_lshlrev_b32_e32 v84, 16, v84
	;; [unrolled: 2-line block ×4, first 2 shown]
	s_waitcnt lgkmcnt(4)
	v_pk_mul_f32 v[6:7], v[14:15], v[6:7]
	v_add_f32_e32 v3, v3, v5
	v_pk_mul_f32 v[16:17], v[84:85], v[90:91]
	v_add_f32_e32 v3, v3, v6
	s_waitcnt vmcnt(3)
	v_lshlrev_b32_e32 v93, 16, v94
	s_waitcnt vmcnt(2)
	v_lshlrev_b32_e32 v92, 16, v95
	;; [unrolled: 2-line block ×4, first 2 shown]
	s_waitcnt lgkmcnt(2)
	v_pk_mul_f32 v[8:9], v[16:17], v[8:9]
	v_add_f32_e32 v3, v3, v7
	v_pk_mul_f32 v[18:19], v[92:93], v[94:95]
	v_add_f32_e32 v3, v3, v8
	v_add_f32_e32 v3, v3, v9
	s_waitcnt lgkmcnt(0)
	v_pk_mul_f32 v[4:5], v[18:19], v[10:11]
	s_nop 0
	v_add_f32_e32 v3, v3, v4
	v_add_f32_e32 v3, v3, v5
.LBB207_81:                             ;   in Loop: Header=BB207_53 Depth=1
	s_add_u32 s18, s18, s3
	s_addc_u32 s19, s19, 0
	v_mov_b64_e32 v[4:5], s[8:9]
	s_add_u32 s20, s20, s3
	v_cmp_ge_i64_e32 vcc, s[18:19], v[4:5]
	v_lshl_add_u64 v[52:53], v[52:53], 0, s[6:7]
	v_lshl_add_u64 v[54:55], v[54:55], 0, s[6:7]
	s_addc_u32 s21, s21, 0
	v_lshl_add_u64 v[22:23], v[22:23], 0, s[6:7]
	v_lshl_add_u64 v[24:25], v[24:25], 0, s[6:7]
	;; [unrolled: 1-line block ×28, first 2 shown]
	s_cbranch_vccnz .LBB207_83
; %bb.82:                               ;   in Loop: Header=BB207_53 Depth=1
	v_mov_b32_e32 v88, v3
	s_branch .LBB207_53
.LBB207_83:
	v_and_b32_e32 v2, 0x3ff, v0
	v_bfe_u32 v0, v0, 10, 10
	v_mad_u32_u24 v1, v0, 33, v2
	v_lshl_add_u32 v4, v1, 2, 0
	ds_write_b32 v4, v3
	v_mov_b32_e32 v3, 0
	ds_write_b32 v4, v3 offset:4224
	v_sub_u32_e32 v4, v1, v0
	s_movk_i32 s3, 0x800
	v_cmp_gt_u32_e32 vcc, s3, v4
	s_waitcnt lgkmcnt(0)
	s_barrier
	s_and_saveexec_b64 s[4:5], vcc
	s_cbranch_execz .LBB207_93
; %bb.84:
	s_load_dwordx2 s[4:5], s[0:1], 0x30
	v_and_b32_e32 v1, 63, v4
	v_lshrrev_b32_e32 v0, 6, v4
	v_cmp_gt_u32_e64 s[0:1], 32, v1
	v_mul_u32_u24_e32 v1, 33, v1
                                        ; implicit-def: $vgpr3
	s_and_saveexec_b64 s[6:7], s[0:1]
; %bb.85:
	v_lshlrev_b32_e32 v3, 2, v0
	v_lshlrev_b32_e32 v5, 2, v1
	v_add3_u32 v3, 0, v3, v5
	ds_read_b32 v3, v3
; %bb.86:
	s_or_b64 exec, exec, s[6:7]
	v_mbcnt_lo_u32_b32 v5, -1, 0
	v_mbcnt_hi_u32_b32 v9, -1, v5
	v_and_b32_e32 v5, 64, v9
	v_add_u32_e32 v10, 64, v5
	v_xor_b32_e32 v5, 16, v9
	v_cmp_lt_i32_e32 vcc, v5, v10
	v_xor_b32_e32 v7, 8, v9
	v_xor_b32_e32 v8, 4, v9
	v_cndmask_b32_e32 v5, v9, v5, vcc
	v_lshlrev_b32_e32 v5, 2, v5
	s_waitcnt lgkmcnt(0)
	ds_bpermute_b32 v6, v5, v3
	v_cmp_lt_i32_e32 vcc, v7, v10
	v_xor_b32_e32 v11, 2, v9
	v_xor_b32_e32 v12, 1, v9
	s_mov_b32 s3, 0
	s_waitcnt lgkmcnt(0)
	v_add_f32_e32 v3, v3, v6
	v_cndmask_b32_e32 v6, v9, v7, vcc
	v_lshlrev_b32_e32 v6, 2, v6
	ds_bpermute_b32 v7, v6, v3
	v_cmp_lt_i32_e32 vcc, v8, v10
	s_lshl_b64 s[6:7], s[2:3], 5
	v_cmp_ne_u32_e64 s[2:3], 0, v2
	v_or_b32_e32 v2, s6, v0
	s_waitcnt lgkmcnt(0)
	v_add_f32_e32 v3, v3, v7
	v_cndmask_b32_e32 v7, v9, v8, vcc
	v_lshlrev_b32_e32 v7, 2, v7
	ds_bpermute_b32 v8, v7, v3
	v_cmp_lt_i32_e32 vcc, v11, v10
	s_cmp_eq_u64 s[4:5], 0
	s_cselect_b64 s[8:9], -1, 0
	s_waitcnt lgkmcnt(0)
	v_add_f32_e32 v3, v3, v8
	v_cndmask_b32_e32 v8, v9, v11, vcc
	v_lshlrev_b32_e32 v8, 2, v8
	ds_bpermute_b32 v11, v8, v3
	v_cmp_lt_i32_e32 vcc, v12, v10
	s_waitcnt lgkmcnt(0)
	v_add_f32_e32 v3, v3, v11
	v_cndmask_b32_e32 v9, v9, v12, vcc
	v_lshlrev_b32_e32 v9, 2, v9
	ds_bpermute_b32 v10, v9, v3
	s_waitcnt lgkmcnt(0)
	v_add_f32_e32 v10, v3, v10
	v_mov_b32_e32 v3, s7
	v_cmp_le_i64_e32 vcc, s[10:11], v[2:3]
	s_or_b64 s[12:13], s[2:3], vcc
	s_nor_b64 s[14:15], s[8:9], s[12:13]
	s_and_saveexec_b64 s[12:13], s[14:15]
	s_cbranch_execz .LBB207_88
; %bb.87:
	v_bfe_u32 v11, v10, 16, 1
	s_movk_i32 s14, 0x7fff
	v_add3_u32 v11, v10, v11, s14
	v_cmp_o_f32_e32 vcc, v10, v10
	v_mov_b32_e32 v12, 0x7fc0
	v_lshl_add_u64 v[2:3], v[2:3], 1, s[4:5]
	v_cndmask_b32_sdwa v11, v12, v11, vcc dst_sel:DWORD dst_unused:UNUSED_PAD src0_sel:DWORD src1_sel:WORD_1
	global_store_short v[2:3], v11, off
.LBB207_88:
	s_or_b64 exec, exec, s[12:13]
	s_movk_i32 s12, 0x400
	v_cmp_gt_u32_e32 vcc, s12, v4
	s_and_b64 exec, exec, vcc
	s_cbranch_execz .LBB207_93
; %bb.89:
	s_and_saveexec_b64 s[12:13], s[0:1]
; %bb.90:
	v_lshlrev_b32_e32 v2, 2, v0
	v_lshlrev_b32_e32 v1, 2, v1
	v_add3_u32 v1, 0, v2, v1
	ds_read_b32 v10, v1 offset:64
; %bb.91:
	s_or_b64 exec, exec, s[12:13]
	s_waitcnt lgkmcnt(0)
	ds_bpermute_b32 v1, v5, v10
	v_add_u32_e32 v4, 16, v0
	v_or_b32_e32 v4, s6, v4
	v_mov_b32_e32 v5, s7
	v_cmp_le_i64_e32 vcc, s[10:11], v[4:5]
	s_waitcnt lgkmcnt(0)
	v_add_f32_e32 v1, v10, v1
	ds_bpermute_b32 v2, v6, v1
	s_or_b64 s[0:1], s[2:3], vcc
	s_nor_b64 s[0:1], s[8:9], s[0:1]
	s_waitcnt lgkmcnt(0)
	v_add_f32_e32 v1, v1, v2
	ds_bpermute_b32 v2, v7, v1
	s_waitcnt lgkmcnt(0)
	v_add_f32_e32 v1, v1, v2
	ds_bpermute_b32 v2, v8, v1
	;; [unrolled: 3-line block ×3, first 2 shown]
	s_and_saveexec_b64 s[2:3], s[0:1]
	s_xor_b64 s[2:3], exec, s[2:3]
	s_cbranch_execz .LBB207_93
; %bb.92:
	s_waitcnt lgkmcnt(0)
	v_add_f32_e32 v2, v2, v3
	v_mov_b32_e32 v1, 0
	v_bfe_u32 v3, v2, 16, 1
	s_movk_i32 s0, 0x7fff
	v_add3_u32 v3, v2, v3, s0
	v_cmp_o_f32_e32 vcc, v2, v2
	v_mov_b32_e32 v2, 0x7fc0
	v_lshl_add_u64 v[0:1], s[6:7], 0, v[0:1]
	v_cndmask_b32_sdwa v2, v2, v3, vcc dst_sel:DWORD dst_unused:UNUSED_PAD src0_sel:DWORD src1_sel:WORD_1
	v_lshl_add_u64 v[0:1], v[0:1], 1, s[4:5]
	global_store_short v[0:1], v2, off offset:32
.LBB207_93:
	s_endpgm
	.section	.rodata,"a",@progbits
	.p2align	6, 0x0
	.amdhsa_kernel _ZN2at6native12_GLOBAL__N_135GammaBetaBackwardCUDAKernelTemplateIN3c108BFloat16EfLj32ELj32ELj256ELb0ELb0ELb1EEEvllPKT_S7_PKT0_SA_PS5_SB_
		.amdhsa_group_segment_fixed_size 0
		.amdhsa_private_segment_fixed_size 0
		.amdhsa_kernarg_size 320
		.amdhsa_user_sgpr_count 2
		.amdhsa_user_sgpr_dispatch_ptr 0
		.amdhsa_user_sgpr_queue_ptr 0
		.amdhsa_user_sgpr_kernarg_segment_ptr 1
		.amdhsa_user_sgpr_dispatch_id 0
		.amdhsa_user_sgpr_kernarg_preload_length 0
		.amdhsa_user_sgpr_kernarg_preload_offset 0
		.amdhsa_user_sgpr_private_segment_size 0
		.amdhsa_uses_dynamic_stack 0
		.amdhsa_enable_private_segment 0
		.amdhsa_system_sgpr_workgroup_id_x 1
		.amdhsa_system_sgpr_workgroup_id_y 1
		.amdhsa_system_sgpr_workgroup_id_z 0
		.amdhsa_system_sgpr_workgroup_info 0
		.amdhsa_system_vgpr_workitem_id 1
		.amdhsa_next_free_vgpr 109
		.amdhsa_next_free_sgpr 50
		.amdhsa_accum_offset 112
		.amdhsa_reserve_vcc 1
		.amdhsa_float_round_mode_32 0
		.amdhsa_float_round_mode_16_64 0
		.amdhsa_float_denorm_mode_32 3
		.amdhsa_float_denorm_mode_16_64 3
		.amdhsa_dx10_clamp 1
		.amdhsa_ieee_mode 1
		.amdhsa_fp16_overflow 0
		.amdhsa_tg_split 0
		.amdhsa_exception_fp_ieee_invalid_op 0
		.amdhsa_exception_fp_denorm_src 0
		.amdhsa_exception_fp_ieee_div_zero 0
		.amdhsa_exception_fp_ieee_overflow 0
		.amdhsa_exception_fp_ieee_underflow 0
		.amdhsa_exception_fp_ieee_inexact 0
		.amdhsa_exception_int_div_zero 0
	.end_amdhsa_kernel
	.section	.text._ZN2at6native12_GLOBAL__N_135GammaBetaBackwardCUDAKernelTemplateIN3c108BFloat16EfLj32ELj32ELj256ELb0ELb0ELb1EEEvllPKT_S7_PKT0_SA_PS5_SB_,"axG",@progbits,_ZN2at6native12_GLOBAL__N_135GammaBetaBackwardCUDAKernelTemplateIN3c108BFloat16EfLj32ELj32ELj256ELb0ELb0ELb1EEEvllPKT_S7_PKT0_SA_PS5_SB_,comdat
.Lfunc_end207:
	.size	_ZN2at6native12_GLOBAL__N_135GammaBetaBackwardCUDAKernelTemplateIN3c108BFloat16EfLj32ELj32ELj256ELb0ELb0ELb1EEEvllPKT_S7_PKT0_SA_PS5_SB_, .Lfunc_end207-_ZN2at6native12_GLOBAL__N_135GammaBetaBackwardCUDAKernelTemplateIN3c108BFloat16EfLj32ELj32ELj256ELb0ELb0ELb1EEEvllPKT_S7_PKT0_SA_PS5_SB_
                                        ; -- End function
	.set _ZN2at6native12_GLOBAL__N_135GammaBetaBackwardCUDAKernelTemplateIN3c108BFloat16EfLj32ELj32ELj256ELb0ELb0ELb1EEEvllPKT_S7_PKT0_SA_PS5_SB_.num_vgpr, 109
	.set _ZN2at6native12_GLOBAL__N_135GammaBetaBackwardCUDAKernelTemplateIN3c108BFloat16EfLj32ELj32ELj256ELb0ELb0ELb1EEEvllPKT_S7_PKT0_SA_PS5_SB_.num_agpr, 0
	.set _ZN2at6native12_GLOBAL__N_135GammaBetaBackwardCUDAKernelTemplateIN3c108BFloat16EfLj32ELj32ELj256ELb0ELb0ELb1EEEvllPKT_S7_PKT0_SA_PS5_SB_.numbered_sgpr, 50
	.set _ZN2at6native12_GLOBAL__N_135GammaBetaBackwardCUDAKernelTemplateIN3c108BFloat16EfLj32ELj32ELj256ELb0ELb0ELb1EEEvllPKT_S7_PKT0_SA_PS5_SB_.num_named_barrier, 0
	.set _ZN2at6native12_GLOBAL__N_135GammaBetaBackwardCUDAKernelTemplateIN3c108BFloat16EfLj32ELj32ELj256ELb0ELb0ELb1EEEvllPKT_S7_PKT0_SA_PS5_SB_.private_seg_size, 0
	.set _ZN2at6native12_GLOBAL__N_135GammaBetaBackwardCUDAKernelTemplateIN3c108BFloat16EfLj32ELj32ELj256ELb0ELb0ELb1EEEvllPKT_S7_PKT0_SA_PS5_SB_.uses_vcc, 1
	.set _ZN2at6native12_GLOBAL__N_135GammaBetaBackwardCUDAKernelTemplateIN3c108BFloat16EfLj32ELj32ELj256ELb0ELb0ELb1EEEvllPKT_S7_PKT0_SA_PS5_SB_.uses_flat_scratch, 0
	.set _ZN2at6native12_GLOBAL__N_135GammaBetaBackwardCUDAKernelTemplateIN3c108BFloat16EfLj32ELj32ELj256ELb0ELb0ELb1EEEvllPKT_S7_PKT0_SA_PS5_SB_.has_dyn_sized_stack, 0
	.set _ZN2at6native12_GLOBAL__N_135GammaBetaBackwardCUDAKernelTemplateIN3c108BFloat16EfLj32ELj32ELj256ELb0ELb0ELb1EEEvllPKT_S7_PKT0_SA_PS5_SB_.has_recursion, 0
	.set _ZN2at6native12_GLOBAL__N_135GammaBetaBackwardCUDAKernelTemplateIN3c108BFloat16EfLj32ELj32ELj256ELb0ELb0ELb1EEEvllPKT_S7_PKT0_SA_PS5_SB_.has_indirect_call, 0
	.section	.AMDGPU.csdata,"",@progbits
; Kernel info:
; codeLenInByte = 6872
; TotalNumSgprs: 56
; NumVgprs: 109
; NumAgprs: 0
; TotalNumVgprs: 109
; ScratchSize: 0
; MemoryBound: 0
; FloatMode: 240
; IeeeMode: 1
; LDSByteSize: 0 bytes/workgroup (compile time only)
; SGPRBlocks: 6
; VGPRBlocks: 13
; NumSGPRsForWavesPerEU: 56
; NumVGPRsForWavesPerEU: 109
; AccumOffset: 112
; Occupancy: 4
; WaveLimiterHint : 0
; COMPUTE_PGM_RSRC2:SCRATCH_EN: 0
; COMPUTE_PGM_RSRC2:USER_SGPR: 2
; COMPUTE_PGM_RSRC2:TRAP_HANDLER: 0
; COMPUTE_PGM_RSRC2:TGID_X_EN: 1
; COMPUTE_PGM_RSRC2:TGID_Y_EN: 1
; COMPUTE_PGM_RSRC2:TGID_Z_EN: 0
; COMPUTE_PGM_RSRC2:TIDIG_COMP_CNT: 1
; COMPUTE_PGM_RSRC3_GFX90A:ACCUM_OFFSET: 27
; COMPUTE_PGM_RSRC3_GFX90A:TG_SPLIT: 0
	.section	.AMDGPU.gpr_maximums,"",@progbits
	.set amdgpu.max_num_vgpr, 0
	.set amdgpu.max_num_agpr, 0
	.set amdgpu.max_num_sgpr, 0
	.section	.AMDGPU.csdata,"",@progbits
	.type	__hip_cuid_2869066d62390fc0,@object ; @__hip_cuid_2869066d62390fc0
	.section	.bss,"aw",@nobits
	.globl	__hip_cuid_2869066d62390fc0
__hip_cuid_2869066d62390fc0:
	.byte	0                               ; 0x0
	.size	__hip_cuid_2869066d62390fc0, 1

	.ident	"AMD clang version 22.0.0git (https://github.com/RadeonOpenCompute/llvm-project roc-7.2.4 26084 f58b06dce1f9c15707c5f808fd002e18c2accf7e)"
	.section	".note.GNU-stack","",@progbits
	.addrsig
	.addrsig_sym __hip_cuid_2869066d62390fc0
	.amdgpu_metadata
---
amdhsa.kernels:
  - .agpr_count:     0
    .args:
      - .offset:         0
        .size:           4
        .value_kind:     by_value
      - .offset:         8
        .size:           8
        .value_kind:     by_value
      - .actual_access:  read_only
        .address_space:  global
        .offset:         16
        .size:           8
        .value_kind:     global_buffer
      - .address_space:  global
        .offset:         24
        .size:           8
        .value_kind:     global_buffer
      - .address_space:  global
        .offset:         32
        .size:           8
        .value_kind:     global_buffer
      - .address_space:  global
        .offset:         40
        .size:           8
        .value_kind:     global_buffer
      - .address_space:  global
        .offset:         48
        .size:           8
        .value_kind:     global_buffer
      - .address_space:  global
        .offset:         56
        .size:           8
        .value_kind:     global_buffer
    .group_segment_fixed_size: 0
    .kernarg_segment_align: 8
    .kernarg_segment_size: 64
    .language:       OpenCL C
    .language_version:
      - 2
      - 0
    .max_flat_workgroup_size: 1024
    .name:           _ZN2at6native12_GLOBAL__N_128vectorized_layer_norm_kernelIddLb0EEEviT0_PKT_S6_S6_PS3_S7_PS4_
    .private_segment_fixed_size: 0
    .sgpr_count:     6
    .sgpr_spill_count: 0
    .symbol:         _ZN2at6native12_GLOBAL__N_128vectorized_layer_norm_kernelIddLb0EEEviT0_PKT_S6_S6_PS3_S7_PS4_.kd
    .uniform_work_group_size: 1
    .uses_dynamic_stack: false
    .vgpr_count:     0
    .vgpr_spill_count: 0
    .wavefront_size: 64
  - .agpr_count:     0
    .args:
      - .offset:         0
        .size:           8
        .value_kind:     by_value
      - .offset:         8
        .size:           8
        .value_kind:     by_value
      - .address_space:  global
        .offset:         16
        .size:           8
        .value_kind:     global_buffer
      - .address_space:  global
        .offset:         24
        .size:           8
        .value_kind:     global_buffer
      - .address_space:  global
        .offset:         32
        .size:           8
        .value_kind:     global_buffer
      - .offset:         40
        .size:           4
        .value_kind:     hidden_block_count_x
      - .offset:         44
        .size:           4
        .value_kind:     hidden_block_count_y
      - .offset:         48
        .size:           4
        .value_kind:     hidden_block_count_z
      - .offset:         52
        .size:           2
        .value_kind:     hidden_group_size_x
      - .offset:         54
        .size:           2
        .value_kind:     hidden_group_size_y
      - .offset:         56
        .size:           2
        .value_kind:     hidden_group_size_z
      - .offset:         58
        .size:           2
        .value_kind:     hidden_remainder_x
      - .offset:         60
        .size:           2
        .value_kind:     hidden_remainder_y
      - .offset:         62
        .size:           2
        .value_kind:     hidden_remainder_z
      - .offset:         80
        .size:           8
        .value_kind:     hidden_global_offset_x
      - .offset:         88
        .size:           8
        .value_kind:     hidden_global_offset_y
      - .offset:         96
        .size:           8
        .value_kind:     hidden_global_offset_z
      - .offset:         104
        .size:           2
        .value_kind:     hidden_grid_dims
    .group_segment_fixed_size: 2048
    .kernarg_segment_align: 8
    .kernarg_segment_size: 296
    .language:       OpenCL C
    .language_version:
      - 2
      - 0
    .max_flat_workgroup_size: 1024
    .name:           _ZN2at6native12_GLOBAL__N_124RowwiseMomentsCUDAKernelIddLb0EEEvlT0_PKT_PS3_S7_
    .private_segment_fixed_size: 0
    .sgpr_count:     30
    .sgpr_spill_count: 0
    .symbol:         _ZN2at6native12_GLOBAL__N_124RowwiseMomentsCUDAKernelIddLb0EEEvlT0_PKT_PS3_S7_.kd
    .uniform_work_group_size: 1
    .uses_dynamic_stack: false
    .vgpr_count:     30
    .vgpr_spill_count: 0
    .wavefront_size: 64
  - .agpr_count:     0
    .args:
      - .offset:         0
        .size:           8
        .value_kind:     by_value
      - .address_space:  global
        .offset:         8
        .size:           8
        .value_kind:     global_buffer
      - .address_space:  global
        .offset:         16
        .size:           8
        .value_kind:     global_buffer
      - .address_space:  global
        .offset:         24
        .size:           8
        .value_kind:     global_buffer
      - .address_space:  global
        .offset:         32
        .size:           8
        .value_kind:     global_buffer
      - .address_space:  global
        .offset:         40
        .size:           8
        .value_kind:     global_buffer
      - .address_space:  global
        .offset:         48
        .size:           8
        .value_kind:     global_buffer
      - .offset:         56
        .size:           4
        .value_kind:     hidden_block_count_x
      - .offset:         60
        .size:           4
        .value_kind:     hidden_block_count_y
      - .offset:         64
        .size:           4
        .value_kind:     hidden_block_count_z
      - .offset:         68
        .size:           2
        .value_kind:     hidden_group_size_x
      - .offset:         70
        .size:           2
        .value_kind:     hidden_group_size_y
      - .offset:         72
        .size:           2
        .value_kind:     hidden_group_size_z
      - .offset:         74
        .size:           2
        .value_kind:     hidden_remainder_x
      - .offset:         76
        .size:           2
        .value_kind:     hidden_remainder_y
      - .offset:         78
        .size:           2
        .value_kind:     hidden_remainder_z
      - .offset:         96
        .size:           8
        .value_kind:     hidden_global_offset_x
      - .offset:         104
        .size:           8
        .value_kind:     hidden_global_offset_y
      - .offset:         112
        .size:           8
        .value_kind:     hidden_global_offset_z
      - .offset:         120
        .size:           2
        .value_kind:     hidden_grid_dims
    .group_segment_fixed_size: 0
    .kernarg_segment_align: 8
    .kernarg_segment_size: 312
    .language:       OpenCL C
    .language_version:
      - 2
      - 0
    .max_flat_workgroup_size: 1024
    .name:           _ZN2at6native12_GLOBAL__N_126LayerNormForwardCUDAKernelIddLb0EEEvlPKT_PKT0_S8_S5_S5_PS3_
    .private_segment_fixed_size: 0
    .sgpr_count:     32
    .sgpr_spill_count: 0
    .symbol:         _ZN2at6native12_GLOBAL__N_126LayerNormForwardCUDAKernelIddLb0EEEvlPKT_PKT0_S8_S5_S5_PS3_.kd
    .uniform_work_group_size: 1
    .uses_dynamic_stack: false
    .vgpr_count:     18
    .vgpr_spill_count: 0
    .wavefront_size: 64
  - .agpr_count:     0
    .args:
      - .offset:         0
        .size:           4
        .value_kind:     by_value
      - .offset:         4
        .size:           4
        .value_kind:     by_value
      - .actual_access:  read_only
        .address_space:  global
        .offset:         8
        .size:           8
        .value_kind:     global_buffer
      - .address_space:  global
        .offset:         16
        .size:           8
        .value_kind:     global_buffer
      - .address_space:  global
        .offset:         24
        .size:           8
        .value_kind:     global_buffer
      - .address_space:  global
        .offset:         32
        .size:           8
        .value_kind:     global_buffer
      - .address_space:  global
        .offset:         40
        .size:           8
        .value_kind:     global_buffer
      - .address_space:  global
        .offset:         48
        .size:           8
        .value_kind:     global_buffer
      - .offset:         56
        .size:           4
        .value_kind:     hidden_block_count_x
      - .offset:         60
        .size:           4
        .value_kind:     hidden_block_count_y
      - .offset:         64
        .size:           4
        .value_kind:     hidden_block_count_z
      - .offset:         68
        .size:           2
        .value_kind:     hidden_group_size_x
      - .offset:         70
        .size:           2
        .value_kind:     hidden_group_size_y
      - .offset:         72
        .size:           2
        .value_kind:     hidden_group_size_z
      - .offset:         74
        .size:           2
        .value_kind:     hidden_remainder_x
      - .offset:         76
        .size:           2
        .value_kind:     hidden_remainder_y
      - .offset:         78
        .size:           2
        .value_kind:     hidden_remainder_z
      - .offset:         96
        .size:           8
        .value_kind:     hidden_global_offset_x
      - .offset:         104
        .size:           8
        .value_kind:     hidden_global_offset_y
      - .offset:         112
        .size:           8
        .value_kind:     hidden_global_offset_z
      - .offset:         120
        .size:           2
        .value_kind:     hidden_grid_dims
      - .offset:         176
        .size:           4
        .value_kind:     hidden_dynamic_lds_size
    .group_segment_fixed_size: 0
    .kernarg_segment_align: 8
    .kernarg_segment_size: 312
    .language:       OpenCL C
    .language_version:
      - 2
      - 0
    .max_flat_workgroup_size: 1024
    .name:           _ZN2at6native12_GLOBAL__N_128vectorized_layer_norm_kernelIffLb0EEEviT0_PKT_S6_S6_PS3_S7_PS4_
    .private_segment_fixed_size: 0
    .sgpr_count:     37
    .sgpr_spill_count: 0
    .symbol:         _ZN2at6native12_GLOBAL__N_128vectorized_layer_norm_kernelIffLb0EEEviT0_PKT_S6_S6_PS3_S7_PS4_.kd
    .uniform_work_group_size: 1
    .uses_dynamic_stack: false
    .vgpr_count:     34
    .vgpr_spill_count: 0
    .wavefront_size: 64
  - .agpr_count:     0
    .args:
      - .offset:         0
        .size:           8
        .value_kind:     by_value
      - .offset:         8
        .size:           4
        .value_kind:     by_value
      - .address_space:  global
        .offset:         16
        .size:           8
        .value_kind:     global_buffer
      - .address_space:  global
        .offset:         24
        .size:           8
        .value_kind:     global_buffer
      - .address_space:  global
        .offset:         32
        .size:           8
        .value_kind:     global_buffer
      - .offset:         40
        .size:           4
        .value_kind:     hidden_block_count_x
      - .offset:         44
        .size:           4
        .value_kind:     hidden_block_count_y
      - .offset:         48
        .size:           4
        .value_kind:     hidden_block_count_z
      - .offset:         52
        .size:           2
        .value_kind:     hidden_group_size_x
      - .offset:         54
        .size:           2
        .value_kind:     hidden_group_size_y
      - .offset:         56
        .size:           2
        .value_kind:     hidden_group_size_z
      - .offset:         58
        .size:           2
        .value_kind:     hidden_remainder_x
      - .offset:         60
        .size:           2
        .value_kind:     hidden_remainder_y
      - .offset:         62
        .size:           2
        .value_kind:     hidden_remainder_z
      - .offset:         80
        .size:           8
        .value_kind:     hidden_global_offset_x
      - .offset:         88
        .size:           8
        .value_kind:     hidden_global_offset_y
      - .offset:         96
        .size:           8
        .value_kind:     hidden_global_offset_z
      - .offset:         104
        .size:           2
        .value_kind:     hidden_grid_dims
    .group_segment_fixed_size: 1536
    .kernarg_segment_align: 8
    .kernarg_segment_size: 296
    .language:       OpenCL C
    .language_version:
      - 2
      - 0
    .max_flat_workgroup_size: 1024
    .name:           _ZN2at6native12_GLOBAL__N_124RowwiseMomentsCUDAKernelIffLb0EEEvlT0_PKT_PS3_S7_
    .private_segment_fixed_size: 0
    .sgpr_count:     29
    .sgpr_spill_count: 0
    .symbol:         _ZN2at6native12_GLOBAL__N_124RowwiseMomentsCUDAKernelIffLb0EEEvlT0_PKT_PS3_S7_.kd
    .uniform_work_group_size: 1
    .uses_dynamic_stack: false
    .vgpr_count:     21
    .vgpr_spill_count: 0
    .wavefront_size: 64
  - .agpr_count:     0
    .args:
      - .offset:         0
        .size:           8
        .value_kind:     by_value
      - .address_space:  global
        .offset:         8
        .size:           8
        .value_kind:     global_buffer
      - .address_space:  global
        .offset:         16
        .size:           8
        .value_kind:     global_buffer
      - .address_space:  global
        .offset:         24
        .size:           8
        .value_kind:     global_buffer
      - .address_space:  global
        .offset:         32
        .size:           8
        .value_kind:     global_buffer
      - .address_space:  global
        .offset:         40
        .size:           8
        .value_kind:     global_buffer
      - .address_space:  global
        .offset:         48
        .size:           8
        .value_kind:     global_buffer
      - .offset:         56
        .size:           4
        .value_kind:     hidden_block_count_x
      - .offset:         60
        .size:           4
        .value_kind:     hidden_block_count_y
      - .offset:         64
        .size:           4
        .value_kind:     hidden_block_count_z
      - .offset:         68
        .size:           2
        .value_kind:     hidden_group_size_x
      - .offset:         70
        .size:           2
        .value_kind:     hidden_group_size_y
      - .offset:         72
        .size:           2
        .value_kind:     hidden_group_size_z
      - .offset:         74
        .size:           2
        .value_kind:     hidden_remainder_x
      - .offset:         76
        .size:           2
        .value_kind:     hidden_remainder_y
      - .offset:         78
        .size:           2
        .value_kind:     hidden_remainder_z
      - .offset:         96
        .size:           8
        .value_kind:     hidden_global_offset_x
      - .offset:         104
        .size:           8
        .value_kind:     hidden_global_offset_y
      - .offset:         112
        .size:           8
        .value_kind:     hidden_global_offset_z
      - .offset:         120
        .size:           2
        .value_kind:     hidden_grid_dims
    .group_segment_fixed_size: 0
    .kernarg_segment_align: 8
    .kernarg_segment_size: 312
    .language:       OpenCL C
    .language_version:
      - 2
      - 0
    .max_flat_workgroup_size: 1024
    .name:           _ZN2at6native12_GLOBAL__N_126LayerNormForwardCUDAKernelIffLb0EEEvlPKT_PKT0_S8_S5_S5_PS3_
    .private_segment_fixed_size: 0
    .sgpr_count:     32
    .sgpr_spill_count: 0
    .symbol:         _ZN2at6native12_GLOBAL__N_126LayerNormForwardCUDAKernelIffLb0EEEvlPKT_PKT0_S8_S5_S5_PS3_.kd
    .uniform_work_group_size: 1
    .uses_dynamic_stack: false
    .vgpr_count:     12
    .vgpr_spill_count: 0
    .wavefront_size: 64
  - .agpr_count:     0
    .args:
      - .offset:         0
        .size:           4
        .value_kind:     by_value
      - .offset:         4
        .size:           4
        .value_kind:     by_value
      - .actual_access:  read_only
        .address_space:  global
        .offset:         8
        .size:           8
        .value_kind:     global_buffer
      - .address_space:  global
        .offset:         16
        .size:           8
        .value_kind:     global_buffer
      - .address_space:  global
        .offset:         24
        .size:           8
        .value_kind:     global_buffer
      - .address_space:  global
        .offset:         32
        .size:           8
        .value_kind:     global_buffer
      - .address_space:  global
        .offset:         40
        .size:           8
        .value_kind:     global_buffer
      - .address_space:  global
        .offset:         48
        .size:           8
        .value_kind:     global_buffer
      - .offset:         56
        .size:           4
        .value_kind:     hidden_block_count_x
      - .offset:         60
        .size:           4
        .value_kind:     hidden_block_count_y
      - .offset:         64
        .size:           4
        .value_kind:     hidden_block_count_z
      - .offset:         68
        .size:           2
        .value_kind:     hidden_group_size_x
      - .offset:         70
        .size:           2
        .value_kind:     hidden_group_size_y
      - .offset:         72
        .size:           2
        .value_kind:     hidden_group_size_z
      - .offset:         74
        .size:           2
        .value_kind:     hidden_remainder_x
      - .offset:         76
        .size:           2
        .value_kind:     hidden_remainder_y
      - .offset:         78
        .size:           2
        .value_kind:     hidden_remainder_z
      - .offset:         96
        .size:           8
        .value_kind:     hidden_global_offset_x
      - .offset:         104
        .size:           8
        .value_kind:     hidden_global_offset_y
      - .offset:         112
        .size:           8
        .value_kind:     hidden_global_offset_z
      - .offset:         120
        .size:           2
        .value_kind:     hidden_grid_dims
      - .offset:         176
        .size:           4
        .value_kind:     hidden_dynamic_lds_size
    .group_segment_fixed_size: 0
    .kernarg_segment_align: 8
    .kernarg_segment_size: 312
    .language:       OpenCL C
    .language_version:
      - 2
      - 0
    .max_flat_workgroup_size: 1024
    .name:           _ZN2at6native12_GLOBAL__N_128vectorized_layer_norm_kernelIN3c104HalfEfLb0EEEviT0_PKT_S8_S8_PS5_S9_PS6_
    .private_segment_fixed_size: 0
    .sgpr_count:     37
    .sgpr_spill_count: 0
    .symbol:         _ZN2at6native12_GLOBAL__N_128vectorized_layer_norm_kernelIN3c104HalfEfLb0EEEviT0_PKT_S8_S8_PS5_S9_PS6_.kd
    .uniform_work_group_size: 1
    .uses_dynamic_stack: false
    .vgpr_count:     32
    .vgpr_spill_count: 0
    .wavefront_size: 64
  - .agpr_count:     0
    .args:
      - .offset:         0
        .size:           8
        .value_kind:     by_value
      - .offset:         8
        .size:           4
        .value_kind:     by_value
      - .address_space:  global
        .offset:         16
        .size:           8
        .value_kind:     global_buffer
      - .address_space:  global
        .offset:         24
        .size:           8
        .value_kind:     global_buffer
      - .address_space:  global
        .offset:         32
        .size:           8
        .value_kind:     global_buffer
      - .offset:         40
        .size:           4
        .value_kind:     hidden_block_count_x
      - .offset:         44
        .size:           4
        .value_kind:     hidden_block_count_y
      - .offset:         48
        .size:           4
        .value_kind:     hidden_block_count_z
      - .offset:         52
        .size:           2
        .value_kind:     hidden_group_size_x
      - .offset:         54
        .size:           2
        .value_kind:     hidden_group_size_y
      - .offset:         56
        .size:           2
        .value_kind:     hidden_group_size_z
      - .offset:         58
        .size:           2
        .value_kind:     hidden_remainder_x
      - .offset:         60
        .size:           2
        .value_kind:     hidden_remainder_y
      - .offset:         62
        .size:           2
        .value_kind:     hidden_remainder_z
      - .offset:         80
        .size:           8
        .value_kind:     hidden_global_offset_x
      - .offset:         88
        .size:           8
        .value_kind:     hidden_global_offset_y
      - .offset:         96
        .size:           8
        .value_kind:     hidden_global_offset_z
      - .offset:         104
        .size:           2
        .value_kind:     hidden_grid_dims
    .group_segment_fixed_size: 1536
    .kernarg_segment_align: 8
    .kernarg_segment_size: 296
    .language:       OpenCL C
    .language_version:
      - 2
      - 0
    .max_flat_workgroup_size: 1024
    .name:           _ZN2at6native12_GLOBAL__N_124RowwiseMomentsCUDAKernelIN3c104HalfEfLb0EEEvlT0_PKT_PS5_S9_
    .private_segment_fixed_size: 0
    .sgpr_count:     29
    .sgpr_spill_count: 0
    .symbol:         _ZN2at6native12_GLOBAL__N_124RowwiseMomentsCUDAKernelIN3c104HalfEfLb0EEEvlT0_PKT_PS5_S9_.kd
    .uniform_work_group_size: 1
    .uses_dynamic_stack: false
    .vgpr_count:     21
    .vgpr_spill_count: 0
    .wavefront_size: 64
  - .agpr_count:     0
    .args:
      - .offset:         0
        .size:           8
        .value_kind:     by_value
      - .address_space:  global
        .offset:         8
        .size:           8
        .value_kind:     global_buffer
      - .address_space:  global
        .offset:         16
        .size:           8
        .value_kind:     global_buffer
      - .address_space:  global
        .offset:         24
        .size:           8
        .value_kind:     global_buffer
      - .address_space:  global
        .offset:         32
        .size:           8
        .value_kind:     global_buffer
      - .address_space:  global
        .offset:         40
        .size:           8
        .value_kind:     global_buffer
      - .address_space:  global
        .offset:         48
        .size:           8
        .value_kind:     global_buffer
      - .offset:         56
        .size:           4
        .value_kind:     hidden_block_count_x
      - .offset:         60
        .size:           4
        .value_kind:     hidden_block_count_y
      - .offset:         64
        .size:           4
        .value_kind:     hidden_block_count_z
      - .offset:         68
        .size:           2
        .value_kind:     hidden_group_size_x
      - .offset:         70
        .size:           2
        .value_kind:     hidden_group_size_y
      - .offset:         72
        .size:           2
        .value_kind:     hidden_group_size_z
      - .offset:         74
        .size:           2
        .value_kind:     hidden_remainder_x
      - .offset:         76
        .size:           2
        .value_kind:     hidden_remainder_y
      - .offset:         78
        .size:           2
        .value_kind:     hidden_remainder_z
      - .offset:         96
        .size:           8
        .value_kind:     hidden_global_offset_x
      - .offset:         104
        .size:           8
        .value_kind:     hidden_global_offset_y
      - .offset:         112
        .size:           8
        .value_kind:     hidden_global_offset_z
      - .offset:         120
        .size:           2
        .value_kind:     hidden_grid_dims
    .group_segment_fixed_size: 0
    .kernarg_segment_align: 8
    .kernarg_segment_size: 312
    .language:       OpenCL C
    .language_version:
      - 2
      - 0
    .max_flat_workgroup_size: 1024
    .name:           _ZN2at6native12_GLOBAL__N_126LayerNormForwardCUDAKernelIN3c104HalfEfLb0EEEvlPKT_PKT0_SA_S7_S7_PS5_
    .private_segment_fixed_size: 0
    .sgpr_count:     35
    .sgpr_spill_count: 0
    .symbol:         _ZN2at6native12_GLOBAL__N_126LayerNormForwardCUDAKernelIN3c104HalfEfLb0EEEvlPKT_PKT0_SA_S7_S7_PS5_.kd
    .uniform_work_group_size: 1
    .uses_dynamic_stack: false
    .vgpr_count:     9
    .vgpr_spill_count: 0
    .wavefront_size: 64
  - .agpr_count:     0
    .args:
      - .offset:         0
        .size:           4
        .value_kind:     by_value
      - .offset:         4
        .size:           4
        .value_kind:     by_value
      - .actual_access:  read_only
        .address_space:  global
        .offset:         8
        .size:           8
        .value_kind:     global_buffer
      - .address_space:  global
        .offset:         16
        .size:           8
        .value_kind:     global_buffer
      - .address_space:  global
        .offset:         24
        .size:           8
        .value_kind:     global_buffer
      - .address_space:  global
        .offset:         32
        .size:           8
        .value_kind:     global_buffer
      - .address_space:  global
        .offset:         40
        .size:           8
        .value_kind:     global_buffer
      - .address_space:  global
        .offset:         48
        .size:           8
        .value_kind:     global_buffer
      - .offset:         56
        .size:           4
        .value_kind:     hidden_block_count_x
      - .offset:         60
        .size:           4
        .value_kind:     hidden_block_count_y
      - .offset:         64
        .size:           4
        .value_kind:     hidden_block_count_z
      - .offset:         68
        .size:           2
        .value_kind:     hidden_group_size_x
      - .offset:         70
        .size:           2
        .value_kind:     hidden_group_size_y
      - .offset:         72
        .size:           2
        .value_kind:     hidden_group_size_z
      - .offset:         74
        .size:           2
        .value_kind:     hidden_remainder_x
      - .offset:         76
        .size:           2
        .value_kind:     hidden_remainder_y
      - .offset:         78
        .size:           2
        .value_kind:     hidden_remainder_z
      - .offset:         96
        .size:           8
        .value_kind:     hidden_global_offset_x
      - .offset:         104
        .size:           8
        .value_kind:     hidden_global_offset_y
      - .offset:         112
        .size:           8
        .value_kind:     hidden_global_offset_z
      - .offset:         120
        .size:           2
        .value_kind:     hidden_grid_dims
      - .offset:         176
        .size:           4
        .value_kind:     hidden_dynamic_lds_size
    .group_segment_fixed_size: 0
    .kernarg_segment_align: 8
    .kernarg_segment_size: 312
    .language:       OpenCL C
    .language_version:
      - 2
      - 0
    .max_flat_workgroup_size: 1024
    .name:           _ZN2at6native12_GLOBAL__N_128vectorized_layer_norm_kernelIN3c108BFloat16EfLb0EEEviT0_PKT_S8_S8_PS5_S9_PS6_
    .private_segment_fixed_size: 0
    .sgpr_count:     37
    .sgpr_spill_count: 0
    .symbol:         _ZN2at6native12_GLOBAL__N_128vectorized_layer_norm_kernelIN3c108BFloat16EfLb0EEEviT0_PKT_S8_S8_PS5_S9_PS6_.kd
    .uniform_work_group_size: 1
    .uses_dynamic_stack: false
    .vgpr_count:     32
    .vgpr_spill_count: 0
    .wavefront_size: 64
  - .agpr_count:     0
    .args:
      - .offset:         0
        .size:           8
        .value_kind:     by_value
      - .offset:         8
        .size:           4
        .value_kind:     by_value
      - .address_space:  global
        .offset:         16
        .size:           8
        .value_kind:     global_buffer
      - .address_space:  global
        .offset:         24
        .size:           8
        .value_kind:     global_buffer
      - .address_space:  global
        .offset:         32
        .size:           8
        .value_kind:     global_buffer
      - .offset:         40
        .size:           4
        .value_kind:     hidden_block_count_x
      - .offset:         44
        .size:           4
        .value_kind:     hidden_block_count_y
      - .offset:         48
        .size:           4
        .value_kind:     hidden_block_count_z
      - .offset:         52
        .size:           2
        .value_kind:     hidden_group_size_x
      - .offset:         54
        .size:           2
        .value_kind:     hidden_group_size_y
      - .offset:         56
        .size:           2
        .value_kind:     hidden_group_size_z
      - .offset:         58
        .size:           2
        .value_kind:     hidden_remainder_x
      - .offset:         60
        .size:           2
        .value_kind:     hidden_remainder_y
      - .offset:         62
        .size:           2
        .value_kind:     hidden_remainder_z
      - .offset:         80
        .size:           8
        .value_kind:     hidden_global_offset_x
      - .offset:         88
        .size:           8
        .value_kind:     hidden_global_offset_y
      - .offset:         96
        .size:           8
        .value_kind:     hidden_global_offset_z
      - .offset:         104
        .size:           2
        .value_kind:     hidden_grid_dims
    .group_segment_fixed_size: 1536
    .kernarg_segment_align: 8
    .kernarg_segment_size: 296
    .language:       OpenCL C
    .language_version:
      - 2
      - 0
    .max_flat_workgroup_size: 1024
    .name:           _ZN2at6native12_GLOBAL__N_124RowwiseMomentsCUDAKernelIN3c108BFloat16EfLb0EEEvlT0_PKT_PS5_S9_
    .private_segment_fixed_size: 0
    .sgpr_count:     29
    .sgpr_spill_count: 0
    .symbol:         _ZN2at6native12_GLOBAL__N_124RowwiseMomentsCUDAKernelIN3c108BFloat16EfLb0EEEvlT0_PKT_PS5_S9_.kd
    .uniform_work_group_size: 1
    .uses_dynamic_stack: false
    .vgpr_count:     21
    .vgpr_spill_count: 0
    .wavefront_size: 64
  - .agpr_count:     0
    .args:
      - .offset:         0
        .size:           8
        .value_kind:     by_value
      - .address_space:  global
        .offset:         8
        .size:           8
        .value_kind:     global_buffer
      - .address_space:  global
        .offset:         16
        .size:           8
        .value_kind:     global_buffer
      - .address_space:  global
        .offset:         24
        .size:           8
        .value_kind:     global_buffer
      - .address_space:  global
        .offset:         32
        .size:           8
        .value_kind:     global_buffer
      - .address_space:  global
        .offset:         40
        .size:           8
        .value_kind:     global_buffer
      - .address_space:  global
        .offset:         48
        .size:           8
        .value_kind:     global_buffer
      - .offset:         56
        .size:           4
        .value_kind:     hidden_block_count_x
      - .offset:         60
        .size:           4
        .value_kind:     hidden_block_count_y
      - .offset:         64
        .size:           4
        .value_kind:     hidden_block_count_z
      - .offset:         68
        .size:           2
        .value_kind:     hidden_group_size_x
      - .offset:         70
        .size:           2
        .value_kind:     hidden_group_size_y
      - .offset:         72
        .size:           2
        .value_kind:     hidden_group_size_z
      - .offset:         74
        .size:           2
        .value_kind:     hidden_remainder_x
      - .offset:         76
        .size:           2
        .value_kind:     hidden_remainder_y
      - .offset:         78
        .size:           2
        .value_kind:     hidden_remainder_z
      - .offset:         96
        .size:           8
        .value_kind:     hidden_global_offset_x
      - .offset:         104
        .size:           8
        .value_kind:     hidden_global_offset_y
      - .offset:         112
        .size:           8
        .value_kind:     hidden_global_offset_z
      - .offset:         120
        .size:           2
        .value_kind:     hidden_grid_dims
    .group_segment_fixed_size: 0
    .kernarg_segment_align: 8
    .kernarg_segment_size: 312
    .language:       OpenCL C
    .language_version:
      - 2
      - 0
    .max_flat_workgroup_size: 1024
    .name:           _ZN2at6native12_GLOBAL__N_126LayerNormForwardCUDAKernelIN3c108BFloat16EfLb0EEEvlPKT_PKT0_SA_S7_S7_PS5_
    .private_segment_fixed_size: 0
    .sgpr_count:     35
    .sgpr_spill_count: 0
    .symbol:         _ZN2at6native12_GLOBAL__N_126LayerNormForwardCUDAKernelIN3c108BFloat16EfLb0EEEvlPKT_PKT0_SA_S7_S7_PS5_.kd
    .uniform_work_group_size: 1
    .uses_dynamic_stack: false
    .vgpr_count:     10
    .vgpr_spill_count: 0
    .wavefront_size: 64
  - .agpr_count:     0
    .args:
      - .offset:         0
        .size:           4
        .value_kind:     by_value
      - .offset:         8
        .size:           8
        .value_kind:     by_value
      - .actual_access:  read_only
        .address_space:  global
        .offset:         16
        .size:           8
        .value_kind:     global_buffer
      - .address_space:  global
        .offset:         24
        .size:           8
        .value_kind:     global_buffer
      - .address_space:  global
        .offset:         32
        .size:           8
        .value_kind:     global_buffer
      - .address_space:  global
        .offset:         40
        .size:           8
        .value_kind:     global_buffer
      - .address_space:  global
        .offset:         48
        .size:           8
        .value_kind:     global_buffer
      - .address_space:  global
        .offset:         56
        .size:           8
        .value_kind:     global_buffer
    .group_segment_fixed_size: 0
    .kernarg_segment_align: 8
    .kernarg_segment_size: 64
    .language:       OpenCL C
    .language_version:
      - 2
      - 0
    .max_flat_workgroup_size: 1024
    .name:           _ZN2at6native12_GLOBAL__N_128vectorized_layer_norm_kernelIddLb1EEEviT0_PKT_S6_S6_PS3_S7_PS4_
    .private_segment_fixed_size: 0
    .sgpr_count:     6
    .sgpr_spill_count: 0
    .symbol:         _ZN2at6native12_GLOBAL__N_128vectorized_layer_norm_kernelIddLb1EEEviT0_PKT_S6_S6_PS3_S7_PS4_.kd
    .uniform_work_group_size: 1
    .uses_dynamic_stack: false
    .vgpr_count:     0
    .vgpr_spill_count: 0
    .wavefront_size: 64
  - .agpr_count:     0
    .args:
      - .offset:         0
        .size:           8
        .value_kind:     by_value
      - .offset:         8
        .size:           8
        .value_kind:     by_value
      - .address_space:  global
        .offset:         16
        .size:           8
        .value_kind:     global_buffer
      - .address_space:  global
        .offset:         24
        .size:           8
        .value_kind:     global_buffer
      - .address_space:  global
        .offset:         32
        .size:           8
        .value_kind:     global_buffer
      - .offset:         40
        .size:           4
        .value_kind:     hidden_block_count_x
      - .offset:         44
        .size:           4
        .value_kind:     hidden_block_count_y
      - .offset:         48
        .size:           4
        .value_kind:     hidden_block_count_z
      - .offset:         52
        .size:           2
        .value_kind:     hidden_group_size_x
      - .offset:         54
        .size:           2
        .value_kind:     hidden_group_size_y
      - .offset:         56
        .size:           2
        .value_kind:     hidden_group_size_z
      - .offset:         58
        .size:           2
        .value_kind:     hidden_remainder_x
      - .offset:         60
        .size:           2
        .value_kind:     hidden_remainder_y
      - .offset:         62
        .size:           2
        .value_kind:     hidden_remainder_z
      - .offset:         80
        .size:           8
        .value_kind:     hidden_global_offset_x
      - .offset:         88
        .size:           8
        .value_kind:     hidden_global_offset_y
      - .offset:         96
        .size:           8
        .value_kind:     hidden_global_offset_z
      - .offset:         104
        .size:           2
        .value_kind:     hidden_grid_dims
    .group_segment_fixed_size: 2048
    .kernarg_segment_align: 8
    .kernarg_segment_size: 296
    .language:       OpenCL C
    .language_version:
      - 2
      - 0
    .max_flat_workgroup_size: 1024
    .name:           _ZN2at6native12_GLOBAL__N_124RowwiseMomentsCUDAKernelIddLb1EEEvlT0_PKT_PS3_S7_
    .private_segment_fixed_size: 0
    .sgpr_count:     26
    .sgpr_spill_count: 0
    .symbol:         _ZN2at6native12_GLOBAL__N_124RowwiseMomentsCUDAKernelIddLb1EEEvlT0_PKT_PS3_S7_.kd
    .uniform_work_group_size: 1
    .uses_dynamic_stack: false
    .vgpr_count:     30
    .vgpr_spill_count: 0
    .wavefront_size: 64
  - .agpr_count:     0
    .args:
      - .offset:         0
        .size:           8
        .value_kind:     by_value
      - .address_space:  global
        .offset:         8
        .size:           8
        .value_kind:     global_buffer
      - .address_space:  global
        .offset:         16
        .size:           8
        .value_kind:     global_buffer
      - .address_space:  global
        .offset:         24
        .size:           8
        .value_kind:     global_buffer
      - .address_space:  global
        .offset:         32
        .size:           8
        .value_kind:     global_buffer
      - .address_space:  global
        .offset:         40
        .size:           8
        .value_kind:     global_buffer
      - .address_space:  global
        .offset:         48
        .size:           8
        .value_kind:     global_buffer
      - .offset:         56
        .size:           4
        .value_kind:     hidden_block_count_x
      - .offset:         60
        .size:           4
        .value_kind:     hidden_block_count_y
      - .offset:         64
        .size:           4
        .value_kind:     hidden_block_count_z
      - .offset:         68
        .size:           2
        .value_kind:     hidden_group_size_x
      - .offset:         70
        .size:           2
        .value_kind:     hidden_group_size_y
      - .offset:         72
        .size:           2
        .value_kind:     hidden_group_size_z
      - .offset:         74
        .size:           2
        .value_kind:     hidden_remainder_x
      - .offset:         76
        .size:           2
        .value_kind:     hidden_remainder_y
      - .offset:         78
        .size:           2
        .value_kind:     hidden_remainder_z
      - .offset:         96
        .size:           8
        .value_kind:     hidden_global_offset_x
      - .offset:         104
        .size:           8
        .value_kind:     hidden_global_offset_y
      - .offset:         112
        .size:           8
        .value_kind:     hidden_global_offset_z
      - .offset:         120
        .size:           2
        .value_kind:     hidden_grid_dims
    .group_segment_fixed_size: 0
    .kernarg_segment_align: 8
    .kernarg_segment_size: 312
    .language:       OpenCL C
    .language_version:
      - 2
      - 0
    .max_flat_workgroup_size: 1024
    .name:           _ZN2at6native12_GLOBAL__N_126LayerNormForwardCUDAKernelIddLb1EEEvlPKT_PKT0_S8_S5_S5_PS3_
    .private_segment_fixed_size: 0
    .sgpr_count:     26
    .sgpr_spill_count: 0
    .symbol:         _ZN2at6native12_GLOBAL__N_126LayerNormForwardCUDAKernelIddLb1EEEvlPKT_PKT0_S8_S5_S5_PS3_.kd
    .uniform_work_group_size: 1
    .uses_dynamic_stack: false
    .vgpr_count:     14
    .vgpr_spill_count: 0
    .wavefront_size: 64
  - .agpr_count:     0
    .args:
      - .offset:         0
        .size:           4
        .value_kind:     by_value
      - .offset:         4
        .size:           4
        .value_kind:     by_value
      - .actual_access:  read_only
        .address_space:  global
        .offset:         8
        .size:           8
        .value_kind:     global_buffer
      - .address_space:  global
        .offset:         16
        .size:           8
        .value_kind:     global_buffer
      - .address_space:  global
        .offset:         24
        .size:           8
        .value_kind:     global_buffer
      - .address_space:  global
        .offset:         32
        .size:           8
        .value_kind:     global_buffer
      - .address_space:  global
        .offset:         40
        .size:           8
        .value_kind:     global_buffer
      - .address_space:  global
        .offset:         48
        .size:           8
        .value_kind:     global_buffer
      - .offset:         56
        .size:           4
        .value_kind:     hidden_block_count_x
      - .offset:         60
        .size:           4
        .value_kind:     hidden_block_count_y
      - .offset:         64
        .size:           4
        .value_kind:     hidden_block_count_z
      - .offset:         68
        .size:           2
        .value_kind:     hidden_group_size_x
      - .offset:         70
        .size:           2
        .value_kind:     hidden_group_size_y
      - .offset:         72
        .size:           2
        .value_kind:     hidden_group_size_z
      - .offset:         74
        .size:           2
        .value_kind:     hidden_remainder_x
      - .offset:         76
        .size:           2
        .value_kind:     hidden_remainder_y
      - .offset:         78
        .size:           2
        .value_kind:     hidden_remainder_z
      - .offset:         96
        .size:           8
        .value_kind:     hidden_global_offset_x
      - .offset:         104
        .size:           8
        .value_kind:     hidden_global_offset_y
      - .offset:         112
        .size:           8
        .value_kind:     hidden_global_offset_z
      - .offset:         120
        .size:           2
        .value_kind:     hidden_grid_dims
      - .offset:         176
        .size:           4
        .value_kind:     hidden_dynamic_lds_size
    .group_segment_fixed_size: 0
    .kernarg_segment_align: 8
    .kernarg_segment_size: 312
    .language:       OpenCL C
    .language_version:
      - 2
      - 0
    .max_flat_workgroup_size: 1024
    .name:           _ZN2at6native12_GLOBAL__N_128vectorized_layer_norm_kernelIffLb1EEEviT0_PKT_S6_S6_PS3_S7_PS4_
    .private_segment_fixed_size: 0
    .sgpr_count:     35
    .sgpr_spill_count: 0
    .symbol:         _ZN2at6native12_GLOBAL__N_128vectorized_layer_norm_kernelIffLb1EEEviT0_PKT_S6_S6_PS3_S7_PS4_.kd
    .uniform_work_group_size: 1
    .uses_dynamic_stack: false
    .vgpr_count:     20
    .vgpr_spill_count: 0
    .wavefront_size: 64
  - .agpr_count:     0
    .args:
      - .offset:         0
        .size:           8
        .value_kind:     by_value
      - .offset:         8
        .size:           4
        .value_kind:     by_value
      - .address_space:  global
        .offset:         16
        .size:           8
        .value_kind:     global_buffer
      - .address_space:  global
        .offset:         24
        .size:           8
        .value_kind:     global_buffer
      - .address_space:  global
        .offset:         32
        .size:           8
        .value_kind:     global_buffer
      - .offset:         40
        .size:           4
        .value_kind:     hidden_block_count_x
      - .offset:         44
        .size:           4
        .value_kind:     hidden_block_count_y
      - .offset:         48
        .size:           4
        .value_kind:     hidden_block_count_z
      - .offset:         52
        .size:           2
        .value_kind:     hidden_group_size_x
      - .offset:         54
        .size:           2
        .value_kind:     hidden_group_size_y
      - .offset:         56
        .size:           2
        .value_kind:     hidden_group_size_z
      - .offset:         58
        .size:           2
        .value_kind:     hidden_remainder_x
      - .offset:         60
        .size:           2
        .value_kind:     hidden_remainder_y
      - .offset:         62
        .size:           2
        .value_kind:     hidden_remainder_z
      - .offset:         80
        .size:           8
        .value_kind:     hidden_global_offset_x
      - .offset:         88
        .size:           8
        .value_kind:     hidden_global_offset_y
      - .offset:         96
        .size:           8
        .value_kind:     hidden_global_offset_z
      - .offset:         104
        .size:           2
        .value_kind:     hidden_grid_dims
    .group_segment_fixed_size: 1536
    .kernarg_segment_align: 8
    .kernarg_segment_size: 296
    .language:       OpenCL C
    .language_version:
      - 2
      - 0
    .max_flat_workgroup_size: 1024
    .name:           _ZN2at6native12_GLOBAL__N_124RowwiseMomentsCUDAKernelIffLb1EEEvlT0_PKT_PS3_S7_
    .private_segment_fixed_size: 0
    .sgpr_count:     25
    .sgpr_spill_count: 0
    .symbol:         _ZN2at6native12_GLOBAL__N_124RowwiseMomentsCUDAKernelIffLb1EEEvlT0_PKT_PS3_S7_.kd
    .uniform_work_group_size: 1
    .uses_dynamic_stack: false
    .vgpr_count:     21
    .vgpr_spill_count: 0
    .wavefront_size: 64
  - .agpr_count:     0
    .args:
      - .offset:         0
        .size:           8
        .value_kind:     by_value
      - .address_space:  global
        .offset:         8
        .size:           8
        .value_kind:     global_buffer
      - .address_space:  global
        .offset:         16
        .size:           8
        .value_kind:     global_buffer
      - .address_space:  global
        .offset:         24
        .size:           8
        .value_kind:     global_buffer
      - .address_space:  global
        .offset:         32
        .size:           8
        .value_kind:     global_buffer
      - .address_space:  global
        .offset:         40
        .size:           8
        .value_kind:     global_buffer
      - .address_space:  global
        .offset:         48
        .size:           8
        .value_kind:     global_buffer
      - .offset:         56
        .size:           4
        .value_kind:     hidden_block_count_x
      - .offset:         60
        .size:           4
        .value_kind:     hidden_block_count_y
      - .offset:         64
        .size:           4
        .value_kind:     hidden_block_count_z
      - .offset:         68
        .size:           2
        .value_kind:     hidden_group_size_x
      - .offset:         70
        .size:           2
        .value_kind:     hidden_group_size_y
      - .offset:         72
        .size:           2
        .value_kind:     hidden_group_size_z
      - .offset:         74
        .size:           2
        .value_kind:     hidden_remainder_x
      - .offset:         76
        .size:           2
        .value_kind:     hidden_remainder_y
      - .offset:         78
        .size:           2
        .value_kind:     hidden_remainder_z
      - .offset:         96
        .size:           8
        .value_kind:     hidden_global_offset_x
      - .offset:         104
        .size:           8
        .value_kind:     hidden_global_offset_y
      - .offset:         112
        .size:           8
        .value_kind:     hidden_global_offset_z
      - .offset:         120
        .size:           2
        .value_kind:     hidden_grid_dims
    .group_segment_fixed_size: 0
    .kernarg_segment_align: 8
    .kernarg_segment_size: 312
    .language:       OpenCL C
    .language_version:
      - 2
      - 0
    .max_flat_workgroup_size: 1024
    .name:           _ZN2at6native12_GLOBAL__N_126LayerNormForwardCUDAKernelIffLb1EEEvlPKT_PKT0_S8_S5_S5_PS3_
    .private_segment_fixed_size: 0
    .sgpr_count:     26
    .sgpr_spill_count: 0
    .symbol:         _ZN2at6native12_GLOBAL__N_126LayerNormForwardCUDAKernelIffLb1EEEvlPKT_PKT0_S8_S5_S5_PS3_.kd
    .uniform_work_group_size: 1
    .uses_dynamic_stack: false
    .vgpr_count:     10
    .vgpr_spill_count: 0
    .wavefront_size: 64
  - .agpr_count:     0
    .args:
      - .offset:         0
        .size:           4
        .value_kind:     by_value
      - .offset:         4
        .size:           4
        .value_kind:     by_value
      - .actual_access:  read_only
        .address_space:  global
        .offset:         8
        .size:           8
        .value_kind:     global_buffer
      - .address_space:  global
        .offset:         16
        .size:           8
        .value_kind:     global_buffer
      - .address_space:  global
        .offset:         24
        .size:           8
        .value_kind:     global_buffer
      - .address_space:  global
        .offset:         32
        .size:           8
        .value_kind:     global_buffer
      - .address_space:  global
        .offset:         40
        .size:           8
        .value_kind:     global_buffer
      - .address_space:  global
        .offset:         48
        .size:           8
        .value_kind:     global_buffer
      - .offset:         56
        .size:           4
        .value_kind:     hidden_block_count_x
      - .offset:         60
        .size:           4
        .value_kind:     hidden_block_count_y
      - .offset:         64
        .size:           4
        .value_kind:     hidden_block_count_z
      - .offset:         68
        .size:           2
        .value_kind:     hidden_group_size_x
      - .offset:         70
        .size:           2
        .value_kind:     hidden_group_size_y
      - .offset:         72
        .size:           2
        .value_kind:     hidden_group_size_z
      - .offset:         74
        .size:           2
        .value_kind:     hidden_remainder_x
      - .offset:         76
        .size:           2
        .value_kind:     hidden_remainder_y
      - .offset:         78
        .size:           2
        .value_kind:     hidden_remainder_z
      - .offset:         96
        .size:           8
        .value_kind:     hidden_global_offset_x
      - .offset:         104
        .size:           8
        .value_kind:     hidden_global_offset_y
      - .offset:         112
        .size:           8
        .value_kind:     hidden_global_offset_z
      - .offset:         120
        .size:           2
        .value_kind:     hidden_grid_dims
      - .offset:         176
        .size:           4
        .value_kind:     hidden_dynamic_lds_size
    .group_segment_fixed_size: 0
    .kernarg_segment_align: 8
    .kernarg_segment_size: 312
    .language:       OpenCL C
    .language_version:
      - 2
      - 0
    .max_flat_workgroup_size: 1024
    .name:           _ZN2at6native12_GLOBAL__N_128vectorized_layer_norm_kernelIN3c104HalfEfLb1EEEviT0_PKT_S8_S8_PS5_S9_PS6_
    .private_segment_fixed_size: 0
    .sgpr_count:     35
    .sgpr_spill_count: 0
    .symbol:         _ZN2at6native12_GLOBAL__N_128vectorized_layer_norm_kernelIN3c104HalfEfLb1EEEviT0_PKT_S8_S8_PS5_S9_PS6_.kd
    .uniform_work_group_size: 1
    .uses_dynamic_stack: false
    .vgpr_count:     24
    .vgpr_spill_count: 0
    .wavefront_size: 64
  - .agpr_count:     0
    .args:
      - .offset:         0
        .size:           8
        .value_kind:     by_value
      - .offset:         8
        .size:           4
        .value_kind:     by_value
      - .address_space:  global
        .offset:         16
        .size:           8
        .value_kind:     global_buffer
      - .address_space:  global
        .offset:         24
        .size:           8
        .value_kind:     global_buffer
      - .address_space:  global
        .offset:         32
        .size:           8
        .value_kind:     global_buffer
      - .offset:         40
        .size:           4
        .value_kind:     hidden_block_count_x
      - .offset:         44
        .size:           4
        .value_kind:     hidden_block_count_y
      - .offset:         48
        .size:           4
        .value_kind:     hidden_block_count_z
      - .offset:         52
        .size:           2
        .value_kind:     hidden_group_size_x
      - .offset:         54
        .size:           2
        .value_kind:     hidden_group_size_y
      - .offset:         56
        .size:           2
        .value_kind:     hidden_group_size_z
      - .offset:         58
        .size:           2
        .value_kind:     hidden_remainder_x
      - .offset:         60
        .size:           2
        .value_kind:     hidden_remainder_y
      - .offset:         62
        .size:           2
        .value_kind:     hidden_remainder_z
      - .offset:         80
        .size:           8
        .value_kind:     hidden_global_offset_x
      - .offset:         88
        .size:           8
        .value_kind:     hidden_global_offset_y
      - .offset:         96
        .size:           8
        .value_kind:     hidden_global_offset_z
      - .offset:         104
        .size:           2
        .value_kind:     hidden_grid_dims
    .group_segment_fixed_size: 1536
    .kernarg_segment_align: 8
    .kernarg_segment_size: 296
    .language:       OpenCL C
    .language_version:
      - 2
      - 0
    .max_flat_workgroup_size: 1024
    .name:           _ZN2at6native12_GLOBAL__N_124RowwiseMomentsCUDAKernelIN3c104HalfEfLb1EEEvlT0_PKT_PS5_S9_
    .private_segment_fixed_size: 0
    .sgpr_count:     25
    .sgpr_spill_count: 0
    .symbol:         _ZN2at6native12_GLOBAL__N_124RowwiseMomentsCUDAKernelIN3c104HalfEfLb1EEEvlT0_PKT_PS5_S9_.kd
    .uniform_work_group_size: 1
    .uses_dynamic_stack: false
    .vgpr_count:     21
    .vgpr_spill_count: 0
    .wavefront_size: 64
  - .agpr_count:     0
    .args:
      - .offset:         0
        .size:           8
        .value_kind:     by_value
      - .address_space:  global
        .offset:         8
        .size:           8
        .value_kind:     global_buffer
      - .address_space:  global
        .offset:         16
        .size:           8
        .value_kind:     global_buffer
      - .address_space:  global
        .offset:         24
        .size:           8
        .value_kind:     global_buffer
      - .address_space:  global
        .offset:         32
        .size:           8
        .value_kind:     global_buffer
      - .address_space:  global
        .offset:         40
        .size:           8
        .value_kind:     global_buffer
      - .address_space:  global
        .offset:         48
        .size:           8
        .value_kind:     global_buffer
      - .offset:         56
        .size:           4
        .value_kind:     hidden_block_count_x
      - .offset:         60
        .size:           4
        .value_kind:     hidden_block_count_y
      - .offset:         64
        .size:           4
        .value_kind:     hidden_block_count_z
      - .offset:         68
        .size:           2
        .value_kind:     hidden_group_size_x
      - .offset:         70
        .size:           2
        .value_kind:     hidden_group_size_y
      - .offset:         72
        .size:           2
        .value_kind:     hidden_group_size_z
      - .offset:         74
        .size:           2
        .value_kind:     hidden_remainder_x
      - .offset:         76
        .size:           2
        .value_kind:     hidden_remainder_y
      - .offset:         78
        .size:           2
        .value_kind:     hidden_remainder_z
      - .offset:         96
        .size:           8
        .value_kind:     hidden_global_offset_x
      - .offset:         104
        .size:           8
        .value_kind:     hidden_global_offset_y
      - .offset:         112
        .size:           8
        .value_kind:     hidden_global_offset_z
      - .offset:         120
        .size:           2
        .value_kind:     hidden_grid_dims
    .group_segment_fixed_size: 0
    .kernarg_segment_align: 8
    .kernarg_segment_size: 312
    .language:       OpenCL C
    .language_version:
      - 2
      - 0
    .max_flat_workgroup_size: 1024
    .name:           _ZN2at6native12_GLOBAL__N_126LayerNormForwardCUDAKernelIN3c104HalfEfLb1EEEvlPKT_PKT0_SA_S7_S7_PS5_
    .private_segment_fixed_size: 0
    .sgpr_count:     26
    .sgpr_spill_count: 0
    .symbol:         _ZN2at6native12_GLOBAL__N_126LayerNormForwardCUDAKernelIN3c104HalfEfLb1EEEvlPKT_PKT0_SA_S7_S7_PS5_.kd
    .uniform_work_group_size: 1
    .uses_dynamic_stack: false
    .vgpr_count:     8
    .vgpr_spill_count: 0
    .wavefront_size: 64
  - .agpr_count:     0
    .args:
      - .offset:         0
        .size:           4
        .value_kind:     by_value
      - .offset:         4
        .size:           4
        .value_kind:     by_value
      - .actual_access:  read_only
        .address_space:  global
        .offset:         8
        .size:           8
        .value_kind:     global_buffer
      - .address_space:  global
        .offset:         16
        .size:           8
        .value_kind:     global_buffer
      - .address_space:  global
        .offset:         24
        .size:           8
        .value_kind:     global_buffer
      - .address_space:  global
        .offset:         32
        .size:           8
        .value_kind:     global_buffer
      - .address_space:  global
        .offset:         40
        .size:           8
        .value_kind:     global_buffer
      - .address_space:  global
        .offset:         48
        .size:           8
        .value_kind:     global_buffer
      - .offset:         56
        .size:           4
        .value_kind:     hidden_block_count_x
      - .offset:         60
        .size:           4
        .value_kind:     hidden_block_count_y
      - .offset:         64
        .size:           4
        .value_kind:     hidden_block_count_z
      - .offset:         68
        .size:           2
        .value_kind:     hidden_group_size_x
      - .offset:         70
        .size:           2
        .value_kind:     hidden_group_size_y
      - .offset:         72
        .size:           2
        .value_kind:     hidden_group_size_z
      - .offset:         74
        .size:           2
        .value_kind:     hidden_remainder_x
      - .offset:         76
        .size:           2
        .value_kind:     hidden_remainder_y
      - .offset:         78
        .size:           2
        .value_kind:     hidden_remainder_z
      - .offset:         96
        .size:           8
        .value_kind:     hidden_global_offset_x
      - .offset:         104
        .size:           8
        .value_kind:     hidden_global_offset_y
      - .offset:         112
        .size:           8
        .value_kind:     hidden_global_offset_z
      - .offset:         120
        .size:           2
        .value_kind:     hidden_grid_dims
      - .offset:         176
        .size:           4
        .value_kind:     hidden_dynamic_lds_size
    .group_segment_fixed_size: 0
    .kernarg_segment_align: 8
    .kernarg_segment_size: 312
    .language:       OpenCL C
    .language_version:
      - 2
      - 0
    .max_flat_workgroup_size: 1024
    .name:           _ZN2at6native12_GLOBAL__N_128vectorized_layer_norm_kernelIN3c108BFloat16EfLb1EEEviT0_PKT_S8_S8_PS5_S9_PS6_
    .private_segment_fixed_size: 0
    .sgpr_count:     35
    .sgpr_spill_count: 0
    .symbol:         _ZN2at6native12_GLOBAL__N_128vectorized_layer_norm_kernelIN3c108BFloat16EfLb1EEEviT0_PKT_S8_S8_PS5_S9_PS6_.kd
    .uniform_work_group_size: 1
    .uses_dynamic_stack: false
    .vgpr_count:     25
    .vgpr_spill_count: 0
    .wavefront_size: 64
  - .agpr_count:     0
    .args:
      - .offset:         0
        .size:           8
        .value_kind:     by_value
      - .offset:         8
        .size:           4
        .value_kind:     by_value
      - .address_space:  global
        .offset:         16
        .size:           8
        .value_kind:     global_buffer
      - .address_space:  global
        .offset:         24
        .size:           8
        .value_kind:     global_buffer
      - .address_space:  global
        .offset:         32
        .size:           8
        .value_kind:     global_buffer
      - .offset:         40
        .size:           4
        .value_kind:     hidden_block_count_x
      - .offset:         44
        .size:           4
        .value_kind:     hidden_block_count_y
      - .offset:         48
        .size:           4
        .value_kind:     hidden_block_count_z
      - .offset:         52
        .size:           2
        .value_kind:     hidden_group_size_x
      - .offset:         54
        .size:           2
        .value_kind:     hidden_group_size_y
      - .offset:         56
        .size:           2
        .value_kind:     hidden_group_size_z
      - .offset:         58
        .size:           2
        .value_kind:     hidden_remainder_x
      - .offset:         60
        .size:           2
        .value_kind:     hidden_remainder_y
      - .offset:         62
        .size:           2
        .value_kind:     hidden_remainder_z
      - .offset:         80
        .size:           8
        .value_kind:     hidden_global_offset_x
      - .offset:         88
        .size:           8
        .value_kind:     hidden_global_offset_y
      - .offset:         96
        .size:           8
        .value_kind:     hidden_global_offset_z
      - .offset:         104
        .size:           2
        .value_kind:     hidden_grid_dims
    .group_segment_fixed_size: 1536
    .kernarg_segment_align: 8
    .kernarg_segment_size: 296
    .language:       OpenCL C
    .language_version:
      - 2
      - 0
    .max_flat_workgroup_size: 1024
    .name:           _ZN2at6native12_GLOBAL__N_124RowwiseMomentsCUDAKernelIN3c108BFloat16EfLb1EEEvlT0_PKT_PS5_S9_
    .private_segment_fixed_size: 0
    .sgpr_count:     25
    .sgpr_spill_count: 0
    .symbol:         _ZN2at6native12_GLOBAL__N_124RowwiseMomentsCUDAKernelIN3c108BFloat16EfLb1EEEvlT0_PKT_PS5_S9_.kd
    .uniform_work_group_size: 1
    .uses_dynamic_stack: false
    .vgpr_count:     21
    .vgpr_spill_count: 0
    .wavefront_size: 64
  - .agpr_count:     0
    .args:
      - .offset:         0
        .size:           8
        .value_kind:     by_value
      - .address_space:  global
        .offset:         8
        .size:           8
        .value_kind:     global_buffer
      - .address_space:  global
        .offset:         16
        .size:           8
        .value_kind:     global_buffer
      - .address_space:  global
        .offset:         24
        .size:           8
        .value_kind:     global_buffer
      - .address_space:  global
        .offset:         32
        .size:           8
        .value_kind:     global_buffer
      - .address_space:  global
        .offset:         40
        .size:           8
        .value_kind:     global_buffer
      - .address_space:  global
        .offset:         48
        .size:           8
        .value_kind:     global_buffer
      - .offset:         56
        .size:           4
        .value_kind:     hidden_block_count_x
      - .offset:         60
        .size:           4
        .value_kind:     hidden_block_count_y
      - .offset:         64
        .size:           4
        .value_kind:     hidden_block_count_z
      - .offset:         68
        .size:           2
        .value_kind:     hidden_group_size_x
      - .offset:         70
        .size:           2
        .value_kind:     hidden_group_size_y
      - .offset:         72
        .size:           2
        .value_kind:     hidden_group_size_z
      - .offset:         74
        .size:           2
        .value_kind:     hidden_remainder_x
      - .offset:         76
        .size:           2
        .value_kind:     hidden_remainder_y
      - .offset:         78
        .size:           2
        .value_kind:     hidden_remainder_z
      - .offset:         96
        .size:           8
        .value_kind:     hidden_global_offset_x
      - .offset:         104
        .size:           8
        .value_kind:     hidden_global_offset_y
      - .offset:         112
        .size:           8
        .value_kind:     hidden_global_offset_z
      - .offset:         120
        .size:           2
        .value_kind:     hidden_grid_dims
    .group_segment_fixed_size: 0
    .kernarg_segment_align: 8
    .kernarg_segment_size: 312
    .language:       OpenCL C
    .language_version:
      - 2
      - 0
    .max_flat_workgroup_size: 1024
    .name:           _ZN2at6native12_GLOBAL__N_126LayerNormForwardCUDAKernelIN3c108BFloat16EfLb1EEEvlPKT_PKT0_SA_S7_S7_PS5_
    .private_segment_fixed_size: 0
    .sgpr_count:     26
    .sgpr_spill_count: 0
    .symbol:         _ZN2at6native12_GLOBAL__N_126LayerNormForwardCUDAKernelIN3c108BFloat16EfLb1EEEvlPKT_PKT0_SA_S7_S7_PS5_.kd
    .uniform_work_group_size: 1
    .uses_dynamic_stack: false
    .vgpr_count:     9
    .vgpr_spill_count: 0
    .wavefront_size: 64
  - .agpr_count:     0
    .args:
      - .actual_access:  read_only
        .address_space:  global
        .offset:         0
        .size:           8
        .value_kind:     global_buffer
      - .actual_access:  read_only
        .address_space:  global
        .offset:         8
        .size:           8
        .value_kind:     global_buffer
      - .offset:         16
        .size:           8
        .value_kind:     by_value
      - .offset:         24
        .size:           8
        .value_kind:     by_value
      - .actual_access:  read_only
        .address_space:  global
        .offset:         32
        .size:           8
        .value_kind:     global_buffer
      - .actual_access:  read_only
        .address_space:  global
        .offset:         40
        .size:           8
        .value_kind:     global_buffer
      - .address_space:  global
        .offset:         48
        .size:           8
        .value_kind:     global_buffer
      - .address_space:  global
        .offset:         56
        .size:           8
        .value_kind:     global_buffer
      - .offset:         64
        .size:           4
        .value_kind:     hidden_block_count_x
      - .offset:         68
        .size:           4
        .value_kind:     hidden_block_count_y
      - .offset:         72
        .size:           4
        .value_kind:     hidden_block_count_z
      - .offset:         76
        .size:           2
        .value_kind:     hidden_group_size_x
      - .offset:         78
        .size:           2
        .value_kind:     hidden_group_size_y
      - .offset:         80
        .size:           2
        .value_kind:     hidden_group_size_z
      - .offset:         82
        .size:           2
        .value_kind:     hidden_remainder_x
      - .offset:         84
        .size:           2
        .value_kind:     hidden_remainder_y
      - .offset:         86
        .size:           2
        .value_kind:     hidden_remainder_z
      - .offset:         104
        .size:           8
        .value_kind:     hidden_global_offset_x
      - .offset:         112
        .size:           8
        .value_kind:     hidden_global_offset_y
      - .offset:         120
        .size:           8
        .value_kind:     hidden_global_offset_z
      - .offset:         128
        .size:           2
        .value_kind:     hidden_grid_dims
      - .offset:         184
        .size:           4
        .value_kind:     hidden_dynamic_lds_size
    .group_segment_fixed_size: 0
    .kernarg_segment_align: 8
    .kernarg_segment_size: 320
    .language:       OpenCL C
    .language_version:
      - 2
      - 0
    .max_flat_workgroup_size: 1024
    .name:           _ZN2at6native12_GLOBAL__N_118cuComputeGradInputIddLb0EEEvPKT_S5_llPKT0_S8_S5_PS3_
    .private_segment_fixed_size: 0
    .sgpr_count:     59
    .sgpr_spill_count: 0
    .symbol:         _ZN2at6native12_GLOBAL__N_118cuComputeGradInputIddLb0EEEvPKT_S5_llPKT0_S8_S5_PS3_.kd
    .uniform_work_group_size: 1
    .uses_dynamic_stack: false
    .vgpr_count:     32
    .vgpr_spill_count: 0
    .wavefront_size: 64
  - .agpr_count:     0
    .args:
      - .actual_access:  read_only
        .address_space:  global
        .offset:         0
        .size:           8
        .value_kind:     global_buffer
      - .actual_access:  read_only
        .address_space:  global
        .offset:         8
        .size:           8
        .value_kind:     global_buffer
      - .actual_access:  read_only
        .address_space:  global
        .offset:         16
        .size:           8
        .value_kind:     global_buffer
      - .actual_access:  read_only
        .address_space:  global
        .offset:         24
        .size:           8
        .value_kind:     global_buffer
      - .actual_access:  read_only
        .address_space:  global
        .offset:         32
        .size:           8
        .value_kind:     global_buffer
      - .address_space:  global
        .offset:         40
        .size:           8
        .value_kind:     global_buffer
      - .offset:         48
        .size:           4
        .value_kind:     by_value
      - .offset:         56
        .size:           4
        .value_kind:     hidden_block_count_x
      - .offset:         60
        .size:           4
        .value_kind:     hidden_block_count_y
      - .offset:         64
        .size:           4
        .value_kind:     hidden_block_count_z
      - .offset:         68
        .size:           2
        .value_kind:     hidden_group_size_x
      - .offset:         70
        .size:           2
        .value_kind:     hidden_group_size_y
      - .offset:         72
        .size:           2
        .value_kind:     hidden_group_size_z
      - .offset:         74
        .size:           2
        .value_kind:     hidden_remainder_x
      - .offset:         76
        .size:           2
        .value_kind:     hidden_remainder_y
      - .offset:         78
        .size:           2
        .value_kind:     hidden_remainder_z
      - .offset:         96
        .size:           8
        .value_kind:     hidden_global_offset_x
      - .offset:         104
        .size:           8
        .value_kind:     hidden_global_offset_y
      - .offset:         112
        .size:           8
        .value_kind:     hidden_global_offset_z
      - .offset:         120
        .size:           2
        .value_kind:     hidden_grid_dims
      - .offset:         176
        .size:           4
        .value_kind:     hidden_dynamic_lds_size
    .group_segment_fixed_size: 0
    .kernarg_segment_align: 8
    .kernarg_segment_size: 312
    .language:       OpenCL C
    .language_version:
      - 2
      - 0
    .max_flat_workgroup_size: 1024
    .name:           _ZN2at6native12_GLOBAL__N_128layer_norm_grad_input_kernelIddLb0EEEvPKT_S5_PKT0_S8_S5_PS3_i
    .private_segment_fixed_size: 0
    .sgpr_count:     36
    .sgpr_spill_count: 0
    .symbol:         _ZN2at6native12_GLOBAL__N_128layer_norm_grad_input_kernelIddLb0EEEvPKT_S5_PKT0_S8_S5_PS3_i.kd
    .uniform_work_group_size: 1
    .uses_dynamic_stack: false
    .vgpr_count:     36
    .vgpr_spill_count: 0
    .wavefront_size: 64
  - .agpr_count:     0
    .args:
      - .offset:         0
        .size:           8
        .value_kind:     by_value
      - .offset:         8
        .size:           8
        .value_kind:     by_value
      - .address_space:  global
        .offset:         16
        .size:           8
        .value_kind:     global_buffer
      - .address_space:  global
        .offset:         24
        .size:           8
        .value_kind:     global_buffer
      - .address_space:  global
        .offset:         32
        .size:           8
        .value_kind:     global_buffer
      - .address_space:  global
        .offset:         40
        .size:           8
        .value_kind:     global_buffer
      - .address_space:  global
        .offset:         48
        .size:           8
        .value_kind:     global_buffer
      - .address_space:  global
        .offset:         56
        .size:           8
        .value_kind:     global_buffer
      - .offset:         64
        .size:           4
        .value_kind:     hidden_block_count_x
      - .offset:         68
        .size:           4
        .value_kind:     hidden_block_count_y
      - .offset:         72
        .size:           4
        .value_kind:     hidden_block_count_z
      - .offset:         76
        .size:           2
        .value_kind:     hidden_group_size_x
      - .offset:         78
        .size:           2
        .value_kind:     hidden_group_size_y
      - .offset:         80
        .size:           2
        .value_kind:     hidden_group_size_z
      - .offset:         82
        .size:           2
        .value_kind:     hidden_remainder_x
      - .offset:         84
        .size:           2
        .value_kind:     hidden_remainder_y
      - .offset:         86
        .size:           2
        .value_kind:     hidden_remainder_z
      - .offset:         104
        .size:           8
        .value_kind:     hidden_global_offset_x
      - .offset:         112
        .size:           8
        .value_kind:     hidden_global_offset_y
      - .offset:         120
        .size:           8
        .value_kind:     hidden_global_offset_z
      - .offset:         128
        .size:           2
        .value_kind:     hidden_grid_dims
    .group_segment_fixed_size: 0
    .kernarg_segment_align: 8
    .kernarg_segment_size: 320
    .language:       OpenCL C
    .language_version:
      - 2
      - 0
    .max_flat_workgroup_size: 1024
    .name:           _ZN2at6native12_GLOBAL__N_133GammaBetaBackwardSimpleCUDAKernelIddLb0EEEvllPKT_S5_PKT0_S8_PS3_S9_
    .private_segment_fixed_size: 0
    .sgpr_count:     30
    .sgpr_spill_count: 0
    .symbol:         _ZN2at6native12_GLOBAL__N_133GammaBetaBackwardSimpleCUDAKernelIddLb0EEEvllPKT_S5_PKT0_S8_PS3_S9_.kd
    .uniform_work_group_size: 1
    .uses_dynamic_stack: false
    .vgpr_count:     16
    .vgpr_spill_count: 0
    .wavefront_size: 64
  - .agpr_count:     0
    .args:
      - .offset:         0
        .size:           8
        .value_kind:     by_value
      - .offset:         8
        .size:           8
        .value_kind:     by_value
      - .actual_access:  read_only
        .address_space:  global
        .offset:         16
        .size:           8
        .value_kind:     global_buffer
      - .actual_access:  read_only
        .address_space:  global
        .offset:         24
        .size:           8
        .value_kind:     global_buffer
      - .actual_access:  read_only
        .address_space:  global
        .offset:         32
        .size:           8
        .value_kind:     global_buffer
      - .actual_access:  read_only
        .address_space:  global
        .offset:         40
        .size:           8
        .value_kind:     global_buffer
      - .actual_access:  write_only
        .address_space:  global
        .offset:         48
        .size:           8
        .value_kind:     global_buffer
      - .actual_access:  write_only
        .address_space:  global
        .offset:         56
        .size:           8
        .value_kind:     global_buffer
      - .offset:         64
        .size:           4
        .value_kind:     hidden_block_count_x
      - .offset:         68
        .size:           4
        .value_kind:     hidden_block_count_y
      - .offset:         72
        .size:           4
        .value_kind:     hidden_block_count_z
      - .offset:         76
        .size:           2
        .value_kind:     hidden_group_size_x
      - .offset:         78
        .size:           2
        .value_kind:     hidden_group_size_y
      - .offset:         80
        .size:           2
        .value_kind:     hidden_group_size_z
      - .offset:         82
        .size:           2
        .value_kind:     hidden_remainder_x
      - .offset:         84
        .size:           2
        .value_kind:     hidden_remainder_y
      - .offset:         86
        .size:           2
        .value_kind:     hidden_remainder_z
      - .offset:         104
        .size:           8
        .value_kind:     hidden_global_offset_x
      - .offset:         112
        .size:           8
        .value_kind:     hidden_global_offset_y
      - .offset:         120
        .size:           8
        .value_kind:     hidden_global_offset_z
      - .offset:         128
        .size:           2
        .value_kind:     hidden_grid_dims
    .group_segment_fixed_size: 0
    .kernarg_segment_align: 8
    .kernarg_segment_size: 320
    .language:       OpenCL C
    .language_version:
      - 2
      - 0
    .max_flat_workgroup_size: 64
    .name:           _ZN2at6native12_GLOBAL__N_135GammaBetaBackwardCUDAKernelTemplateIddLj64ELj1ELj32ELb1ELb1ELb0EEEvllPKT_S5_PKT0_S8_PS3_S9_
    .private_segment_fixed_size: 0
    .sgpr_count:     46
    .sgpr_spill_count: 0
    .symbol:         _ZN2at6native12_GLOBAL__N_135GammaBetaBackwardCUDAKernelTemplateIddLj64ELj1ELj32ELb1ELb1ELb0EEEvllPKT_S5_PKT0_S8_PS3_S9_.kd
    .uniform_work_group_size: 1
    .uses_dynamic_stack: false
    .vgpr_count:     126
    .vgpr_spill_count: 0
    .wavefront_size: 64
  - .agpr_count:     148
    .args:
      - .offset:         0
        .size:           8
        .value_kind:     by_value
      - .offset:         8
        .size:           8
        .value_kind:     by_value
      - .actual_access:  read_only
        .address_space:  global
        .offset:         16
        .size:           8
        .value_kind:     global_buffer
      - .actual_access:  read_only
        .address_space:  global
        .offset:         24
        .size:           8
        .value_kind:     global_buffer
      - .actual_access:  read_only
        .address_space:  global
        .offset:         32
        .size:           8
        .value_kind:     global_buffer
      - .actual_access:  read_only
        .address_space:  global
        .offset:         40
        .size:           8
        .value_kind:     global_buffer
      - .actual_access:  write_only
        .address_space:  global
        .offset:         48
        .size:           8
        .value_kind:     global_buffer
      - .actual_access:  write_only
        .address_space:  global
        .offset:         56
        .size:           8
        .value_kind:     global_buffer
      - .offset:         64
        .size:           4
        .value_kind:     hidden_block_count_x
      - .offset:         68
        .size:           4
        .value_kind:     hidden_block_count_y
      - .offset:         72
        .size:           4
        .value_kind:     hidden_block_count_z
      - .offset:         76
        .size:           2
        .value_kind:     hidden_group_size_x
      - .offset:         78
        .size:           2
        .value_kind:     hidden_group_size_y
      - .offset:         80
        .size:           2
        .value_kind:     hidden_group_size_z
      - .offset:         82
        .size:           2
        .value_kind:     hidden_remainder_x
      - .offset:         84
        .size:           2
        .value_kind:     hidden_remainder_y
      - .offset:         86
        .size:           2
        .value_kind:     hidden_remainder_z
      - .offset:         104
        .size:           8
        .value_kind:     hidden_global_offset_x
      - .offset:         112
        .size:           8
        .value_kind:     hidden_global_offset_y
      - .offset:         120
        .size:           8
        .value_kind:     hidden_global_offset_z
      - .offset:         128
        .size:           2
        .value_kind:     hidden_grid_dims
    .group_segment_fixed_size: 0
    .kernarg_segment_align: 8
    .kernarg_segment_size: 320
    .language:       OpenCL C
    .language_version:
      - 2
      - 0
    .max_flat_workgroup_size: 64
    .name:           _ZN2at6native12_GLOBAL__N_135GammaBetaBackwardCUDAKernelTemplateIddLj64ELj1ELj32ELb1ELb0ELb0EEEvllPKT_S5_PKT0_S8_PS3_S9_
    .private_segment_fixed_size: 0
    .sgpr_count:     46
    .sgpr_spill_count: 0
    .symbol:         _ZN2at6native12_GLOBAL__N_135GammaBetaBackwardCUDAKernelTemplateIddLj64ELj1ELj32ELb1ELb0ELb0EEEvllPKT_S5_PKT0_S8_PS3_S9_.kd
    .uniform_work_group_size: 1
    .uses_dynamic_stack: false
    .vgpr_count:     404
    .vgpr_spill_count: 0
    .wavefront_size: 64
  - .agpr_count:     0
    .args:
      - .offset:         0
        .size:           8
        .value_kind:     by_value
      - .offset:         8
        .size:           8
        .value_kind:     by_value
      - .actual_access:  read_only
        .address_space:  global
        .offset:         16
        .size:           8
        .value_kind:     global_buffer
      - .actual_access:  read_only
        .address_space:  global
        .offset:         24
        .size:           8
        .value_kind:     global_buffer
      - .actual_access:  read_only
        .address_space:  global
        .offset:         32
        .size:           8
        .value_kind:     global_buffer
      - .actual_access:  read_only
        .address_space:  global
        .offset:         40
        .size:           8
        .value_kind:     global_buffer
      - .actual_access:  write_only
        .address_space:  global
        .offset:         48
        .size:           8
        .value_kind:     global_buffer
      - .actual_access:  write_only
        .address_space:  global
        .offset:         56
        .size:           8
        .value_kind:     global_buffer
      - .offset:         64
        .size:           4
        .value_kind:     hidden_block_count_x
      - .offset:         68
        .size:           4
        .value_kind:     hidden_block_count_y
      - .offset:         72
        .size:           4
        .value_kind:     hidden_block_count_z
      - .offset:         76
        .size:           2
        .value_kind:     hidden_group_size_x
      - .offset:         78
        .size:           2
        .value_kind:     hidden_group_size_y
      - .offset:         80
        .size:           2
        .value_kind:     hidden_group_size_z
      - .offset:         82
        .size:           2
        .value_kind:     hidden_remainder_x
      - .offset:         84
        .size:           2
        .value_kind:     hidden_remainder_y
      - .offset:         86
        .size:           2
        .value_kind:     hidden_remainder_z
      - .offset:         104
        .size:           8
        .value_kind:     hidden_global_offset_x
      - .offset:         112
        .size:           8
        .value_kind:     hidden_global_offset_y
      - .offset:         120
        .size:           8
        .value_kind:     hidden_global_offset_z
      - .offset:         128
        .size:           2
        .value_kind:     hidden_grid_dims
    .group_segment_fixed_size: 0
    .kernarg_segment_align: 8
    .kernarg_segment_size: 320
    .language:       OpenCL C
    .language_version:
      - 2
      - 0
    .max_flat_workgroup_size: 64
    .name:           _ZN2at6native12_GLOBAL__N_135GammaBetaBackwardCUDAKernelTemplateIddLj64ELj1ELj8ELb1ELb1ELb0EEEvllPKT_S5_PKT0_S8_PS3_S9_
    .private_segment_fixed_size: 0
    .sgpr_count:     46
    .sgpr_spill_count: 0
    .symbol:         _ZN2at6native12_GLOBAL__N_135GammaBetaBackwardCUDAKernelTemplateIddLj64ELj1ELj8ELb1ELb1ELb0EEEvllPKT_S5_PKT0_S8_PS3_S9_.kd
    .uniform_work_group_size: 1
    .uses_dynamic_stack: false
    .vgpr_count:     62
    .vgpr_spill_count: 0
    .wavefront_size: 64
  - .agpr_count:     0
    .args:
      - .offset:         0
        .size:           8
        .value_kind:     by_value
      - .offset:         8
        .size:           8
        .value_kind:     by_value
      - .actual_access:  read_only
        .address_space:  global
        .offset:         16
        .size:           8
        .value_kind:     global_buffer
      - .actual_access:  read_only
        .address_space:  global
        .offset:         24
        .size:           8
        .value_kind:     global_buffer
      - .actual_access:  read_only
        .address_space:  global
        .offset:         32
        .size:           8
        .value_kind:     global_buffer
      - .actual_access:  read_only
        .address_space:  global
        .offset:         40
        .size:           8
        .value_kind:     global_buffer
      - .actual_access:  write_only
        .address_space:  global
        .offset:         48
        .size:           8
        .value_kind:     global_buffer
      - .actual_access:  write_only
        .address_space:  global
        .offset:         56
        .size:           8
        .value_kind:     global_buffer
      - .offset:         64
        .size:           4
        .value_kind:     hidden_block_count_x
      - .offset:         68
        .size:           4
        .value_kind:     hidden_block_count_y
      - .offset:         72
        .size:           4
        .value_kind:     hidden_block_count_z
      - .offset:         76
        .size:           2
        .value_kind:     hidden_group_size_x
      - .offset:         78
        .size:           2
        .value_kind:     hidden_group_size_y
      - .offset:         80
        .size:           2
        .value_kind:     hidden_group_size_z
      - .offset:         82
        .size:           2
        .value_kind:     hidden_remainder_x
      - .offset:         84
        .size:           2
        .value_kind:     hidden_remainder_y
      - .offset:         86
        .size:           2
        .value_kind:     hidden_remainder_z
      - .offset:         104
        .size:           8
        .value_kind:     hidden_global_offset_x
      - .offset:         112
        .size:           8
        .value_kind:     hidden_global_offset_y
      - .offset:         120
        .size:           8
        .value_kind:     hidden_global_offset_z
      - .offset:         128
        .size:           2
        .value_kind:     hidden_grid_dims
    .group_segment_fixed_size: 0
    .kernarg_segment_align: 8
    .kernarg_segment_size: 320
    .language:       OpenCL C
    .language_version:
      - 2
      - 0
    .max_flat_workgroup_size: 64
    .name:           _ZN2at6native12_GLOBAL__N_135GammaBetaBackwardCUDAKernelTemplateIddLj64ELj1ELj8ELb1ELb0ELb0EEEvllPKT_S5_PKT0_S8_PS3_S9_
    .private_segment_fixed_size: 0
    .sgpr_count:     46
    .sgpr_spill_count: 0
    .symbol:         _ZN2at6native12_GLOBAL__N_135GammaBetaBackwardCUDAKernelTemplateIddLj64ELj1ELj8ELb1ELb0ELb0EEEvllPKT_S5_PKT0_S8_PS3_S9_.kd
    .uniform_work_group_size: 1
    .uses_dynamic_stack: false
    .vgpr_count:     126
    .vgpr_spill_count: 0
    .wavefront_size: 64
  - .agpr_count:     0
    .args:
      - .offset:         0
        .size:           8
        .value_kind:     by_value
      - .offset:         8
        .size:           8
        .value_kind:     by_value
      - .actual_access:  read_only
        .address_space:  global
        .offset:         16
        .size:           8
        .value_kind:     global_buffer
      - .actual_access:  read_only
        .address_space:  global
        .offset:         24
        .size:           8
        .value_kind:     global_buffer
      - .actual_access:  read_only
        .address_space:  global
        .offset:         32
        .size:           8
        .value_kind:     global_buffer
      - .actual_access:  read_only
        .address_space:  global
        .offset:         40
        .size:           8
        .value_kind:     global_buffer
      - .actual_access:  write_only
        .address_space:  global
        .offset:         48
        .size:           8
        .value_kind:     global_buffer
      - .actual_access:  write_only
        .address_space:  global
        .offset:         56
        .size:           8
        .value_kind:     global_buffer
      - .offset:         64
        .size:           4
        .value_kind:     hidden_block_count_x
      - .offset:         68
        .size:           4
        .value_kind:     hidden_block_count_y
      - .offset:         72
        .size:           4
        .value_kind:     hidden_block_count_z
      - .offset:         76
        .size:           2
        .value_kind:     hidden_group_size_x
      - .offset:         78
        .size:           2
        .value_kind:     hidden_group_size_y
      - .offset:         80
        .size:           2
        .value_kind:     hidden_group_size_z
      - .offset:         82
        .size:           2
        .value_kind:     hidden_remainder_x
      - .offset:         84
        .size:           2
        .value_kind:     hidden_remainder_y
      - .offset:         86
        .size:           2
        .value_kind:     hidden_remainder_z
      - .offset:         104
        .size:           8
        .value_kind:     hidden_global_offset_x
      - .offset:         112
        .size:           8
        .value_kind:     hidden_global_offset_y
      - .offset:         120
        .size:           8
        .value_kind:     hidden_global_offset_z
      - .offset:         128
        .size:           2
        .value_kind:     hidden_grid_dims
      - .offset:         184
        .size:           4
        .value_kind:     hidden_dynamic_lds_size
    .group_segment_fixed_size: 0
    .kernarg_segment_align: 8
    .kernarg_segment_size: 320
    .language:       OpenCL C
    .language_version:
      - 2
      - 0
    .max_flat_workgroup_size: 512
    .name:           _ZN2at6native12_GLOBAL__N_135GammaBetaBackwardCUDAKernelTemplateIddLj64ELj8ELj64ELb0ELb1ELb0EEEvllPKT_S5_PKT0_S8_PS3_S9_
    .private_segment_fixed_size: 0
    .sgpr_count:     38
    .sgpr_spill_count: 0
    .symbol:         _ZN2at6native12_GLOBAL__N_135GammaBetaBackwardCUDAKernelTemplateIddLj64ELj8ELj64ELb0ELb1ELb0EEEvllPKT_S5_PKT0_S8_PS3_S9_.kd
    .uniform_work_group_size: 1
    .uses_dynamic_stack: false
    .vgpr_count:     64
    .vgpr_spill_count: 0
    .wavefront_size: 64
  - .agpr_count:     0
    .args:
      - .offset:         0
        .size:           8
        .value_kind:     by_value
      - .offset:         8
        .size:           8
        .value_kind:     by_value
      - .actual_access:  read_only
        .address_space:  global
        .offset:         16
        .size:           8
        .value_kind:     global_buffer
      - .actual_access:  read_only
        .address_space:  global
        .offset:         24
        .size:           8
        .value_kind:     global_buffer
      - .actual_access:  read_only
        .address_space:  global
        .offset:         32
        .size:           8
        .value_kind:     global_buffer
      - .actual_access:  read_only
        .address_space:  global
        .offset:         40
        .size:           8
        .value_kind:     global_buffer
      - .actual_access:  write_only
        .address_space:  global
        .offset:         48
        .size:           8
        .value_kind:     global_buffer
      - .actual_access:  write_only
        .address_space:  global
        .offset:         56
        .size:           8
        .value_kind:     global_buffer
      - .offset:         64
        .size:           4
        .value_kind:     hidden_block_count_x
      - .offset:         68
        .size:           4
        .value_kind:     hidden_block_count_y
      - .offset:         72
        .size:           4
        .value_kind:     hidden_block_count_z
      - .offset:         76
        .size:           2
        .value_kind:     hidden_group_size_x
      - .offset:         78
        .size:           2
        .value_kind:     hidden_group_size_y
      - .offset:         80
        .size:           2
        .value_kind:     hidden_group_size_z
      - .offset:         82
        .size:           2
        .value_kind:     hidden_remainder_x
      - .offset:         84
        .size:           2
        .value_kind:     hidden_remainder_y
      - .offset:         86
        .size:           2
        .value_kind:     hidden_remainder_z
      - .offset:         104
        .size:           8
        .value_kind:     hidden_global_offset_x
      - .offset:         112
        .size:           8
        .value_kind:     hidden_global_offset_y
      - .offset:         120
        .size:           8
        .value_kind:     hidden_global_offset_z
      - .offset:         128
        .size:           2
        .value_kind:     hidden_grid_dims
      - .offset:         184
        .size:           4
        .value_kind:     hidden_dynamic_lds_size
    .group_segment_fixed_size: 0
    .kernarg_segment_align: 8
    .kernarg_segment_size: 320
    .language:       OpenCL C
    .language_version:
      - 2
      - 0
    .max_flat_workgroup_size: 512
    .name:           _ZN2at6native12_GLOBAL__N_135GammaBetaBackwardCUDAKernelTemplateIddLj64ELj8ELj64ELb0ELb0ELb0EEEvllPKT_S5_PKT0_S8_PS3_S9_
    .private_segment_fixed_size: 0
    .sgpr_count:     58
    .sgpr_spill_count: 0
    .symbol:         _ZN2at6native12_GLOBAL__N_135GammaBetaBackwardCUDAKernelTemplateIddLj64ELj8ELj64ELb0ELb0ELb0EEEvllPKT_S5_PKT0_S8_PS3_S9_.kd
    .uniform_work_group_size: 1
    .uses_dynamic_stack: false
    .vgpr_count:     126
    .vgpr_spill_count: 0
    .wavefront_size: 64
  - .agpr_count:     0
    .args:
      - .offset:         0
        .size:           8
        .value_kind:     by_value
      - .offset:         8
        .size:           8
        .value_kind:     by_value
      - .actual_access:  read_only
        .address_space:  global
        .offset:         16
        .size:           8
        .value_kind:     global_buffer
      - .actual_access:  read_only
        .address_space:  global
        .offset:         24
        .size:           8
        .value_kind:     global_buffer
      - .actual_access:  read_only
        .address_space:  global
        .offset:         32
        .size:           8
        .value_kind:     global_buffer
      - .actual_access:  read_only
        .address_space:  global
        .offset:         40
        .size:           8
        .value_kind:     global_buffer
      - .actual_access:  write_only
        .address_space:  global
        .offset:         48
        .size:           8
        .value_kind:     global_buffer
      - .actual_access:  write_only
        .address_space:  global
        .offset:         56
        .size:           8
        .value_kind:     global_buffer
      - .offset:         64
        .size:           4
        .value_kind:     hidden_block_count_x
      - .offset:         68
        .size:           4
        .value_kind:     hidden_block_count_y
      - .offset:         72
        .size:           4
        .value_kind:     hidden_block_count_z
      - .offset:         76
        .size:           2
        .value_kind:     hidden_group_size_x
      - .offset:         78
        .size:           2
        .value_kind:     hidden_group_size_y
      - .offset:         80
        .size:           2
        .value_kind:     hidden_group_size_z
      - .offset:         82
        .size:           2
        .value_kind:     hidden_remainder_x
      - .offset:         84
        .size:           2
        .value_kind:     hidden_remainder_y
      - .offset:         86
        .size:           2
        .value_kind:     hidden_remainder_z
      - .offset:         104
        .size:           8
        .value_kind:     hidden_global_offset_x
      - .offset:         112
        .size:           8
        .value_kind:     hidden_global_offset_y
      - .offset:         120
        .size:           8
        .value_kind:     hidden_global_offset_z
      - .offset:         128
        .size:           2
        .value_kind:     hidden_grid_dims
      - .offset:         184
        .size:           4
        .value_kind:     hidden_dynamic_lds_size
    .group_segment_fixed_size: 0
    .kernarg_segment_align: 8
    .kernarg_segment_size: 320
    .language:       OpenCL C
    .language_version:
      - 2
      - 0
    .max_flat_workgroup_size: 1024
    .name:           _ZN2at6native12_GLOBAL__N_135GammaBetaBackwardCUDAKernelTemplateIddLj64ELj16ELj128ELb0ELb1ELb0EEEvllPKT_S5_PKT0_S8_PS3_S9_
    .private_segment_fixed_size: 0
    .sgpr_count:     38
    .sgpr_spill_count: 0
    .symbol:         _ZN2at6native12_GLOBAL__N_135GammaBetaBackwardCUDAKernelTemplateIddLj64ELj16ELj128ELb0ELb1ELb0EEEvllPKT_S5_PKT0_S8_PS3_S9_.kd
    .uniform_work_group_size: 1
    .uses_dynamic_stack: false
    .vgpr_count:     64
    .vgpr_spill_count: 0
    .wavefront_size: 64
  - .agpr_count:     0
    .args:
      - .offset:         0
        .size:           8
        .value_kind:     by_value
      - .offset:         8
        .size:           8
        .value_kind:     by_value
      - .actual_access:  read_only
        .address_space:  global
        .offset:         16
        .size:           8
        .value_kind:     global_buffer
      - .actual_access:  read_only
        .address_space:  global
        .offset:         24
        .size:           8
        .value_kind:     global_buffer
      - .actual_access:  read_only
        .address_space:  global
        .offset:         32
        .size:           8
        .value_kind:     global_buffer
      - .actual_access:  read_only
        .address_space:  global
        .offset:         40
        .size:           8
        .value_kind:     global_buffer
      - .actual_access:  write_only
        .address_space:  global
        .offset:         48
        .size:           8
        .value_kind:     global_buffer
      - .actual_access:  write_only
        .address_space:  global
        .offset:         56
        .size:           8
        .value_kind:     global_buffer
      - .offset:         64
        .size:           4
        .value_kind:     hidden_block_count_x
      - .offset:         68
        .size:           4
        .value_kind:     hidden_block_count_y
      - .offset:         72
        .size:           4
        .value_kind:     hidden_block_count_z
      - .offset:         76
        .size:           2
        .value_kind:     hidden_group_size_x
      - .offset:         78
        .size:           2
        .value_kind:     hidden_group_size_y
      - .offset:         80
        .size:           2
        .value_kind:     hidden_group_size_z
      - .offset:         82
        .size:           2
        .value_kind:     hidden_remainder_x
      - .offset:         84
        .size:           2
        .value_kind:     hidden_remainder_y
      - .offset:         86
        .size:           2
        .value_kind:     hidden_remainder_z
      - .offset:         104
        .size:           8
        .value_kind:     hidden_global_offset_x
      - .offset:         112
        .size:           8
        .value_kind:     hidden_global_offset_y
      - .offset:         120
        .size:           8
        .value_kind:     hidden_global_offset_z
      - .offset:         128
        .size:           2
        .value_kind:     hidden_grid_dims
      - .offset:         184
        .size:           4
        .value_kind:     hidden_dynamic_lds_size
    .group_segment_fixed_size: 0
    .kernarg_segment_align: 8
    .kernarg_segment_size: 320
    .language:       OpenCL C
    .language_version:
      - 2
      - 0
    .max_flat_workgroup_size: 1024
    .name:           _ZN2at6native12_GLOBAL__N_135GammaBetaBackwardCUDAKernelTemplateIddLj64ELj16ELj128ELb0ELb0ELb0EEEvllPKT_S5_PKT0_S8_PS3_S9_
    .private_segment_fixed_size: 0
    .sgpr_count:     58
    .sgpr_spill_count: 0
    .symbol:         _ZN2at6native12_GLOBAL__N_135GammaBetaBackwardCUDAKernelTemplateIddLj64ELj16ELj128ELb0ELb0ELb0EEEvllPKT_S5_PKT0_S8_PS3_S9_.kd
    .uniform_work_group_size: 1
    .uses_dynamic_stack: false
    .vgpr_count:     120
    .vgpr_spill_count: 0
    .wavefront_size: 64
  - .agpr_count:     0
    .args:
      - .offset:         0
        .size:           8
        .value_kind:     by_value
      - .offset:         8
        .size:           8
        .value_kind:     by_value
      - .actual_access:  read_only
        .address_space:  global
        .offset:         16
        .size:           8
        .value_kind:     global_buffer
      - .actual_access:  read_only
        .address_space:  global
        .offset:         24
        .size:           8
        .value_kind:     global_buffer
      - .actual_access:  read_only
        .address_space:  global
        .offset:         32
        .size:           8
        .value_kind:     global_buffer
      - .actual_access:  read_only
        .address_space:  global
        .offset:         40
        .size:           8
        .value_kind:     global_buffer
      - .actual_access:  write_only
        .address_space:  global
        .offset:         48
        .size:           8
        .value_kind:     global_buffer
      - .actual_access:  write_only
        .address_space:  global
        .offset:         56
        .size:           8
        .value_kind:     global_buffer
      - .offset:         64
        .size:           4
        .value_kind:     hidden_block_count_x
      - .offset:         68
        .size:           4
        .value_kind:     hidden_block_count_y
      - .offset:         72
        .size:           4
        .value_kind:     hidden_block_count_z
      - .offset:         76
        .size:           2
        .value_kind:     hidden_group_size_x
      - .offset:         78
        .size:           2
        .value_kind:     hidden_group_size_y
      - .offset:         80
        .size:           2
        .value_kind:     hidden_group_size_z
      - .offset:         82
        .size:           2
        .value_kind:     hidden_remainder_x
      - .offset:         84
        .size:           2
        .value_kind:     hidden_remainder_y
      - .offset:         86
        .size:           2
        .value_kind:     hidden_remainder_z
      - .offset:         104
        .size:           8
        .value_kind:     hidden_global_offset_x
      - .offset:         112
        .size:           8
        .value_kind:     hidden_global_offset_y
      - .offset:         120
        .size:           8
        .value_kind:     hidden_global_offset_z
      - .offset:         128
        .size:           2
        .value_kind:     hidden_grid_dims
      - .offset:         184
        .size:           4
        .value_kind:     hidden_dynamic_lds_size
    .group_segment_fixed_size: 0
    .kernarg_segment_align: 8
    .kernarg_segment_size: 320
    .language:       OpenCL C
    .language_version:
      - 2
      - 0
    .max_flat_workgroup_size: 1024
    .name:           _ZN2at6native12_GLOBAL__N_135GammaBetaBackwardCUDAKernelTemplateIddLj64ELj16ELj256ELb0ELb1ELb0EEEvllPKT_S5_PKT0_S8_PS3_S9_
    .private_segment_fixed_size: 0
    .sgpr_count:     38
    .sgpr_spill_count: 0
    .symbol:         _ZN2at6native12_GLOBAL__N_135GammaBetaBackwardCUDAKernelTemplateIddLj64ELj16ELj256ELb0ELb1ELb0EEEvllPKT_S5_PKT0_S8_PS3_S9_.kd
    .uniform_work_group_size: 1
    .uses_dynamic_stack: false
    .vgpr_count:     68
    .vgpr_spill_count: 0
    .wavefront_size: 64
  - .agpr_count:     0
    .args:
      - .offset:         0
        .size:           8
        .value_kind:     by_value
      - .offset:         8
        .size:           8
        .value_kind:     by_value
      - .actual_access:  read_only
        .address_space:  global
        .offset:         16
        .size:           8
        .value_kind:     global_buffer
      - .actual_access:  read_only
        .address_space:  global
        .offset:         24
        .size:           8
        .value_kind:     global_buffer
      - .actual_access:  read_only
        .address_space:  global
        .offset:         32
        .size:           8
        .value_kind:     global_buffer
      - .actual_access:  read_only
        .address_space:  global
        .offset:         40
        .size:           8
        .value_kind:     global_buffer
      - .actual_access:  write_only
        .address_space:  global
        .offset:         48
        .size:           8
        .value_kind:     global_buffer
      - .actual_access:  write_only
        .address_space:  global
        .offset:         56
        .size:           8
        .value_kind:     global_buffer
      - .offset:         64
        .size:           4
        .value_kind:     hidden_block_count_x
      - .offset:         68
        .size:           4
        .value_kind:     hidden_block_count_y
      - .offset:         72
        .size:           4
        .value_kind:     hidden_block_count_z
      - .offset:         76
        .size:           2
        .value_kind:     hidden_group_size_x
      - .offset:         78
        .size:           2
        .value_kind:     hidden_group_size_y
      - .offset:         80
        .size:           2
        .value_kind:     hidden_group_size_z
      - .offset:         82
        .size:           2
        .value_kind:     hidden_remainder_x
      - .offset:         84
        .size:           2
        .value_kind:     hidden_remainder_y
      - .offset:         86
        .size:           2
        .value_kind:     hidden_remainder_z
      - .offset:         104
        .size:           8
        .value_kind:     hidden_global_offset_x
      - .offset:         112
        .size:           8
        .value_kind:     hidden_global_offset_y
      - .offset:         120
        .size:           8
        .value_kind:     hidden_global_offset_z
      - .offset:         128
        .size:           2
        .value_kind:     hidden_grid_dims
      - .offset:         184
        .size:           4
        .value_kind:     hidden_dynamic_lds_size
    .group_segment_fixed_size: 0
    .kernarg_segment_align: 8
    .kernarg_segment_size: 320
    .language:       OpenCL C
    .language_version:
      - 2
      - 0
    .max_flat_workgroup_size: 1024
    .name:           _ZN2at6native12_GLOBAL__N_135GammaBetaBackwardCUDAKernelTemplateIddLj64ELj16ELj256ELb0ELb0ELb0EEEvllPKT_S5_PKT0_S8_PS3_S9_
    .private_segment_fixed_size: 340
    .sgpr_count:     74
    .sgpr_spill_count: 0
    .symbol:         _ZN2at6native12_GLOBAL__N_135GammaBetaBackwardCUDAKernelTemplateIddLj64ELj16ELj256ELb0ELb0ELb0EEEvllPKT_S5_PKT0_S8_PS3_S9_.kd
    .uniform_work_group_size: 1
    .uses_dynamic_stack: false
    .vgpr_count:     128
    .vgpr_spill_count: 230
    .wavefront_size: 64
  - .agpr_count:     0
    .args:
      - .offset:         0
        .size:           8
        .value_kind:     by_value
      - .offset:         8
        .size:           8
        .value_kind:     by_value
      - .actual_access:  read_only
        .address_space:  global
        .offset:         16
        .size:           8
        .value_kind:     global_buffer
      - .actual_access:  read_only
        .address_space:  global
        .offset:         24
        .size:           8
        .value_kind:     global_buffer
      - .actual_access:  read_only
        .address_space:  global
        .offset:         32
        .size:           8
        .value_kind:     global_buffer
      - .actual_access:  read_only
        .address_space:  global
        .offset:         40
        .size:           8
        .value_kind:     global_buffer
      - .actual_access:  write_only
        .address_space:  global
        .offset:         48
        .size:           8
        .value_kind:     global_buffer
      - .actual_access:  write_only
        .address_space:  global
        .offset:         56
        .size:           8
        .value_kind:     global_buffer
      - .offset:         64
        .size:           4
        .value_kind:     hidden_block_count_x
      - .offset:         68
        .size:           4
        .value_kind:     hidden_block_count_y
      - .offset:         72
        .size:           4
        .value_kind:     hidden_block_count_z
      - .offset:         76
        .size:           2
        .value_kind:     hidden_group_size_x
      - .offset:         78
        .size:           2
        .value_kind:     hidden_group_size_y
      - .offset:         80
        .size:           2
        .value_kind:     hidden_group_size_z
      - .offset:         82
        .size:           2
        .value_kind:     hidden_remainder_x
      - .offset:         84
        .size:           2
        .value_kind:     hidden_remainder_y
      - .offset:         86
        .size:           2
        .value_kind:     hidden_remainder_z
      - .offset:         104
        .size:           8
        .value_kind:     hidden_global_offset_x
      - .offset:         112
        .size:           8
        .value_kind:     hidden_global_offset_y
      - .offset:         120
        .size:           8
        .value_kind:     hidden_global_offset_z
      - .offset:         128
        .size:           2
        .value_kind:     hidden_grid_dims
    .group_segment_fixed_size: 0
    .kernarg_segment_align: 8
    .kernarg_segment_size: 320
    .language:       OpenCL C
    .language_version:
      - 2
      - 0
    .max_flat_workgroup_size: 32
    .name:           _ZN2at6native12_GLOBAL__N_135GammaBetaBackwardCUDAKernelTemplateIddLj32ELj1ELj32ELb1ELb1ELb0EEEvllPKT_S5_PKT0_S8_PS3_S9_
    .private_segment_fixed_size: 0
    .sgpr_count:     46
    .sgpr_spill_count: 0
    .symbol:         _ZN2at6native12_GLOBAL__N_135GammaBetaBackwardCUDAKernelTemplateIddLj32ELj1ELj32ELb1ELb1ELb0EEEvllPKT_S5_PKT0_S8_PS3_S9_.kd
    .uniform_work_group_size: 1
    .uses_dynamic_stack: false
    .vgpr_count:     126
    .vgpr_spill_count: 0
    .wavefront_size: 64
  - .agpr_count:     148
    .args:
      - .offset:         0
        .size:           8
        .value_kind:     by_value
      - .offset:         8
        .size:           8
        .value_kind:     by_value
      - .actual_access:  read_only
        .address_space:  global
        .offset:         16
        .size:           8
        .value_kind:     global_buffer
      - .actual_access:  read_only
        .address_space:  global
        .offset:         24
        .size:           8
        .value_kind:     global_buffer
      - .actual_access:  read_only
        .address_space:  global
        .offset:         32
        .size:           8
        .value_kind:     global_buffer
      - .actual_access:  read_only
        .address_space:  global
        .offset:         40
        .size:           8
        .value_kind:     global_buffer
      - .actual_access:  write_only
        .address_space:  global
        .offset:         48
        .size:           8
        .value_kind:     global_buffer
      - .actual_access:  write_only
        .address_space:  global
        .offset:         56
        .size:           8
        .value_kind:     global_buffer
      - .offset:         64
        .size:           4
        .value_kind:     hidden_block_count_x
      - .offset:         68
        .size:           4
        .value_kind:     hidden_block_count_y
      - .offset:         72
        .size:           4
        .value_kind:     hidden_block_count_z
      - .offset:         76
        .size:           2
        .value_kind:     hidden_group_size_x
      - .offset:         78
        .size:           2
        .value_kind:     hidden_group_size_y
      - .offset:         80
        .size:           2
        .value_kind:     hidden_group_size_z
      - .offset:         82
        .size:           2
        .value_kind:     hidden_remainder_x
      - .offset:         84
        .size:           2
        .value_kind:     hidden_remainder_y
      - .offset:         86
        .size:           2
        .value_kind:     hidden_remainder_z
      - .offset:         104
        .size:           8
        .value_kind:     hidden_global_offset_x
      - .offset:         112
        .size:           8
        .value_kind:     hidden_global_offset_y
      - .offset:         120
        .size:           8
        .value_kind:     hidden_global_offset_z
      - .offset:         128
        .size:           2
        .value_kind:     hidden_grid_dims
    .group_segment_fixed_size: 0
    .kernarg_segment_align: 8
    .kernarg_segment_size: 320
    .language:       OpenCL C
    .language_version:
      - 2
      - 0
    .max_flat_workgroup_size: 32
    .name:           _ZN2at6native12_GLOBAL__N_135GammaBetaBackwardCUDAKernelTemplateIddLj32ELj1ELj32ELb1ELb0ELb0EEEvllPKT_S5_PKT0_S8_PS3_S9_
    .private_segment_fixed_size: 0
    .sgpr_count:     46
    .sgpr_spill_count: 0
    .symbol:         _ZN2at6native12_GLOBAL__N_135GammaBetaBackwardCUDAKernelTemplateIddLj32ELj1ELj32ELb1ELb0ELb0EEEvllPKT_S5_PKT0_S8_PS3_S9_.kd
    .uniform_work_group_size: 1
    .uses_dynamic_stack: false
    .vgpr_count:     404
    .vgpr_spill_count: 0
    .wavefront_size: 64
  - .agpr_count:     0
    .args:
      - .offset:         0
        .size:           8
        .value_kind:     by_value
      - .offset:         8
        .size:           8
        .value_kind:     by_value
      - .actual_access:  read_only
        .address_space:  global
        .offset:         16
        .size:           8
        .value_kind:     global_buffer
      - .actual_access:  read_only
        .address_space:  global
        .offset:         24
        .size:           8
        .value_kind:     global_buffer
      - .actual_access:  read_only
        .address_space:  global
        .offset:         32
        .size:           8
        .value_kind:     global_buffer
      - .actual_access:  read_only
        .address_space:  global
        .offset:         40
        .size:           8
        .value_kind:     global_buffer
      - .actual_access:  write_only
        .address_space:  global
        .offset:         48
        .size:           8
        .value_kind:     global_buffer
      - .actual_access:  write_only
        .address_space:  global
        .offset:         56
        .size:           8
        .value_kind:     global_buffer
      - .offset:         64
        .size:           4
        .value_kind:     hidden_block_count_x
      - .offset:         68
        .size:           4
        .value_kind:     hidden_block_count_y
      - .offset:         72
        .size:           4
        .value_kind:     hidden_block_count_z
      - .offset:         76
        .size:           2
        .value_kind:     hidden_group_size_x
      - .offset:         78
        .size:           2
        .value_kind:     hidden_group_size_y
      - .offset:         80
        .size:           2
        .value_kind:     hidden_group_size_z
      - .offset:         82
        .size:           2
        .value_kind:     hidden_remainder_x
      - .offset:         84
        .size:           2
        .value_kind:     hidden_remainder_y
      - .offset:         86
        .size:           2
        .value_kind:     hidden_remainder_z
      - .offset:         104
        .size:           8
        .value_kind:     hidden_global_offset_x
      - .offset:         112
        .size:           8
        .value_kind:     hidden_global_offset_y
      - .offset:         120
        .size:           8
        .value_kind:     hidden_global_offset_z
      - .offset:         128
        .size:           2
        .value_kind:     hidden_grid_dims
    .group_segment_fixed_size: 0
    .kernarg_segment_align: 8
    .kernarg_segment_size: 320
    .language:       OpenCL C
    .language_version:
      - 2
      - 0
    .max_flat_workgroup_size: 32
    .name:           _ZN2at6native12_GLOBAL__N_135GammaBetaBackwardCUDAKernelTemplateIddLj32ELj1ELj8ELb1ELb1ELb0EEEvllPKT_S5_PKT0_S8_PS3_S9_
    .private_segment_fixed_size: 0
    .sgpr_count:     46
    .sgpr_spill_count: 0
    .symbol:         _ZN2at6native12_GLOBAL__N_135GammaBetaBackwardCUDAKernelTemplateIddLj32ELj1ELj8ELb1ELb1ELb0EEEvllPKT_S5_PKT0_S8_PS3_S9_.kd
    .uniform_work_group_size: 1
    .uses_dynamic_stack: false
    .vgpr_count:     62
    .vgpr_spill_count: 0
    .wavefront_size: 64
  - .agpr_count:     0
    .args:
      - .offset:         0
        .size:           8
        .value_kind:     by_value
      - .offset:         8
        .size:           8
        .value_kind:     by_value
      - .actual_access:  read_only
        .address_space:  global
        .offset:         16
        .size:           8
        .value_kind:     global_buffer
      - .actual_access:  read_only
        .address_space:  global
        .offset:         24
        .size:           8
        .value_kind:     global_buffer
      - .actual_access:  read_only
        .address_space:  global
        .offset:         32
        .size:           8
        .value_kind:     global_buffer
      - .actual_access:  read_only
        .address_space:  global
        .offset:         40
        .size:           8
        .value_kind:     global_buffer
      - .actual_access:  write_only
        .address_space:  global
        .offset:         48
        .size:           8
        .value_kind:     global_buffer
      - .actual_access:  write_only
        .address_space:  global
        .offset:         56
        .size:           8
        .value_kind:     global_buffer
      - .offset:         64
        .size:           4
        .value_kind:     hidden_block_count_x
      - .offset:         68
        .size:           4
        .value_kind:     hidden_block_count_y
      - .offset:         72
        .size:           4
        .value_kind:     hidden_block_count_z
      - .offset:         76
        .size:           2
        .value_kind:     hidden_group_size_x
      - .offset:         78
        .size:           2
        .value_kind:     hidden_group_size_y
      - .offset:         80
        .size:           2
        .value_kind:     hidden_group_size_z
      - .offset:         82
        .size:           2
        .value_kind:     hidden_remainder_x
      - .offset:         84
        .size:           2
        .value_kind:     hidden_remainder_y
      - .offset:         86
        .size:           2
        .value_kind:     hidden_remainder_z
      - .offset:         104
        .size:           8
        .value_kind:     hidden_global_offset_x
      - .offset:         112
        .size:           8
        .value_kind:     hidden_global_offset_y
      - .offset:         120
        .size:           8
        .value_kind:     hidden_global_offset_z
      - .offset:         128
        .size:           2
        .value_kind:     hidden_grid_dims
    .group_segment_fixed_size: 0
    .kernarg_segment_align: 8
    .kernarg_segment_size: 320
    .language:       OpenCL C
    .language_version:
      - 2
      - 0
    .max_flat_workgroup_size: 32
    .name:           _ZN2at6native12_GLOBAL__N_135GammaBetaBackwardCUDAKernelTemplateIddLj32ELj1ELj8ELb1ELb0ELb0EEEvllPKT_S5_PKT0_S8_PS3_S9_
    .private_segment_fixed_size: 0
    .sgpr_count:     46
    .sgpr_spill_count: 0
    .symbol:         _ZN2at6native12_GLOBAL__N_135GammaBetaBackwardCUDAKernelTemplateIddLj32ELj1ELj8ELb1ELb0ELb0EEEvllPKT_S5_PKT0_S8_PS3_S9_.kd
    .uniform_work_group_size: 1
    .uses_dynamic_stack: false
    .vgpr_count:     126
    .vgpr_spill_count: 0
    .wavefront_size: 64
  - .agpr_count:     0
    .args:
      - .offset:         0
        .size:           8
        .value_kind:     by_value
      - .offset:         8
        .size:           8
        .value_kind:     by_value
      - .actual_access:  read_only
        .address_space:  global
        .offset:         16
        .size:           8
        .value_kind:     global_buffer
      - .actual_access:  read_only
        .address_space:  global
        .offset:         24
        .size:           8
        .value_kind:     global_buffer
      - .actual_access:  read_only
        .address_space:  global
        .offset:         32
        .size:           8
        .value_kind:     global_buffer
      - .actual_access:  read_only
        .address_space:  global
        .offset:         40
        .size:           8
        .value_kind:     global_buffer
      - .actual_access:  write_only
        .address_space:  global
        .offset:         48
        .size:           8
        .value_kind:     global_buffer
      - .actual_access:  write_only
        .address_space:  global
        .offset:         56
        .size:           8
        .value_kind:     global_buffer
      - .offset:         64
        .size:           4
        .value_kind:     hidden_block_count_x
      - .offset:         68
        .size:           4
        .value_kind:     hidden_block_count_y
      - .offset:         72
        .size:           4
        .value_kind:     hidden_block_count_z
      - .offset:         76
        .size:           2
        .value_kind:     hidden_group_size_x
      - .offset:         78
        .size:           2
        .value_kind:     hidden_group_size_y
      - .offset:         80
        .size:           2
        .value_kind:     hidden_group_size_z
      - .offset:         82
        .size:           2
        .value_kind:     hidden_remainder_x
      - .offset:         84
        .size:           2
        .value_kind:     hidden_remainder_y
      - .offset:         86
        .size:           2
        .value_kind:     hidden_remainder_z
      - .offset:         104
        .size:           8
        .value_kind:     hidden_global_offset_x
      - .offset:         112
        .size:           8
        .value_kind:     hidden_global_offset_y
      - .offset:         120
        .size:           8
        .value_kind:     hidden_global_offset_z
      - .offset:         128
        .size:           2
        .value_kind:     hidden_grid_dims
      - .offset:         184
        .size:           4
        .value_kind:     hidden_dynamic_lds_size
    .group_segment_fixed_size: 0
    .kernarg_segment_align: 8
    .kernarg_segment_size: 320
    .language:       OpenCL C
    .language_version:
      - 2
      - 0
    .max_flat_workgroup_size: 256
    .name:           _ZN2at6native12_GLOBAL__N_135GammaBetaBackwardCUDAKernelTemplateIddLj32ELj8ELj64ELb0ELb1ELb0EEEvllPKT_S5_PKT0_S8_PS3_S9_
    .private_segment_fixed_size: 0
    .sgpr_count:     38
    .sgpr_spill_count: 0
    .symbol:         _ZN2at6native12_GLOBAL__N_135GammaBetaBackwardCUDAKernelTemplateIddLj32ELj8ELj64ELb0ELb1ELb0EEEvllPKT_S5_PKT0_S8_PS3_S9_.kd
    .uniform_work_group_size: 1
    .uses_dynamic_stack: false
    .vgpr_count:     64
    .vgpr_spill_count: 0
    .wavefront_size: 64
  - .agpr_count:     0
    .args:
      - .offset:         0
        .size:           8
        .value_kind:     by_value
      - .offset:         8
        .size:           8
        .value_kind:     by_value
      - .actual_access:  read_only
        .address_space:  global
        .offset:         16
        .size:           8
        .value_kind:     global_buffer
      - .actual_access:  read_only
        .address_space:  global
        .offset:         24
        .size:           8
        .value_kind:     global_buffer
      - .actual_access:  read_only
        .address_space:  global
        .offset:         32
        .size:           8
        .value_kind:     global_buffer
      - .actual_access:  read_only
        .address_space:  global
        .offset:         40
        .size:           8
        .value_kind:     global_buffer
      - .actual_access:  write_only
        .address_space:  global
        .offset:         48
        .size:           8
        .value_kind:     global_buffer
      - .actual_access:  write_only
        .address_space:  global
        .offset:         56
        .size:           8
        .value_kind:     global_buffer
      - .offset:         64
        .size:           4
        .value_kind:     hidden_block_count_x
      - .offset:         68
        .size:           4
        .value_kind:     hidden_block_count_y
      - .offset:         72
        .size:           4
        .value_kind:     hidden_block_count_z
      - .offset:         76
        .size:           2
        .value_kind:     hidden_group_size_x
      - .offset:         78
        .size:           2
        .value_kind:     hidden_group_size_y
      - .offset:         80
        .size:           2
        .value_kind:     hidden_group_size_z
      - .offset:         82
        .size:           2
        .value_kind:     hidden_remainder_x
      - .offset:         84
        .size:           2
        .value_kind:     hidden_remainder_y
      - .offset:         86
        .size:           2
        .value_kind:     hidden_remainder_z
      - .offset:         104
        .size:           8
        .value_kind:     hidden_global_offset_x
      - .offset:         112
        .size:           8
        .value_kind:     hidden_global_offset_y
      - .offset:         120
        .size:           8
        .value_kind:     hidden_global_offset_z
      - .offset:         128
        .size:           2
        .value_kind:     hidden_grid_dims
      - .offset:         184
        .size:           4
        .value_kind:     hidden_dynamic_lds_size
    .group_segment_fixed_size: 0
    .kernarg_segment_align: 8
    .kernarg_segment_size: 320
    .language:       OpenCL C
    .language_version:
      - 2
      - 0
    .max_flat_workgroup_size: 256
    .name:           _ZN2at6native12_GLOBAL__N_135GammaBetaBackwardCUDAKernelTemplateIddLj32ELj8ELj64ELb0ELb0ELb0EEEvllPKT_S5_PKT0_S8_PS3_S9_
    .private_segment_fixed_size: 0
    .sgpr_count:     58
    .sgpr_spill_count: 0
    .symbol:         _ZN2at6native12_GLOBAL__N_135GammaBetaBackwardCUDAKernelTemplateIddLj32ELj8ELj64ELb0ELb0ELb0EEEvllPKT_S5_PKT0_S8_PS3_S9_.kd
    .uniform_work_group_size: 1
    .uses_dynamic_stack: false
    .vgpr_count:     126
    .vgpr_spill_count: 0
    .wavefront_size: 64
  - .agpr_count:     0
    .args:
      - .offset:         0
        .size:           8
        .value_kind:     by_value
      - .offset:         8
        .size:           8
        .value_kind:     by_value
      - .actual_access:  read_only
        .address_space:  global
        .offset:         16
        .size:           8
        .value_kind:     global_buffer
      - .actual_access:  read_only
        .address_space:  global
        .offset:         24
        .size:           8
        .value_kind:     global_buffer
      - .actual_access:  read_only
        .address_space:  global
        .offset:         32
        .size:           8
        .value_kind:     global_buffer
      - .actual_access:  read_only
        .address_space:  global
        .offset:         40
        .size:           8
        .value_kind:     global_buffer
      - .actual_access:  write_only
        .address_space:  global
        .offset:         48
        .size:           8
        .value_kind:     global_buffer
      - .actual_access:  write_only
        .address_space:  global
        .offset:         56
        .size:           8
        .value_kind:     global_buffer
      - .offset:         64
        .size:           4
        .value_kind:     hidden_block_count_x
      - .offset:         68
        .size:           4
        .value_kind:     hidden_block_count_y
      - .offset:         72
        .size:           4
        .value_kind:     hidden_block_count_z
      - .offset:         76
        .size:           2
        .value_kind:     hidden_group_size_x
      - .offset:         78
        .size:           2
        .value_kind:     hidden_group_size_y
      - .offset:         80
        .size:           2
        .value_kind:     hidden_group_size_z
      - .offset:         82
        .size:           2
        .value_kind:     hidden_remainder_x
      - .offset:         84
        .size:           2
        .value_kind:     hidden_remainder_y
      - .offset:         86
        .size:           2
        .value_kind:     hidden_remainder_z
      - .offset:         104
        .size:           8
        .value_kind:     hidden_global_offset_x
      - .offset:         112
        .size:           8
        .value_kind:     hidden_global_offset_y
      - .offset:         120
        .size:           8
        .value_kind:     hidden_global_offset_z
      - .offset:         128
        .size:           2
        .value_kind:     hidden_grid_dims
      - .offset:         184
        .size:           4
        .value_kind:     hidden_dynamic_lds_size
    .group_segment_fixed_size: 0
    .kernarg_segment_align: 8
    .kernarg_segment_size: 320
    .language:       OpenCL C
    .language_version:
      - 2
      - 0
    .max_flat_workgroup_size: 512
    .name:           _ZN2at6native12_GLOBAL__N_135GammaBetaBackwardCUDAKernelTemplateIddLj32ELj16ELj128ELb0ELb1ELb0EEEvllPKT_S5_PKT0_S8_PS3_S9_
    .private_segment_fixed_size: 0
    .sgpr_count:     38
    .sgpr_spill_count: 0
    .symbol:         _ZN2at6native12_GLOBAL__N_135GammaBetaBackwardCUDAKernelTemplateIddLj32ELj16ELj128ELb0ELb1ELb0EEEvllPKT_S5_PKT0_S8_PS3_S9_.kd
    .uniform_work_group_size: 1
    .uses_dynamic_stack: false
    .vgpr_count:     64
    .vgpr_spill_count: 0
    .wavefront_size: 64
  - .agpr_count:     0
    .args:
      - .offset:         0
        .size:           8
        .value_kind:     by_value
      - .offset:         8
        .size:           8
        .value_kind:     by_value
      - .actual_access:  read_only
        .address_space:  global
        .offset:         16
        .size:           8
        .value_kind:     global_buffer
      - .actual_access:  read_only
        .address_space:  global
        .offset:         24
        .size:           8
        .value_kind:     global_buffer
      - .actual_access:  read_only
        .address_space:  global
        .offset:         32
        .size:           8
        .value_kind:     global_buffer
      - .actual_access:  read_only
        .address_space:  global
        .offset:         40
        .size:           8
        .value_kind:     global_buffer
      - .actual_access:  write_only
        .address_space:  global
        .offset:         48
        .size:           8
        .value_kind:     global_buffer
      - .actual_access:  write_only
        .address_space:  global
        .offset:         56
        .size:           8
        .value_kind:     global_buffer
      - .offset:         64
        .size:           4
        .value_kind:     hidden_block_count_x
      - .offset:         68
        .size:           4
        .value_kind:     hidden_block_count_y
      - .offset:         72
        .size:           4
        .value_kind:     hidden_block_count_z
      - .offset:         76
        .size:           2
        .value_kind:     hidden_group_size_x
      - .offset:         78
        .size:           2
        .value_kind:     hidden_group_size_y
      - .offset:         80
        .size:           2
        .value_kind:     hidden_group_size_z
      - .offset:         82
        .size:           2
        .value_kind:     hidden_remainder_x
      - .offset:         84
        .size:           2
        .value_kind:     hidden_remainder_y
      - .offset:         86
        .size:           2
        .value_kind:     hidden_remainder_z
      - .offset:         104
        .size:           8
        .value_kind:     hidden_global_offset_x
      - .offset:         112
        .size:           8
        .value_kind:     hidden_global_offset_y
      - .offset:         120
        .size:           8
        .value_kind:     hidden_global_offset_z
      - .offset:         128
        .size:           2
        .value_kind:     hidden_grid_dims
      - .offset:         184
        .size:           4
        .value_kind:     hidden_dynamic_lds_size
    .group_segment_fixed_size: 0
    .kernarg_segment_align: 8
    .kernarg_segment_size: 320
    .language:       OpenCL C
    .language_version:
      - 2
      - 0
    .max_flat_workgroup_size: 512
    .name:           _ZN2at6native12_GLOBAL__N_135GammaBetaBackwardCUDAKernelTemplateIddLj32ELj16ELj128ELb0ELb0ELb0EEEvllPKT_S5_PKT0_S8_PS3_S9_
    .private_segment_fixed_size: 0
    .sgpr_count:     58
    .sgpr_spill_count: 0
    .symbol:         _ZN2at6native12_GLOBAL__N_135GammaBetaBackwardCUDAKernelTemplateIddLj32ELj16ELj128ELb0ELb0ELb0EEEvllPKT_S5_PKT0_S8_PS3_S9_.kd
    .uniform_work_group_size: 1
    .uses_dynamic_stack: false
    .vgpr_count:     126
    .vgpr_spill_count: 0
    .wavefront_size: 64
  - .agpr_count:     0
    .args:
      - .offset:         0
        .size:           8
        .value_kind:     by_value
      - .offset:         8
        .size:           8
        .value_kind:     by_value
      - .actual_access:  read_only
        .address_space:  global
        .offset:         16
        .size:           8
        .value_kind:     global_buffer
      - .actual_access:  read_only
        .address_space:  global
        .offset:         24
        .size:           8
        .value_kind:     global_buffer
      - .actual_access:  read_only
        .address_space:  global
        .offset:         32
        .size:           8
        .value_kind:     global_buffer
      - .actual_access:  read_only
        .address_space:  global
        .offset:         40
        .size:           8
        .value_kind:     global_buffer
      - .actual_access:  write_only
        .address_space:  global
        .offset:         48
        .size:           8
        .value_kind:     global_buffer
      - .actual_access:  write_only
        .address_space:  global
        .offset:         56
        .size:           8
        .value_kind:     global_buffer
      - .offset:         64
        .size:           4
        .value_kind:     hidden_block_count_x
      - .offset:         68
        .size:           4
        .value_kind:     hidden_block_count_y
      - .offset:         72
        .size:           4
        .value_kind:     hidden_block_count_z
      - .offset:         76
        .size:           2
        .value_kind:     hidden_group_size_x
      - .offset:         78
        .size:           2
        .value_kind:     hidden_group_size_y
      - .offset:         80
        .size:           2
        .value_kind:     hidden_group_size_z
      - .offset:         82
        .size:           2
        .value_kind:     hidden_remainder_x
      - .offset:         84
        .size:           2
        .value_kind:     hidden_remainder_y
      - .offset:         86
        .size:           2
        .value_kind:     hidden_remainder_z
      - .offset:         104
        .size:           8
        .value_kind:     hidden_global_offset_x
      - .offset:         112
        .size:           8
        .value_kind:     hidden_global_offset_y
      - .offset:         120
        .size:           8
        .value_kind:     hidden_global_offset_z
      - .offset:         128
        .size:           2
        .value_kind:     hidden_grid_dims
      - .offset:         184
        .size:           4
        .value_kind:     hidden_dynamic_lds_size
    .group_segment_fixed_size: 0
    .kernarg_segment_align: 8
    .kernarg_segment_size: 320
    .language:       OpenCL C
    .language_version:
      - 2
      - 0
    .max_flat_workgroup_size: 1024
    .name:           _ZN2at6native12_GLOBAL__N_135GammaBetaBackwardCUDAKernelTemplateIddLj32ELj32ELj256ELb0ELb1ELb0EEEvllPKT_S5_PKT0_S8_PS3_S9_
    .private_segment_fixed_size: 0
    .sgpr_count:     38
    .sgpr_spill_count: 0
    .symbol:         _ZN2at6native12_GLOBAL__N_135GammaBetaBackwardCUDAKernelTemplateIddLj32ELj32ELj256ELb0ELb1ELb0EEEvllPKT_S5_PKT0_S8_PS3_S9_.kd
    .uniform_work_group_size: 1
    .uses_dynamic_stack: false
    .vgpr_count:     64
    .vgpr_spill_count: 0
    .wavefront_size: 64
  - .agpr_count:     0
    .args:
      - .offset:         0
        .size:           8
        .value_kind:     by_value
      - .offset:         8
        .size:           8
        .value_kind:     by_value
      - .actual_access:  read_only
        .address_space:  global
        .offset:         16
        .size:           8
        .value_kind:     global_buffer
      - .actual_access:  read_only
        .address_space:  global
        .offset:         24
        .size:           8
        .value_kind:     global_buffer
      - .actual_access:  read_only
        .address_space:  global
        .offset:         32
        .size:           8
        .value_kind:     global_buffer
      - .actual_access:  read_only
        .address_space:  global
        .offset:         40
        .size:           8
        .value_kind:     global_buffer
      - .actual_access:  write_only
        .address_space:  global
        .offset:         48
        .size:           8
        .value_kind:     global_buffer
      - .actual_access:  write_only
        .address_space:  global
        .offset:         56
        .size:           8
        .value_kind:     global_buffer
      - .offset:         64
        .size:           4
        .value_kind:     hidden_block_count_x
      - .offset:         68
        .size:           4
        .value_kind:     hidden_block_count_y
      - .offset:         72
        .size:           4
        .value_kind:     hidden_block_count_z
      - .offset:         76
        .size:           2
        .value_kind:     hidden_group_size_x
      - .offset:         78
        .size:           2
        .value_kind:     hidden_group_size_y
      - .offset:         80
        .size:           2
        .value_kind:     hidden_group_size_z
      - .offset:         82
        .size:           2
        .value_kind:     hidden_remainder_x
      - .offset:         84
        .size:           2
        .value_kind:     hidden_remainder_y
      - .offset:         86
        .size:           2
        .value_kind:     hidden_remainder_z
      - .offset:         104
        .size:           8
        .value_kind:     hidden_global_offset_x
      - .offset:         112
        .size:           8
        .value_kind:     hidden_global_offset_y
      - .offset:         120
        .size:           8
        .value_kind:     hidden_global_offset_z
      - .offset:         128
        .size:           2
        .value_kind:     hidden_grid_dims
      - .offset:         184
        .size:           4
        .value_kind:     hidden_dynamic_lds_size
    .group_segment_fixed_size: 0
    .kernarg_segment_align: 8
    .kernarg_segment_size: 320
    .language:       OpenCL C
    .language_version:
      - 2
      - 0
    .max_flat_workgroup_size: 1024
    .name:           _ZN2at6native12_GLOBAL__N_135GammaBetaBackwardCUDAKernelTemplateIddLj32ELj32ELj256ELb0ELb0ELb0EEEvllPKT_S5_PKT0_S8_PS3_S9_
    .private_segment_fixed_size: 0
    .sgpr_count:     58
    .sgpr_spill_count: 0
    .symbol:         _ZN2at6native12_GLOBAL__N_135GammaBetaBackwardCUDAKernelTemplateIddLj32ELj32ELj256ELb0ELb0ELb0EEEvllPKT_S5_PKT0_S8_PS3_S9_.kd
    .uniform_work_group_size: 1
    .uses_dynamic_stack: false
    .vgpr_count:     120
    .vgpr_spill_count: 0
    .wavefront_size: 64
  - .agpr_count:     0
    .args:
      - .actual_access:  read_only
        .address_space:  global
        .offset:         0
        .size:           8
        .value_kind:     global_buffer
      - .actual_access:  read_only
        .address_space:  global
        .offset:         8
        .size:           8
        .value_kind:     global_buffer
      - .offset:         16
        .size:           8
        .value_kind:     by_value
      - .offset:         24
        .size:           8
        .value_kind:     by_value
      - .actual_access:  read_only
        .address_space:  global
        .offset:         32
        .size:           8
        .value_kind:     global_buffer
      - .actual_access:  read_only
        .address_space:  global
        .offset:         40
        .size:           8
        .value_kind:     global_buffer
      - .address_space:  global
        .offset:         48
        .size:           8
        .value_kind:     global_buffer
      - .address_space:  global
        .offset:         56
        .size:           8
        .value_kind:     global_buffer
      - .offset:         64
        .size:           4
        .value_kind:     hidden_block_count_x
      - .offset:         68
        .size:           4
        .value_kind:     hidden_block_count_y
      - .offset:         72
        .size:           4
        .value_kind:     hidden_block_count_z
      - .offset:         76
        .size:           2
        .value_kind:     hidden_group_size_x
      - .offset:         78
        .size:           2
        .value_kind:     hidden_group_size_y
      - .offset:         80
        .size:           2
        .value_kind:     hidden_group_size_z
      - .offset:         82
        .size:           2
        .value_kind:     hidden_remainder_x
      - .offset:         84
        .size:           2
        .value_kind:     hidden_remainder_y
      - .offset:         86
        .size:           2
        .value_kind:     hidden_remainder_z
      - .offset:         104
        .size:           8
        .value_kind:     hidden_global_offset_x
      - .offset:         112
        .size:           8
        .value_kind:     hidden_global_offset_y
      - .offset:         120
        .size:           8
        .value_kind:     hidden_global_offset_z
      - .offset:         128
        .size:           2
        .value_kind:     hidden_grid_dims
      - .offset:         184
        .size:           4
        .value_kind:     hidden_dynamic_lds_size
    .group_segment_fixed_size: 0
    .kernarg_segment_align: 8
    .kernarg_segment_size: 320
    .language:       OpenCL C
    .language_version:
      - 2
      - 0
    .max_flat_workgroup_size: 1024
    .name:           _ZN2at6native12_GLOBAL__N_118cuComputeGradInputIffLb0EEEvPKT_S5_llPKT0_S8_S5_PS3_
    .private_segment_fixed_size: 0
    .sgpr_count:     57
    .sgpr_spill_count: 0
    .symbol:         _ZN2at6native12_GLOBAL__N_118cuComputeGradInputIffLb0EEEvPKT_S5_llPKT0_S8_S5_PS3_.kd
    .uniform_work_group_size: 1
    .uses_dynamic_stack: false
    .vgpr_count:     28
    .vgpr_spill_count: 0
    .wavefront_size: 64
  - .agpr_count:     0
    .args:
      - .actual_access:  read_only
        .address_space:  global
        .offset:         0
        .size:           8
        .value_kind:     global_buffer
      - .actual_access:  read_only
        .address_space:  global
        .offset:         8
        .size:           8
        .value_kind:     global_buffer
      - .actual_access:  read_only
        .address_space:  global
        .offset:         16
        .size:           8
        .value_kind:     global_buffer
      - .actual_access:  read_only
        .address_space:  global
        .offset:         24
        .size:           8
        .value_kind:     global_buffer
      - .actual_access:  read_only
        .address_space:  global
        .offset:         32
        .size:           8
        .value_kind:     global_buffer
      - .address_space:  global
        .offset:         40
        .size:           8
        .value_kind:     global_buffer
      - .offset:         48
        .size:           4
        .value_kind:     by_value
      - .offset:         56
        .size:           4
        .value_kind:     hidden_block_count_x
      - .offset:         60
        .size:           4
        .value_kind:     hidden_block_count_y
      - .offset:         64
        .size:           4
        .value_kind:     hidden_block_count_z
      - .offset:         68
        .size:           2
        .value_kind:     hidden_group_size_x
      - .offset:         70
        .size:           2
        .value_kind:     hidden_group_size_y
      - .offset:         72
        .size:           2
        .value_kind:     hidden_group_size_z
      - .offset:         74
        .size:           2
        .value_kind:     hidden_remainder_x
      - .offset:         76
        .size:           2
        .value_kind:     hidden_remainder_y
      - .offset:         78
        .size:           2
        .value_kind:     hidden_remainder_z
      - .offset:         96
        .size:           8
        .value_kind:     hidden_global_offset_x
      - .offset:         104
        .size:           8
        .value_kind:     hidden_global_offset_y
      - .offset:         112
        .size:           8
        .value_kind:     hidden_global_offset_z
      - .offset:         120
        .size:           2
        .value_kind:     hidden_grid_dims
      - .offset:         176
        .size:           4
        .value_kind:     hidden_dynamic_lds_size
    .group_segment_fixed_size: 0
    .kernarg_segment_align: 8
    .kernarg_segment_size: 312
    .language:       OpenCL C
    .language_version:
      - 2
      - 0
    .max_flat_workgroup_size: 1024
    .name:           _ZN2at6native12_GLOBAL__N_128layer_norm_grad_input_kernelIffLb0EEEvPKT_S5_PKT0_S8_S5_PS3_i
    .private_segment_fixed_size: 0
    .sgpr_count:     34
    .sgpr_spill_count: 0
    .symbol:         _ZN2at6native12_GLOBAL__N_128layer_norm_grad_input_kernelIffLb0EEEvPKT_S5_PKT0_S8_S5_PS3_i.kd
    .uniform_work_group_size: 1
    .uses_dynamic_stack: false
    .vgpr_count:     23
    .vgpr_spill_count: 0
    .wavefront_size: 64
  - .agpr_count:     0
    .args:
      - .offset:         0
        .size:           8
        .value_kind:     by_value
      - .offset:         8
        .size:           8
        .value_kind:     by_value
      - .address_space:  global
        .offset:         16
        .size:           8
        .value_kind:     global_buffer
      - .address_space:  global
        .offset:         24
        .size:           8
        .value_kind:     global_buffer
      - .address_space:  global
        .offset:         32
        .size:           8
        .value_kind:     global_buffer
      - .address_space:  global
        .offset:         40
        .size:           8
        .value_kind:     global_buffer
      - .address_space:  global
        .offset:         48
        .size:           8
        .value_kind:     global_buffer
      - .address_space:  global
        .offset:         56
        .size:           8
        .value_kind:     global_buffer
      - .offset:         64
        .size:           4
        .value_kind:     hidden_block_count_x
      - .offset:         68
        .size:           4
        .value_kind:     hidden_block_count_y
      - .offset:         72
        .size:           4
        .value_kind:     hidden_block_count_z
      - .offset:         76
        .size:           2
        .value_kind:     hidden_group_size_x
      - .offset:         78
        .size:           2
        .value_kind:     hidden_group_size_y
      - .offset:         80
        .size:           2
        .value_kind:     hidden_group_size_z
      - .offset:         82
        .size:           2
        .value_kind:     hidden_remainder_x
      - .offset:         84
        .size:           2
        .value_kind:     hidden_remainder_y
      - .offset:         86
        .size:           2
        .value_kind:     hidden_remainder_z
      - .offset:         104
        .size:           8
        .value_kind:     hidden_global_offset_x
      - .offset:         112
        .size:           8
        .value_kind:     hidden_global_offset_y
      - .offset:         120
        .size:           8
        .value_kind:     hidden_global_offset_z
      - .offset:         128
        .size:           2
        .value_kind:     hidden_grid_dims
    .group_segment_fixed_size: 0
    .kernarg_segment_align: 8
    .kernarg_segment_size: 320
    .language:       OpenCL C
    .language_version:
      - 2
      - 0
    .max_flat_workgroup_size: 1024
    .name:           _ZN2at6native12_GLOBAL__N_133GammaBetaBackwardSimpleCUDAKernelIffLb0EEEvllPKT_S5_PKT0_S8_PS3_S9_
    .private_segment_fixed_size: 0
    .sgpr_count:     28
    .sgpr_spill_count: 0
    .symbol:         _ZN2at6native12_GLOBAL__N_133GammaBetaBackwardSimpleCUDAKernelIffLb0EEEvllPKT_S5_PKT0_S8_PS3_S9_.kd
    .uniform_work_group_size: 1
    .uses_dynamic_stack: false
    .vgpr_count:     12
    .vgpr_spill_count: 0
    .wavefront_size: 64
  - .agpr_count:     0
    .args:
      - .offset:         0
        .size:           8
        .value_kind:     by_value
      - .offset:         8
        .size:           8
        .value_kind:     by_value
      - .actual_access:  read_only
        .address_space:  global
        .offset:         16
        .size:           8
        .value_kind:     global_buffer
      - .actual_access:  read_only
        .address_space:  global
        .offset:         24
        .size:           8
        .value_kind:     global_buffer
      - .actual_access:  read_only
        .address_space:  global
        .offset:         32
        .size:           8
        .value_kind:     global_buffer
      - .actual_access:  read_only
        .address_space:  global
        .offset:         40
        .size:           8
        .value_kind:     global_buffer
      - .actual_access:  write_only
        .address_space:  global
        .offset:         48
        .size:           8
        .value_kind:     global_buffer
      - .actual_access:  write_only
        .address_space:  global
        .offset:         56
        .size:           8
        .value_kind:     global_buffer
      - .offset:         64
        .size:           4
        .value_kind:     hidden_block_count_x
      - .offset:         68
        .size:           4
        .value_kind:     hidden_block_count_y
      - .offset:         72
        .size:           4
        .value_kind:     hidden_block_count_z
      - .offset:         76
        .size:           2
        .value_kind:     hidden_group_size_x
      - .offset:         78
        .size:           2
        .value_kind:     hidden_group_size_y
      - .offset:         80
        .size:           2
        .value_kind:     hidden_group_size_z
      - .offset:         82
        .size:           2
        .value_kind:     hidden_remainder_x
      - .offset:         84
        .size:           2
        .value_kind:     hidden_remainder_y
      - .offset:         86
        .size:           2
        .value_kind:     hidden_remainder_z
      - .offset:         104
        .size:           8
        .value_kind:     hidden_global_offset_x
      - .offset:         112
        .size:           8
        .value_kind:     hidden_global_offset_y
      - .offset:         120
        .size:           8
        .value_kind:     hidden_global_offset_z
      - .offset:         128
        .size:           2
        .value_kind:     hidden_grid_dims
    .group_segment_fixed_size: 0
    .kernarg_segment_align: 8
    .kernarg_segment_size: 320
    .language:       OpenCL C
    .language_version:
      - 2
      - 0
    .max_flat_workgroup_size: 64
    .name:           _ZN2at6native12_GLOBAL__N_135GammaBetaBackwardCUDAKernelTemplateIffLj64ELj1ELj32ELb1ELb1ELb0EEEvllPKT_S5_PKT0_S8_PS3_S9_
    .private_segment_fixed_size: 0
    .sgpr_count:     46
    .sgpr_spill_count: 0
    .symbol:         _ZN2at6native12_GLOBAL__N_135GammaBetaBackwardCUDAKernelTemplateIffLj64ELj1ELj32ELb1ELb1ELb0EEEvllPKT_S5_PKT0_S8_PS3_S9_.kd
    .uniform_work_group_size: 1
    .uses_dynamic_stack: false
    .vgpr_count:     71
    .vgpr_spill_count: 0
    .wavefront_size: 64
  - .agpr_count:     88
    .args:
      - .offset:         0
        .size:           8
        .value_kind:     by_value
      - .offset:         8
        .size:           8
        .value_kind:     by_value
      - .actual_access:  read_only
        .address_space:  global
        .offset:         16
        .size:           8
        .value_kind:     global_buffer
      - .actual_access:  read_only
        .address_space:  global
        .offset:         24
        .size:           8
        .value_kind:     global_buffer
      - .actual_access:  read_only
        .address_space:  global
        .offset:         32
        .size:           8
        .value_kind:     global_buffer
      - .actual_access:  read_only
        .address_space:  global
        .offset:         40
        .size:           8
        .value_kind:     global_buffer
      - .actual_access:  write_only
        .address_space:  global
        .offset:         48
        .size:           8
        .value_kind:     global_buffer
      - .actual_access:  write_only
        .address_space:  global
        .offset:         56
        .size:           8
        .value_kind:     global_buffer
      - .offset:         64
        .size:           4
        .value_kind:     hidden_block_count_x
      - .offset:         68
        .size:           4
        .value_kind:     hidden_block_count_y
      - .offset:         72
        .size:           4
        .value_kind:     hidden_block_count_z
      - .offset:         76
        .size:           2
        .value_kind:     hidden_group_size_x
      - .offset:         78
        .size:           2
        .value_kind:     hidden_group_size_y
      - .offset:         80
        .size:           2
        .value_kind:     hidden_group_size_z
      - .offset:         82
        .size:           2
        .value_kind:     hidden_remainder_x
      - .offset:         84
        .size:           2
        .value_kind:     hidden_remainder_y
      - .offset:         86
        .size:           2
        .value_kind:     hidden_remainder_z
      - .offset:         104
        .size:           8
        .value_kind:     hidden_global_offset_x
      - .offset:         112
        .size:           8
        .value_kind:     hidden_global_offset_y
      - .offset:         120
        .size:           8
        .value_kind:     hidden_global_offset_z
      - .offset:         128
        .size:           2
        .value_kind:     hidden_grid_dims
    .group_segment_fixed_size: 0
    .kernarg_segment_align: 8
    .kernarg_segment_size: 320
    .language:       OpenCL C
    .language_version:
      - 2
      - 0
    .max_flat_workgroup_size: 64
    .name:           _ZN2at6native12_GLOBAL__N_135GammaBetaBackwardCUDAKernelTemplateIffLj64ELj1ELj32ELb1ELb0ELb0EEEvllPKT_S5_PKT0_S8_PS3_S9_
    .private_segment_fixed_size: 0
    .sgpr_count:     46
    .sgpr_spill_count: 0
    .symbol:         _ZN2at6native12_GLOBAL__N_135GammaBetaBackwardCUDAKernelTemplateIffLj64ELj1ELj32ELb1ELb0ELb0EEEvllPKT_S5_PKT0_S8_PS3_S9_.kd
    .uniform_work_group_size: 1
    .uses_dynamic_stack: false
    .vgpr_count:     344
    .vgpr_spill_count: 0
    .wavefront_size: 64
  - .agpr_count:     0
    .args:
      - .offset:         0
        .size:           8
        .value_kind:     by_value
      - .offset:         8
        .size:           8
        .value_kind:     by_value
      - .actual_access:  read_only
        .address_space:  global
        .offset:         16
        .size:           8
        .value_kind:     global_buffer
      - .actual_access:  read_only
        .address_space:  global
        .offset:         24
        .size:           8
        .value_kind:     global_buffer
      - .actual_access:  read_only
        .address_space:  global
        .offset:         32
        .size:           8
        .value_kind:     global_buffer
      - .actual_access:  read_only
        .address_space:  global
        .offset:         40
        .size:           8
        .value_kind:     global_buffer
      - .actual_access:  write_only
        .address_space:  global
        .offset:         48
        .size:           8
        .value_kind:     global_buffer
      - .actual_access:  write_only
        .address_space:  global
        .offset:         56
        .size:           8
        .value_kind:     global_buffer
      - .offset:         64
        .size:           4
        .value_kind:     hidden_block_count_x
      - .offset:         68
        .size:           4
        .value_kind:     hidden_block_count_y
      - .offset:         72
        .size:           4
        .value_kind:     hidden_block_count_z
      - .offset:         76
        .size:           2
        .value_kind:     hidden_group_size_x
      - .offset:         78
        .size:           2
        .value_kind:     hidden_group_size_y
      - .offset:         80
        .size:           2
        .value_kind:     hidden_group_size_z
      - .offset:         82
        .size:           2
        .value_kind:     hidden_remainder_x
      - .offset:         84
        .size:           2
        .value_kind:     hidden_remainder_y
      - .offset:         86
        .size:           2
        .value_kind:     hidden_remainder_z
      - .offset:         104
        .size:           8
        .value_kind:     hidden_global_offset_x
      - .offset:         112
        .size:           8
        .value_kind:     hidden_global_offset_y
      - .offset:         120
        .size:           8
        .value_kind:     hidden_global_offset_z
      - .offset:         128
        .size:           2
        .value_kind:     hidden_grid_dims
    .group_segment_fixed_size: 0
    .kernarg_segment_align: 8
    .kernarg_segment_size: 320
    .language:       OpenCL C
    .language_version:
      - 2
      - 0
    .max_flat_workgroup_size: 64
    .name:           _ZN2at6native12_GLOBAL__N_135GammaBetaBackwardCUDAKernelTemplateIffLj64ELj1ELj8ELb1ELb1ELb0EEEvllPKT_S5_PKT0_S8_PS3_S9_
    .private_segment_fixed_size: 0
    .sgpr_count:     46
    .sgpr_spill_count: 0
    .symbol:         _ZN2at6native12_GLOBAL__N_135GammaBetaBackwardCUDAKernelTemplateIffLj64ELj1ELj8ELb1ELb1ELb0EEEvllPKT_S5_PKT0_S8_PS3_S9_.kd
    .uniform_work_group_size: 1
    .uses_dynamic_stack: false
    .vgpr_count:     52
    .vgpr_spill_count: 0
    .wavefront_size: 64
  - .agpr_count:     0
    .args:
      - .offset:         0
        .size:           8
        .value_kind:     by_value
      - .offset:         8
        .size:           8
        .value_kind:     by_value
      - .actual_access:  read_only
        .address_space:  global
        .offset:         16
        .size:           8
        .value_kind:     global_buffer
      - .actual_access:  read_only
        .address_space:  global
        .offset:         24
        .size:           8
        .value_kind:     global_buffer
      - .actual_access:  read_only
        .address_space:  global
        .offset:         32
        .size:           8
        .value_kind:     global_buffer
      - .actual_access:  read_only
        .address_space:  global
        .offset:         40
        .size:           8
        .value_kind:     global_buffer
      - .actual_access:  write_only
        .address_space:  global
        .offset:         48
        .size:           8
        .value_kind:     global_buffer
      - .actual_access:  write_only
        .address_space:  global
        .offset:         56
        .size:           8
        .value_kind:     global_buffer
      - .offset:         64
        .size:           4
        .value_kind:     hidden_block_count_x
      - .offset:         68
        .size:           4
        .value_kind:     hidden_block_count_y
      - .offset:         72
        .size:           4
        .value_kind:     hidden_block_count_z
      - .offset:         76
        .size:           2
        .value_kind:     hidden_group_size_x
      - .offset:         78
        .size:           2
        .value_kind:     hidden_group_size_y
      - .offset:         80
        .size:           2
        .value_kind:     hidden_group_size_z
      - .offset:         82
        .size:           2
        .value_kind:     hidden_remainder_x
      - .offset:         84
        .size:           2
        .value_kind:     hidden_remainder_y
      - .offset:         86
        .size:           2
        .value_kind:     hidden_remainder_z
      - .offset:         104
        .size:           8
        .value_kind:     hidden_global_offset_x
      - .offset:         112
        .size:           8
        .value_kind:     hidden_global_offset_y
      - .offset:         120
        .size:           8
        .value_kind:     hidden_global_offset_z
      - .offset:         128
        .size:           2
        .value_kind:     hidden_grid_dims
    .group_segment_fixed_size: 0
    .kernarg_segment_align: 8
    .kernarg_segment_size: 320
    .language:       OpenCL C
    .language_version:
      - 2
      - 0
    .max_flat_workgroup_size: 64
    .name:           _ZN2at6native12_GLOBAL__N_135GammaBetaBackwardCUDAKernelTemplateIffLj64ELj1ELj8ELb1ELb0ELb0EEEvllPKT_S5_PKT0_S8_PS3_S9_
    .private_segment_fixed_size: 0
    .sgpr_count:     46
    .sgpr_spill_count: 0
    .symbol:         _ZN2at6native12_GLOBAL__N_135GammaBetaBackwardCUDAKernelTemplateIffLj64ELj1ELj8ELb1ELb0ELb0EEEvllPKT_S5_PKT0_S8_PS3_S9_.kd
    .uniform_work_group_size: 1
    .uses_dynamic_stack: false
    .vgpr_count:     103
    .vgpr_spill_count: 0
    .wavefront_size: 64
  - .agpr_count:     0
    .args:
      - .offset:         0
        .size:           8
        .value_kind:     by_value
      - .offset:         8
        .size:           8
        .value_kind:     by_value
      - .actual_access:  read_only
        .address_space:  global
        .offset:         16
        .size:           8
        .value_kind:     global_buffer
      - .actual_access:  read_only
        .address_space:  global
        .offset:         24
        .size:           8
        .value_kind:     global_buffer
      - .actual_access:  read_only
        .address_space:  global
        .offset:         32
        .size:           8
        .value_kind:     global_buffer
      - .actual_access:  read_only
        .address_space:  global
        .offset:         40
        .size:           8
        .value_kind:     global_buffer
      - .actual_access:  write_only
        .address_space:  global
        .offset:         48
        .size:           8
        .value_kind:     global_buffer
      - .actual_access:  write_only
        .address_space:  global
        .offset:         56
        .size:           8
        .value_kind:     global_buffer
      - .offset:         64
        .size:           4
        .value_kind:     hidden_block_count_x
      - .offset:         68
        .size:           4
        .value_kind:     hidden_block_count_y
      - .offset:         72
        .size:           4
        .value_kind:     hidden_block_count_z
      - .offset:         76
        .size:           2
        .value_kind:     hidden_group_size_x
      - .offset:         78
        .size:           2
        .value_kind:     hidden_group_size_y
      - .offset:         80
        .size:           2
        .value_kind:     hidden_group_size_z
      - .offset:         82
        .size:           2
        .value_kind:     hidden_remainder_x
      - .offset:         84
        .size:           2
        .value_kind:     hidden_remainder_y
      - .offset:         86
        .size:           2
        .value_kind:     hidden_remainder_z
      - .offset:         104
        .size:           8
        .value_kind:     hidden_global_offset_x
      - .offset:         112
        .size:           8
        .value_kind:     hidden_global_offset_y
      - .offset:         120
        .size:           8
        .value_kind:     hidden_global_offset_z
      - .offset:         128
        .size:           2
        .value_kind:     hidden_grid_dims
      - .offset:         184
        .size:           4
        .value_kind:     hidden_dynamic_lds_size
    .group_segment_fixed_size: 0
    .kernarg_segment_align: 8
    .kernarg_segment_size: 320
    .language:       OpenCL C
    .language_version:
      - 2
      - 0
    .max_flat_workgroup_size: 512
    .name:           _ZN2at6native12_GLOBAL__N_135GammaBetaBackwardCUDAKernelTemplateIffLj64ELj8ELj64ELb0ELb1ELb0EEEvllPKT_S5_PKT0_S8_PS3_S9_
    .private_segment_fixed_size: 0
    .sgpr_count:     38
    .sgpr_spill_count: 0
    .symbol:         _ZN2at6native12_GLOBAL__N_135GammaBetaBackwardCUDAKernelTemplateIffLj64ELj8ELj64ELb0ELb1ELb0EEEvllPKT_S5_PKT0_S8_PS3_S9_.kd
    .uniform_work_group_size: 1
    .uses_dynamic_stack: false
    .vgpr_count:     54
    .vgpr_spill_count: 0
    .wavefront_size: 64
  - .agpr_count:     0
    .args:
      - .offset:         0
        .size:           8
        .value_kind:     by_value
      - .offset:         8
        .size:           8
        .value_kind:     by_value
      - .actual_access:  read_only
        .address_space:  global
        .offset:         16
        .size:           8
        .value_kind:     global_buffer
      - .actual_access:  read_only
        .address_space:  global
        .offset:         24
        .size:           8
        .value_kind:     global_buffer
      - .actual_access:  read_only
        .address_space:  global
        .offset:         32
        .size:           8
        .value_kind:     global_buffer
      - .actual_access:  read_only
        .address_space:  global
        .offset:         40
        .size:           8
        .value_kind:     global_buffer
      - .actual_access:  write_only
        .address_space:  global
        .offset:         48
        .size:           8
        .value_kind:     global_buffer
      - .actual_access:  write_only
        .address_space:  global
        .offset:         56
        .size:           8
        .value_kind:     global_buffer
      - .offset:         64
        .size:           4
        .value_kind:     hidden_block_count_x
      - .offset:         68
        .size:           4
        .value_kind:     hidden_block_count_y
      - .offset:         72
        .size:           4
        .value_kind:     hidden_block_count_z
      - .offset:         76
        .size:           2
        .value_kind:     hidden_group_size_x
      - .offset:         78
        .size:           2
        .value_kind:     hidden_group_size_y
      - .offset:         80
        .size:           2
        .value_kind:     hidden_group_size_z
      - .offset:         82
        .size:           2
        .value_kind:     hidden_remainder_x
      - .offset:         84
        .size:           2
        .value_kind:     hidden_remainder_y
      - .offset:         86
        .size:           2
        .value_kind:     hidden_remainder_z
      - .offset:         104
        .size:           8
        .value_kind:     hidden_global_offset_x
      - .offset:         112
        .size:           8
        .value_kind:     hidden_global_offset_y
      - .offset:         120
        .size:           8
        .value_kind:     hidden_global_offset_z
      - .offset:         128
        .size:           2
        .value_kind:     hidden_grid_dims
      - .offset:         184
        .size:           4
        .value_kind:     hidden_dynamic_lds_size
    .group_segment_fixed_size: 0
    .kernarg_segment_align: 8
    .kernarg_segment_size: 320
    .language:       OpenCL C
    .language_version:
      - 2
      - 0
    .max_flat_workgroup_size: 512
    .name:           _ZN2at6native12_GLOBAL__N_135GammaBetaBackwardCUDAKernelTemplateIffLj64ELj8ELj64ELb0ELb0ELb0EEEvllPKT_S5_PKT0_S8_PS3_S9_
    .private_segment_fixed_size: 0
    .sgpr_count:     58
    .sgpr_spill_count: 0
    .symbol:         _ZN2at6native12_GLOBAL__N_135GammaBetaBackwardCUDAKernelTemplateIffLj64ELj8ELj64ELb0ELb0ELb0EEEvllPKT_S5_PKT0_S8_PS3_S9_.kd
    .uniform_work_group_size: 1
    .uses_dynamic_stack: false
    .vgpr_count:     104
    .vgpr_spill_count: 0
    .wavefront_size: 64
  - .agpr_count:     0
    .args:
      - .offset:         0
        .size:           8
        .value_kind:     by_value
      - .offset:         8
        .size:           8
        .value_kind:     by_value
      - .actual_access:  read_only
        .address_space:  global
        .offset:         16
        .size:           8
        .value_kind:     global_buffer
      - .actual_access:  read_only
        .address_space:  global
        .offset:         24
        .size:           8
        .value_kind:     global_buffer
      - .actual_access:  read_only
        .address_space:  global
        .offset:         32
        .size:           8
        .value_kind:     global_buffer
      - .actual_access:  read_only
        .address_space:  global
        .offset:         40
        .size:           8
        .value_kind:     global_buffer
      - .actual_access:  write_only
        .address_space:  global
        .offset:         48
        .size:           8
        .value_kind:     global_buffer
      - .actual_access:  write_only
        .address_space:  global
        .offset:         56
        .size:           8
        .value_kind:     global_buffer
      - .offset:         64
        .size:           4
        .value_kind:     hidden_block_count_x
      - .offset:         68
        .size:           4
        .value_kind:     hidden_block_count_y
      - .offset:         72
        .size:           4
        .value_kind:     hidden_block_count_z
      - .offset:         76
        .size:           2
        .value_kind:     hidden_group_size_x
      - .offset:         78
        .size:           2
        .value_kind:     hidden_group_size_y
      - .offset:         80
        .size:           2
        .value_kind:     hidden_group_size_z
      - .offset:         82
        .size:           2
        .value_kind:     hidden_remainder_x
      - .offset:         84
        .size:           2
        .value_kind:     hidden_remainder_y
      - .offset:         86
        .size:           2
        .value_kind:     hidden_remainder_z
      - .offset:         104
        .size:           8
        .value_kind:     hidden_global_offset_x
      - .offset:         112
        .size:           8
        .value_kind:     hidden_global_offset_y
      - .offset:         120
        .size:           8
        .value_kind:     hidden_global_offset_z
      - .offset:         128
        .size:           2
        .value_kind:     hidden_grid_dims
      - .offset:         184
        .size:           4
        .value_kind:     hidden_dynamic_lds_size
    .group_segment_fixed_size: 0
    .kernarg_segment_align: 8
    .kernarg_segment_size: 320
    .language:       OpenCL C
    .language_version:
      - 2
      - 0
    .max_flat_workgroup_size: 1024
    .name:           _ZN2at6native12_GLOBAL__N_135GammaBetaBackwardCUDAKernelTemplateIffLj64ELj16ELj128ELb0ELb1ELb0EEEvllPKT_S5_PKT0_S8_PS3_S9_
    .private_segment_fixed_size: 0
    .sgpr_count:     38
    .sgpr_spill_count: 0
    .symbol:         _ZN2at6native12_GLOBAL__N_135GammaBetaBackwardCUDAKernelTemplateIffLj64ELj16ELj128ELb0ELb1ELb0EEEvllPKT_S5_PKT0_S8_PS3_S9_.kd
    .uniform_work_group_size: 1
    .uses_dynamic_stack: false
    .vgpr_count:     54
    .vgpr_spill_count: 0
    .wavefront_size: 64
  - .agpr_count:     0
    .args:
      - .offset:         0
        .size:           8
        .value_kind:     by_value
      - .offset:         8
        .size:           8
        .value_kind:     by_value
      - .actual_access:  read_only
        .address_space:  global
        .offset:         16
        .size:           8
        .value_kind:     global_buffer
      - .actual_access:  read_only
        .address_space:  global
        .offset:         24
        .size:           8
        .value_kind:     global_buffer
      - .actual_access:  read_only
        .address_space:  global
        .offset:         32
        .size:           8
        .value_kind:     global_buffer
      - .actual_access:  read_only
        .address_space:  global
        .offset:         40
        .size:           8
        .value_kind:     global_buffer
      - .actual_access:  write_only
        .address_space:  global
        .offset:         48
        .size:           8
        .value_kind:     global_buffer
      - .actual_access:  write_only
        .address_space:  global
        .offset:         56
        .size:           8
        .value_kind:     global_buffer
      - .offset:         64
        .size:           4
        .value_kind:     hidden_block_count_x
      - .offset:         68
        .size:           4
        .value_kind:     hidden_block_count_y
      - .offset:         72
        .size:           4
        .value_kind:     hidden_block_count_z
      - .offset:         76
        .size:           2
        .value_kind:     hidden_group_size_x
      - .offset:         78
        .size:           2
        .value_kind:     hidden_group_size_y
      - .offset:         80
        .size:           2
        .value_kind:     hidden_group_size_z
      - .offset:         82
        .size:           2
        .value_kind:     hidden_remainder_x
      - .offset:         84
        .size:           2
        .value_kind:     hidden_remainder_y
      - .offset:         86
        .size:           2
        .value_kind:     hidden_remainder_z
      - .offset:         104
        .size:           8
        .value_kind:     hidden_global_offset_x
      - .offset:         112
        .size:           8
        .value_kind:     hidden_global_offset_y
      - .offset:         120
        .size:           8
        .value_kind:     hidden_global_offset_z
      - .offset:         128
        .size:           2
        .value_kind:     hidden_grid_dims
      - .offset:         184
        .size:           4
        .value_kind:     hidden_dynamic_lds_size
    .group_segment_fixed_size: 0
    .kernarg_segment_align: 8
    .kernarg_segment_size: 320
    .language:       OpenCL C
    .language_version:
      - 2
      - 0
    .max_flat_workgroup_size: 1024
    .name:           _ZN2at6native12_GLOBAL__N_135GammaBetaBackwardCUDAKernelTemplateIffLj64ELj16ELj128ELb0ELb0ELb0EEEvllPKT_S5_PKT0_S8_PS3_S9_
    .private_segment_fixed_size: 0
    .sgpr_count:     58
    .sgpr_spill_count: 0
    .symbol:         _ZN2at6native12_GLOBAL__N_135GammaBetaBackwardCUDAKernelTemplateIffLj64ELj16ELj128ELb0ELb0ELb0EEEvllPKT_S5_PKT0_S8_PS3_S9_.kd
    .uniform_work_group_size: 1
    .uses_dynamic_stack: false
    .vgpr_count:     104
    .vgpr_spill_count: 0
    .wavefront_size: 64
  - .agpr_count:     0
    .args:
      - .offset:         0
        .size:           8
        .value_kind:     by_value
      - .offset:         8
        .size:           8
        .value_kind:     by_value
      - .actual_access:  read_only
        .address_space:  global
        .offset:         16
        .size:           8
        .value_kind:     global_buffer
      - .actual_access:  read_only
        .address_space:  global
        .offset:         24
        .size:           8
        .value_kind:     global_buffer
      - .actual_access:  read_only
        .address_space:  global
        .offset:         32
        .size:           8
        .value_kind:     global_buffer
      - .actual_access:  read_only
        .address_space:  global
        .offset:         40
        .size:           8
        .value_kind:     global_buffer
      - .actual_access:  write_only
        .address_space:  global
        .offset:         48
        .size:           8
        .value_kind:     global_buffer
      - .actual_access:  write_only
        .address_space:  global
        .offset:         56
        .size:           8
        .value_kind:     global_buffer
      - .offset:         64
        .size:           4
        .value_kind:     hidden_block_count_x
      - .offset:         68
        .size:           4
        .value_kind:     hidden_block_count_y
      - .offset:         72
        .size:           4
        .value_kind:     hidden_block_count_z
      - .offset:         76
        .size:           2
        .value_kind:     hidden_group_size_x
      - .offset:         78
        .size:           2
        .value_kind:     hidden_group_size_y
      - .offset:         80
        .size:           2
        .value_kind:     hidden_group_size_z
      - .offset:         82
        .size:           2
        .value_kind:     hidden_remainder_x
      - .offset:         84
        .size:           2
        .value_kind:     hidden_remainder_y
      - .offset:         86
        .size:           2
        .value_kind:     hidden_remainder_z
      - .offset:         104
        .size:           8
        .value_kind:     hidden_global_offset_x
      - .offset:         112
        .size:           8
        .value_kind:     hidden_global_offset_y
      - .offset:         120
        .size:           8
        .value_kind:     hidden_global_offset_z
      - .offset:         128
        .size:           2
        .value_kind:     hidden_grid_dims
      - .offset:         184
        .size:           4
        .value_kind:     hidden_dynamic_lds_size
    .group_segment_fixed_size: 0
    .kernarg_segment_align: 8
    .kernarg_segment_size: 320
    .language:       OpenCL C
    .language_version:
      - 2
      - 0
    .max_flat_workgroup_size: 1024
    .name:           _ZN2at6native12_GLOBAL__N_135GammaBetaBackwardCUDAKernelTemplateIffLj64ELj16ELj256ELb0ELb1ELb0EEEvllPKT_S5_PKT0_S8_PS3_S9_
    .private_segment_fixed_size: 0
    .sgpr_count:     38
    .sgpr_spill_count: 0
    .symbol:         _ZN2at6native12_GLOBAL__N_135GammaBetaBackwardCUDAKernelTemplateIffLj64ELj16ELj256ELb0ELb1ELb0EEEvllPKT_S5_PKT0_S8_PS3_S9_.kd
    .uniform_work_group_size: 1
    .uses_dynamic_stack: false
    .vgpr_count:     60
    .vgpr_spill_count: 0
    .wavefront_size: 64
  - .agpr_count:     0
    .args:
      - .offset:         0
        .size:           8
        .value_kind:     by_value
      - .offset:         8
        .size:           8
        .value_kind:     by_value
      - .actual_access:  read_only
        .address_space:  global
        .offset:         16
        .size:           8
        .value_kind:     global_buffer
      - .actual_access:  read_only
        .address_space:  global
        .offset:         24
        .size:           8
        .value_kind:     global_buffer
      - .actual_access:  read_only
        .address_space:  global
        .offset:         32
        .size:           8
        .value_kind:     global_buffer
      - .actual_access:  read_only
        .address_space:  global
        .offset:         40
        .size:           8
        .value_kind:     global_buffer
      - .actual_access:  write_only
        .address_space:  global
        .offset:         48
        .size:           8
        .value_kind:     global_buffer
      - .actual_access:  write_only
        .address_space:  global
        .offset:         56
        .size:           8
        .value_kind:     global_buffer
      - .offset:         64
        .size:           4
        .value_kind:     hidden_block_count_x
      - .offset:         68
        .size:           4
        .value_kind:     hidden_block_count_y
      - .offset:         72
        .size:           4
        .value_kind:     hidden_block_count_z
      - .offset:         76
        .size:           2
        .value_kind:     hidden_group_size_x
      - .offset:         78
        .size:           2
        .value_kind:     hidden_group_size_y
      - .offset:         80
        .size:           2
        .value_kind:     hidden_group_size_z
      - .offset:         82
        .size:           2
        .value_kind:     hidden_remainder_x
      - .offset:         84
        .size:           2
        .value_kind:     hidden_remainder_y
      - .offset:         86
        .size:           2
        .value_kind:     hidden_remainder_z
      - .offset:         104
        .size:           8
        .value_kind:     hidden_global_offset_x
      - .offset:         112
        .size:           8
        .value_kind:     hidden_global_offset_y
      - .offset:         120
        .size:           8
        .value_kind:     hidden_global_offset_z
      - .offset:         128
        .size:           2
        .value_kind:     hidden_grid_dims
      - .offset:         184
        .size:           4
        .value_kind:     hidden_dynamic_lds_size
    .group_segment_fixed_size: 0
    .kernarg_segment_align: 8
    .kernarg_segment_size: 320
    .language:       OpenCL C
    .language_version:
      - 2
      - 0
    .max_flat_workgroup_size: 1024
    .name:           _ZN2at6native12_GLOBAL__N_135GammaBetaBackwardCUDAKernelTemplateIffLj64ELj16ELj256ELb0ELb0ELb0EEEvllPKT_S5_PKT0_S8_PS3_S9_
    .private_segment_fixed_size: 208
    .sgpr_count:     74
    .sgpr_spill_count: 0
    .symbol:         _ZN2at6native12_GLOBAL__N_135GammaBetaBackwardCUDAKernelTemplateIffLj64ELj16ELj256ELb0ELb0ELb0EEEvllPKT_S5_PKT0_S8_PS3_S9_.kd
    .uniform_work_group_size: 1
    .uses_dynamic_stack: false
    .vgpr_count:     128
    .vgpr_spill_count: 97
    .wavefront_size: 64
  - .agpr_count:     0
    .args:
      - .offset:         0
        .size:           8
        .value_kind:     by_value
      - .offset:         8
        .size:           8
        .value_kind:     by_value
      - .actual_access:  read_only
        .address_space:  global
        .offset:         16
        .size:           8
        .value_kind:     global_buffer
      - .actual_access:  read_only
        .address_space:  global
        .offset:         24
        .size:           8
        .value_kind:     global_buffer
      - .actual_access:  read_only
        .address_space:  global
        .offset:         32
        .size:           8
        .value_kind:     global_buffer
      - .actual_access:  read_only
        .address_space:  global
        .offset:         40
        .size:           8
        .value_kind:     global_buffer
      - .actual_access:  write_only
        .address_space:  global
        .offset:         48
        .size:           8
        .value_kind:     global_buffer
      - .actual_access:  write_only
        .address_space:  global
        .offset:         56
        .size:           8
        .value_kind:     global_buffer
      - .offset:         64
        .size:           4
        .value_kind:     hidden_block_count_x
      - .offset:         68
        .size:           4
        .value_kind:     hidden_block_count_y
      - .offset:         72
        .size:           4
        .value_kind:     hidden_block_count_z
      - .offset:         76
        .size:           2
        .value_kind:     hidden_group_size_x
      - .offset:         78
        .size:           2
        .value_kind:     hidden_group_size_y
      - .offset:         80
        .size:           2
        .value_kind:     hidden_group_size_z
      - .offset:         82
        .size:           2
        .value_kind:     hidden_remainder_x
      - .offset:         84
        .size:           2
        .value_kind:     hidden_remainder_y
      - .offset:         86
        .size:           2
        .value_kind:     hidden_remainder_z
      - .offset:         104
        .size:           8
        .value_kind:     hidden_global_offset_x
      - .offset:         112
        .size:           8
        .value_kind:     hidden_global_offset_y
      - .offset:         120
        .size:           8
        .value_kind:     hidden_global_offset_z
      - .offset:         128
        .size:           2
        .value_kind:     hidden_grid_dims
    .group_segment_fixed_size: 0
    .kernarg_segment_align: 8
    .kernarg_segment_size: 320
    .language:       OpenCL C
    .language_version:
      - 2
      - 0
    .max_flat_workgroup_size: 32
    .name:           _ZN2at6native12_GLOBAL__N_135GammaBetaBackwardCUDAKernelTemplateIffLj32ELj1ELj32ELb1ELb1ELb0EEEvllPKT_S5_PKT0_S8_PS3_S9_
    .private_segment_fixed_size: 0
    .sgpr_count:     46
    .sgpr_spill_count: 0
    .symbol:         _ZN2at6native12_GLOBAL__N_135GammaBetaBackwardCUDAKernelTemplateIffLj32ELj1ELj32ELb1ELb1ELb0EEEvllPKT_S5_PKT0_S8_PS3_S9_.kd
    .uniform_work_group_size: 1
    .uses_dynamic_stack: false
    .vgpr_count:     71
    .vgpr_spill_count: 0
    .wavefront_size: 64
  - .agpr_count:     88
    .args:
      - .offset:         0
        .size:           8
        .value_kind:     by_value
      - .offset:         8
        .size:           8
        .value_kind:     by_value
      - .actual_access:  read_only
        .address_space:  global
        .offset:         16
        .size:           8
        .value_kind:     global_buffer
      - .actual_access:  read_only
        .address_space:  global
        .offset:         24
        .size:           8
        .value_kind:     global_buffer
      - .actual_access:  read_only
        .address_space:  global
        .offset:         32
        .size:           8
        .value_kind:     global_buffer
      - .actual_access:  read_only
        .address_space:  global
        .offset:         40
        .size:           8
        .value_kind:     global_buffer
      - .actual_access:  write_only
        .address_space:  global
        .offset:         48
        .size:           8
        .value_kind:     global_buffer
      - .actual_access:  write_only
        .address_space:  global
        .offset:         56
        .size:           8
        .value_kind:     global_buffer
      - .offset:         64
        .size:           4
        .value_kind:     hidden_block_count_x
      - .offset:         68
        .size:           4
        .value_kind:     hidden_block_count_y
      - .offset:         72
        .size:           4
        .value_kind:     hidden_block_count_z
      - .offset:         76
        .size:           2
        .value_kind:     hidden_group_size_x
      - .offset:         78
        .size:           2
        .value_kind:     hidden_group_size_y
      - .offset:         80
        .size:           2
        .value_kind:     hidden_group_size_z
      - .offset:         82
        .size:           2
        .value_kind:     hidden_remainder_x
      - .offset:         84
        .size:           2
        .value_kind:     hidden_remainder_y
      - .offset:         86
        .size:           2
        .value_kind:     hidden_remainder_z
      - .offset:         104
        .size:           8
        .value_kind:     hidden_global_offset_x
      - .offset:         112
        .size:           8
        .value_kind:     hidden_global_offset_y
      - .offset:         120
        .size:           8
        .value_kind:     hidden_global_offset_z
      - .offset:         128
        .size:           2
        .value_kind:     hidden_grid_dims
    .group_segment_fixed_size: 0
    .kernarg_segment_align: 8
    .kernarg_segment_size: 320
    .language:       OpenCL C
    .language_version:
      - 2
      - 0
    .max_flat_workgroup_size: 32
    .name:           _ZN2at6native12_GLOBAL__N_135GammaBetaBackwardCUDAKernelTemplateIffLj32ELj1ELj32ELb1ELb0ELb0EEEvllPKT_S5_PKT0_S8_PS3_S9_
    .private_segment_fixed_size: 0
    .sgpr_count:     46
    .sgpr_spill_count: 0
    .symbol:         _ZN2at6native12_GLOBAL__N_135GammaBetaBackwardCUDAKernelTemplateIffLj32ELj1ELj32ELb1ELb0ELb0EEEvllPKT_S5_PKT0_S8_PS3_S9_.kd
    .uniform_work_group_size: 1
    .uses_dynamic_stack: false
    .vgpr_count:     344
    .vgpr_spill_count: 0
    .wavefront_size: 64
  - .agpr_count:     0
    .args:
      - .offset:         0
        .size:           8
        .value_kind:     by_value
      - .offset:         8
        .size:           8
        .value_kind:     by_value
      - .actual_access:  read_only
        .address_space:  global
        .offset:         16
        .size:           8
        .value_kind:     global_buffer
      - .actual_access:  read_only
        .address_space:  global
        .offset:         24
        .size:           8
        .value_kind:     global_buffer
      - .actual_access:  read_only
        .address_space:  global
        .offset:         32
        .size:           8
        .value_kind:     global_buffer
      - .actual_access:  read_only
        .address_space:  global
        .offset:         40
        .size:           8
        .value_kind:     global_buffer
      - .actual_access:  write_only
        .address_space:  global
        .offset:         48
        .size:           8
        .value_kind:     global_buffer
      - .actual_access:  write_only
        .address_space:  global
        .offset:         56
        .size:           8
        .value_kind:     global_buffer
      - .offset:         64
        .size:           4
        .value_kind:     hidden_block_count_x
      - .offset:         68
        .size:           4
        .value_kind:     hidden_block_count_y
      - .offset:         72
        .size:           4
        .value_kind:     hidden_block_count_z
      - .offset:         76
        .size:           2
        .value_kind:     hidden_group_size_x
      - .offset:         78
        .size:           2
        .value_kind:     hidden_group_size_y
      - .offset:         80
        .size:           2
        .value_kind:     hidden_group_size_z
      - .offset:         82
        .size:           2
        .value_kind:     hidden_remainder_x
      - .offset:         84
        .size:           2
        .value_kind:     hidden_remainder_y
      - .offset:         86
        .size:           2
        .value_kind:     hidden_remainder_z
      - .offset:         104
        .size:           8
        .value_kind:     hidden_global_offset_x
      - .offset:         112
        .size:           8
        .value_kind:     hidden_global_offset_y
      - .offset:         120
        .size:           8
        .value_kind:     hidden_global_offset_z
      - .offset:         128
        .size:           2
        .value_kind:     hidden_grid_dims
    .group_segment_fixed_size: 0
    .kernarg_segment_align: 8
    .kernarg_segment_size: 320
    .language:       OpenCL C
    .language_version:
      - 2
      - 0
    .max_flat_workgroup_size: 32
    .name:           _ZN2at6native12_GLOBAL__N_135GammaBetaBackwardCUDAKernelTemplateIffLj32ELj1ELj8ELb1ELb1ELb0EEEvllPKT_S5_PKT0_S8_PS3_S9_
    .private_segment_fixed_size: 0
    .sgpr_count:     46
    .sgpr_spill_count: 0
    .symbol:         _ZN2at6native12_GLOBAL__N_135GammaBetaBackwardCUDAKernelTemplateIffLj32ELj1ELj8ELb1ELb1ELb0EEEvllPKT_S5_PKT0_S8_PS3_S9_.kd
    .uniform_work_group_size: 1
    .uses_dynamic_stack: false
    .vgpr_count:     52
    .vgpr_spill_count: 0
    .wavefront_size: 64
  - .agpr_count:     0
    .args:
      - .offset:         0
        .size:           8
        .value_kind:     by_value
      - .offset:         8
        .size:           8
        .value_kind:     by_value
      - .actual_access:  read_only
        .address_space:  global
        .offset:         16
        .size:           8
        .value_kind:     global_buffer
      - .actual_access:  read_only
        .address_space:  global
        .offset:         24
        .size:           8
        .value_kind:     global_buffer
      - .actual_access:  read_only
        .address_space:  global
        .offset:         32
        .size:           8
        .value_kind:     global_buffer
      - .actual_access:  read_only
        .address_space:  global
        .offset:         40
        .size:           8
        .value_kind:     global_buffer
      - .actual_access:  write_only
        .address_space:  global
        .offset:         48
        .size:           8
        .value_kind:     global_buffer
      - .actual_access:  write_only
        .address_space:  global
        .offset:         56
        .size:           8
        .value_kind:     global_buffer
      - .offset:         64
        .size:           4
        .value_kind:     hidden_block_count_x
      - .offset:         68
        .size:           4
        .value_kind:     hidden_block_count_y
      - .offset:         72
        .size:           4
        .value_kind:     hidden_block_count_z
      - .offset:         76
        .size:           2
        .value_kind:     hidden_group_size_x
      - .offset:         78
        .size:           2
        .value_kind:     hidden_group_size_y
      - .offset:         80
        .size:           2
        .value_kind:     hidden_group_size_z
      - .offset:         82
        .size:           2
        .value_kind:     hidden_remainder_x
      - .offset:         84
        .size:           2
        .value_kind:     hidden_remainder_y
      - .offset:         86
        .size:           2
        .value_kind:     hidden_remainder_z
      - .offset:         104
        .size:           8
        .value_kind:     hidden_global_offset_x
      - .offset:         112
        .size:           8
        .value_kind:     hidden_global_offset_y
      - .offset:         120
        .size:           8
        .value_kind:     hidden_global_offset_z
      - .offset:         128
        .size:           2
        .value_kind:     hidden_grid_dims
    .group_segment_fixed_size: 0
    .kernarg_segment_align: 8
    .kernarg_segment_size: 320
    .language:       OpenCL C
    .language_version:
      - 2
      - 0
    .max_flat_workgroup_size: 32
    .name:           _ZN2at6native12_GLOBAL__N_135GammaBetaBackwardCUDAKernelTemplateIffLj32ELj1ELj8ELb1ELb0ELb0EEEvllPKT_S5_PKT0_S8_PS3_S9_
    .private_segment_fixed_size: 0
    .sgpr_count:     46
    .sgpr_spill_count: 0
    .symbol:         _ZN2at6native12_GLOBAL__N_135GammaBetaBackwardCUDAKernelTemplateIffLj32ELj1ELj8ELb1ELb0ELb0EEEvllPKT_S5_PKT0_S8_PS3_S9_.kd
    .uniform_work_group_size: 1
    .uses_dynamic_stack: false
    .vgpr_count:     103
    .vgpr_spill_count: 0
    .wavefront_size: 64
  - .agpr_count:     0
    .args:
      - .offset:         0
        .size:           8
        .value_kind:     by_value
      - .offset:         8
        .size:           8
        .value_kind:     by_value
      - .actual_access:  read_only
        .address_space:  global
        .offset:         16
        .size:           8
        .value_kind:     global_buffer
      - .actual_access:  read_only
        .address_space:  global
        .offset:         24
        .size:           8
        .value_kind:     global_buffer
      - .actual_access:  read_only
        .address_space:  global
        .offset:         32
        .size:           8
        .value_kind:     global_buffer
      - .actual_access:  read_only
        .address_space:  global
        .offset:         40
        .size:           8
        .value_kind:     global_buffer
      - .actual_access:  write_only
        .address_space:  global
        .offset:         48
        .size:           8
        .value_kind:     global_buffer
      - .actual_access:  write_only
        .address_space:  global
        .offset:         56
        .size:           8
        .value_kind:     global_buffer
      - .offset:         64
        .size:           4
        .value_kind:     hidden_block_count_x
      - .offset:         68
        .size:           4
        .value_kind:     hidden_block_count_y
      - .offset:         72
        .size:           4
        .value_kind:     hidden_block_count_z
      - .offset:         76
        .size:           2
        .value_kind:     hidden_group_size_x
      - .offset:         78
        .size:           2
        .value_kind:     hidden_group_size_y
      - .offset:         80
        .size:           2
        .value_kind:     hidden_group_size_z
      - .offset:         82
        .size:           2
        .value_kind:     hidden_remainder_x
      - .offset:         84
        .size:           2
        .value_kind:     hidden_remainder_y
      - .offset:         86
        .size:           2
        .value_kind:     hidden_remainder_z
      - .offset:         104
        .size:           8
        .value_kind:     hidden_global_offset_x
      - .offset:         112
        .size:           8
        .value_kind:     hidden_global_offset_y
      - .offset:         120
        .size:           8
        .value_kind:     hidden_global_offset_z
      - .offset:         128
        .size:           2
        .value_kind:     hidden_grid_dims
      - .offset:         184
        .size:           4
        .value_kind:     hidden_dynamic_lds_size
    .group_segment_fixed_size: 0
    .kernarg_segment_align: 8
    .kernarg_segment_size: 320
    .language:       OpenCL C
    .language_version:
      - 2
      - 0
    .max_flat_workgroup_size: 256
    .name:           _ZN2at6native12_GLOBAL__N_135GammaBetaBackwardCUDAKernelTemplateIffLj32ELj8ELj64ELb0ELb1ELb0EEEvllPKT_S5_PKT0_S8_PS3_S9_
    .private_segment_fixed_size: 0
    .sgpr_count:     38
    .sgpr_spill_count: 0
    .symbol:         _ZN2at6native12_GLOBAL__N_135GammaBetaBackwardCUDAKernelTemplateIffLj32ELj8ELj64ELb0ELb1ELb0EEEvllPKT_S5_PKT0_S8_PS3_S9_.kd
    .uniform_work_group_size: 1
    .uses_dynamic_stack: false
    .vgpr_count:     54
    .vgpr_spill_count: 0
    .wavefront_size: 64
  - .agpr_count:     0
    .args:
      - .offset:         0
        .size:           8
        .value_kind:     by_value
      - .offset:         8
        .size:           8
        .value_kind:     by_value
      - .actual_access:  read_only
        .address_space:  global
        .offset:         16
        .size:           8
        .value_kind:     global_buffer
      - .actual_access:  read_only
        .address_space:  global
        .offset:         24
        .size:           8
        .value_kind:     global_buffer
      - .actual_access:  read_only
        .address_space:  global
        .offset:         32
        .size:           8
        .value_kind:     global_buffer
      - .actual_access:  read_only
        .address_space:  global
        .offset:         40
        .size:           8
        .value_kind:     global_buffer
      - .actual_access:  write_only
        .address_space:  global
        .offset:         48
        .size:           8
        .value_kind:     global_buffer
      - .actual_access:  write_only
        .address_space:  global
        .offset:         56
        .size:           8
        .value_kind:     global_buffer
      - .offset:         64
        .size:           4
        .value_kind:     hidden_block_count_x
      - .offset:         68
        .size:           4
        .value_kind:     hidden_block_count_y
      - .offset:         72
        .size:           4
        .value_kind:     hidden_block_count_z
      - .offset:         76
        .size:           2
        .value_kind:     hidden_group_size_x
      - .offset:         78
        .size:           2
        .value_kind:     hidden_group_size_y
      - .offset:         80
        .size:           2
        .value_kind:     hidden_group_size_z
      - .offset:         82
        .size:           2
        .value_kind:     hidden_remainder_x
      - .offset:         84
        .size:           2
        .value_kind:     hidden_remainder_y
      - .offset:         86
        .size:           2
        .value_kind:     hidden_remainder_z
      - .offset:         104
        .size:           8
        .value_kind:     hidden_global_offset_x
      - .offset:         112
        .size:           8
        .value_kind:     hidden_global_offset_y
      - .offset:         120
        .size:           8
        .value_kind:     hidden_global_offset_z
      - .offset:         128
        .size:           2
        .value_kind:     hidden_grid_dims
      - .offset:         184
        .size:           4
        .value_kind:     hidden_dynamic_lds_size
    .group_segment_fixed_size: 0
    .kernarg_segment_align: 8
    .kernarg_segment_size: 320
    .language:       OpenCL C
    .language_version:
      - 2
      - 0
    .max_flat_workgroup_size: 256
    .name:           _ZN2at6native12_GLOBAL__N_135GammaBetaBackwardCUDAKernelTemplateIffLj32ELj8ELj64ELb0ELb0ELb0EEEvllPKT_S5_PKT0_S8_PS3_S9_
    .private_segment_fixed_size: 0
    .sgpr_count:     58
    .sgpr_spill_count: 0
    .symbol:         _ZN2at6native12_GLOBAL__N_135GammaBetaBackwardCUDAKernelTemplateIffLj32ELj8ELj64ELb0ELb0ELb0EEEvllPKT_S5_PKT0_S8_PS3_S9_.kd
    .uniform_work_group_size: 1
    .uses_dynamic_stack: false
    .vgpr_count:     104
    .vgpr_spill_count: 0
    .wavefront_size: 64
  - .agpr_count:     0
    .args:
      - .offset:         0
        .size:           8
        .value_kind:     by_value
      - .offset:         8
        .size:           8
        .value_kind:     by_value
      - .actual_access:  read_only
        .address_space:  global
        .offset:         16
        .size:           8
        .value_kind:     global_buffer
      - .actual_access:  read_only
        .address_space:  global
        .offset:         24
        .size:           8
        .value_kind:     global_buffer
      - .actual_access:  read_only
        .address_space:  global
        .offset:         32
        .size:           8
        .value_kind:     global_buffer
      - .actual_access:  read_only
        .address_space:  global
        .offset:         40
        .size:           8
        .value_kind:     global_buffer
      - .actual_access:  write_only
        .address_space:  global
        .offset:         48
        .size:           8
        .value_kind:     global_buffer
      - .actual_access:  write_only
        .address_space:  global
        .offset:         56
        .size:           8
        .value_kind:     global_buffer
      - .offset:         64
        .size:           4
        .value_kind:     hidden_block_count_x
      - .offset:         68
        .size:           4
        .value_kind:     hidden_block_count_y
      - .offset:         72
        .size:           4
        .value_kind:     hidden_block_count_z
      - .offset:         76
        .size:           2
        .value_kind:     hidden_group_size_x
      - .offset:         78
        .size:           2
        .value_kind:     hidden_group_size_y
      - .offset:         80
        .size:           2
        .value_kind:     hidden_group_size_z
      - .offset:         82
        .size:           2
        .value_kind:     hidden_remainder_x
      - .offset:         84
        .size:           2
        .value_kind:     hidden_remainder_y
      - .offset:         86
        .size:           2
        .value_kind:     hidden_remainder_z
      - .offset:         104
        .size:           8
        .value_kind:     hidden_global_offset_x
      - .offset:         112
        .size:           8
        .value_kind:     hidden_global_offset_y
      - .offset:         120
        .size:           8
        .value_kind:     hidden_global_offset_z
      - .offset:         128
        .size:           2
        .value_kind:     hidden_grid_dims
      - .offset:         184
        .size:           4
        .value_kind:     hidden_dynamic_lds_size
    .group_segment_fixed_size: 0
    .kernarg_segment_align: 8
    .kernarg_segment_size: 320
    .language:       OpenCL C
    .language_version:
      - 2
      - 0
    .max_flat_workgroup_size: 512
    .name:           _ZN2at6native12_GLOBAL__N_135GammaBetaBackwardCUDAKernelTemplateIffLj32ELj16ELj128ELb0ELb1ELb0EEEvllPKT_S5_PKT0_S8_PS3_S9_
    .private_segment_fixed_size: 0
    .sgpr_count:     38
    .sgpr_spill_count: 0
    .symbol:         _ZN2at6native12_GLOBAL__N_135GammaBetaBackwardCUDAKernelTemplateIffLj32ELj16ELj128ELb0ELb1ELb0EEEvllPKT_S5_PKT0_S8_PS3_S9_.kd
    .uniform_work_group_size: 1
    .uses_dynamic_stack: false
    .vgpr_count:     54
    .vgpr_spill_count: 0
    .wavefront_size: 64
  - .agpr_count:     0
    .args:
      - .offset:         0
        .size:           8
        .value_kind:     by_value
      - .offset:         8
        .size:           8
        .value_kind:     by_value
      - .actual_access:  read_only
        .address_space:  global
        .offset:         16
        .size:           8
        .value_kind:     global_buffer
      - .actual_access:  read_only
        .address_space:  global
        .offset:         24
        .size:           8
        .value_kind:     global_buffer
      - .actual_access:  read_only
        .address_space:  global
        .offset:         32
        .size:           8
        .value_kind:     global_buffer
      - .actual_access:  read_only
        .address_space:  global
        .offset:         40
        .size:           8
        .value_kind:     global_buffer
      - .actual_access:  write_only
        .address_space:  global
        .offset:         48
        .size:           8
        .value_kind:     global_buffer
      - .actual_access:  write_only
        .address_space:  global
        .offset:         56
        .size:           8
        .value_kind:     global_buffer
      - .offset:         64
        .size:           4
        .value_kind:     hidden_block_count_x
      - .offset:         68
        .size:           4
        .value_kind:     hidden_block_count_y
      - .offset:         72
        .size:           4
        .value_kind:     hidden_block_count_z
      - .offset:         76
        .size:           2
        .value_kind:     hidden_group_size_x
      - .offset:         78
        .size:           2
        .value_kind:     hidden_group_size_y
      - .offset:         80
        .size:           2
        .value_kind:     hidden_group_size_z
      - .offset:         82
        .size:           2
        .value_kind:     hidden_remainder_x
      - .offset:         84
        .size:           2
        .value_kind:     hidden_remainder_y
      - .offset:         86
        .size:           2
        .value_kind:     hidden_remainder_z
      - .offset:         104
        .size:           8
        .value_kind:     hidden_global_offset_x
      - .offset:         112
        .size:           8
        .value_kind:     hidden_global_offset_y
      - .offset:         120
        .size:           8
        .value_kind:     hidden_global_offset_z
      - .offset:         128
        .size:           2
        .value_kind:     hidden_grid_dims
      - .offset:         184
        .size:           4
        .value_kind:     hidden_dynamic_lds_size
    .group_segment_fixed_size: 0
    .kernarg_segment_align: 8
    .kernarg_segment_size: 320
    .language:       OpenCL C
    .language_version:
      - 2
      - 0
    .max_flat_workgroup_size: 512
    .name:           _ZN2at6native12_GLOBAL__N_135GammaBetaBackwardCUDAKernelTemplateIffLj32ELj16ELj128ELb0ELb0ELb0EEEvllPKT_S5_PKT0_S8_PS3_S9_
    .private_segment_fixed_size: 0
    .sgpr_count:     58
    .sgpr_spill_count: 0
    .symbol:         _ZN2at6native12_GLOBAL__N_135GammaBetaBackwardCUDAKernelTemplateIffLj32ELj16ELj128ELb0ELb0ELb0EEEvllPKT_S5_PKT0_S8_PS3_S9_.kd
    .uniform_work_group_size: 1
    .uses_dynamic_stack: false
    .vgpr_count:     104
    .vgpr_spill_count: 0
    .wavefront_size: 64
  - .agpr_count:     0
    .args:
      - .offset:         0
        .size:           8
        .value_kind:     by_value
      - .offset:         8
        .size:           8
        .value_kind:     by_value
      - .actual_access:  read_only
        .address_space:  global
        .offset:         16
        .size:           8
        .value_kind:     global_buffer
      - .actual_access:  read_only
        .address_space:  global
        .offset:         24
        .size:           8
        .value_kind:     global_buffer
      - .actual_access:  read_only
        .address_space:  global
        .offset:         32
        .size:           8
        .value_kind:     global_buffer
      - .actual_access:  read_only
        .address_space:  global
        .offset:         40
        .size:           8
        .value_kind:     global_buffer
      - .actual_access:  write_only
        .address_space:  global
        .offset:         48
        .size:           8
        .value_kind:     global_buffer
      - .actual_access:  write_only
        .address_space:  global
        .offset:         56
        .size:           8
        .value_kind:     global_buffer
      - .offset:         64
        .size:           4
        .value_kind:     hidden_block_count_x
      - .offset:         68
        .size:           4
        .value_kind:     hidden_block_count_y
      - .offset:         72
        .size:           4
        .value_kind:     hidden_block_count_z
      - .offset:         76
        .size:           2
        .value_kind:     hidden_group_size_x
      - .offset:         78
        .size:           2
        .value_kind:     hidden_group_size_y
      - .offset:         80
        .size:           2
        .value_kind:     hidden_group_size_z
      - .offset:         82
        .size:           2
        .value_kind:     hidden_remainder_x
      - .offset:         84
        .size:           2
        .value_kind:     hidden_remainder_y
      - .offset:         86
        .size:           2
        .value_kind:     hidden_remainder_z
      - .offset:         104
        .size:           8
        .value_kind:     hidden_global_offset_x
      - .offset:         112
        .size:           8
        .value_kind:     hidden_global_offset_y
      - .offset:         120
        .size:           8
        .value_kind:     hidden_global_offset_z
      - .offset:         128
        .size:           2
        .value_kind:     hidden_grid_dims
      - .offset:         184
        .size:           4
        .value_kind:     hidden_dynamic_lds_size
    .group_segment_fixed_size: 0
    .kernarg_segment_align: 8
    .kernarg_segment_size: 320
    .language:       OpenCL C
    .language_version:
      - 2
      - 0
    .max_flat_workgroup_size: 1024
    .name:           _ZN2at6native12_GLOBAL__N_135GammaBetaBackwardCUDAKernelTemplateIffLj32ELj32ELj256ELb0ELb1ELb0EEEvllPKT_S5_PKT0_S8_PS3_S9_
    .private_segment_fixed_size: 0
    .sgpr_count:     38
    .sgpr_spill_count: 0
    .symbol:         _ZN2at6native12_GLOBAL__N_135GammaBetaBackwardCUDAKernelTemplateIffLj32ELj32ELj256ELb0ELb1ELb0EEEvllPKT_S5_PKT0_S8_PS3_S9_.kd
    .uniform_work_group_size: 1
    .uses_dynamic_stack: false
    .vgpr_count:     54
    .vgpr_spill_count: 0
    .wavefront_size: 64
  - .agpr_count:     0
    .args:
      - .offset:         0
        .size:           8
        .value_kind:     by_value
      - .offset:         8
        .size:           8
        .value_kind:     by_value
      - .actual_access:  read_only
        .address_space:  global
        .offset:         16
        .size:           8
        .value_kind:     global_buffer
      - .actual_access:  read_only
        .address_space:  global
        .offset:         24
        .size:           8
        .value_kind:     global_buffer
      - .actual_access:  read_only
        .address_space:  global
        .offset:         32
        .size:           8
        .value_kind:     global_buffer
      - .actual_access:  read_only
        .address_space:  global
        .offset:         40
        .size:           8
        .value_kind:     global_buffer
      - .actual_access:  write_only
        .address_space:  global
        .offset:         48
        .size:           8
        .value_kind:     global_buffer
      - .actual_access:  write_only
        .address_space:  global
        .offset:         56
        .size:           8
        .value_kind:     global_buffer
      - .offset:         64
        .size:           4
        .value_kind:     hidden_block_count_x
      - .offset:         68
        .size:           4
        .value_kind:     hidden_block_count_y
      - .offset:         72
        .size:           4
        .value_kind:     hidden_block_count_z
      - .offset:         76
        .size:           2
        .value_kind:     hidden_group_size_x
      - .offset:         78
        .size:           2
        .value_kind:     hidden_group_size_y
      - .offset:         80
        .size:           2
        .value_kind:     hidden_group_size_z
      - .offset:         82
        .size:           2
        .value_kind:     hidden_remainder_x
      - .offset:         84
        .size:           2
        .value_kind:     hidden_remainder_y
      - .offset:         86
        .size:           2
        .value_kind:     hidden_remainder_z
      - .offset:         104
        .size:           8
        .value_kind:     hidden_global_offset_x
      - .offset:         112
        .size:           8
        .value_kind:     hidden_global_offset_y
      - .offset:         120
        .size:           8
        .value_kind:     hidden_global_offset_z
      - .offset:         128
        .size:           2
        .value_kind:     hidden_grid_dims
      - .offset:         184
        .size:           4
        .value_kind:     hidden_dynamic_lds_size
    .group_segment_fixed_size: 0
    .kernarg_segment_align: 8
    .kernarg_segment_size: 320
    .language:       OpenCL C
    .language_version:
      - 2
      - 0
    .max_flat_workgroup_size: 1024
    .name:           _ZN2at6native12_GLOBAL__N_135GammaBetaBackwardCUDAKernelTemplateIffLj32ELj32ELj256ELb0ELb0ELb0EEEvllPKT_S5_PKT0_S8_PS3_S9_
    .private_segment_fixed_size: 0
    .sgpr_count:     58
    .sgpr_spill_count: 0
    .symbol:         _ZN2at6native12_GLOBAL__N_135GammaBetaBackwardCUDAKernelTemplateIffLj32ELj32ELj256ELb0ELb0ELb0EEEvllPKT_S5_PKT0_S8_PS3_S9_.kd
    .uniform_work_group_size: 1
    .uses_dynamic_stack: false
    .vgpr_count:     104
    .vgpr_spill_count: 0
    .wavefront_size: 64
  - .agpr_count:     0
    .args:
      - .actual_access:  read_only
        .address_space:  global
        .offset:         0
        .size:           8
        .value_kind:     global_buffer
      - .actual_access:  read_only
        .address_space:  global
        .offset:         8
        .size:           8
        .value_kind:     global_buffer
      - .offset:         16
        .size:           8
        .value_kind:     by_value
      - .offset:         24
        .size:           8
        .value_kind:     by_value
      - .actual_access:  read_only
        .address_space:  global
        .offset:         32
        .size:           8
        .value_kind:     global_buffer
      - .actual_access:  read_only
        .address_space:  global
        .offset:         40
        .size:           8
        .value_kind:     global_buffer
      - .address_space:  global
        .offset:         48
        .size:           8
        .value_kind:     global_buffer
      - .address_space:  global
        .offset:         56
        .size:           8
        .value_kind:     global_buffer
      - .offset:         64
        .size:           4
        .value_kind:     hidden_block_count_x
      - .offset:         68
        .size:           4
        .value_kind:     hidden_block_count_y
      - .offset:         72
        .size:           4
        .value_kind:     hidden_block_count_z
      - .offset:         76
        .size:           2
        .value_kind:     hidden_group_size_x
      - .offset:         78
        .size:           2
        .value_kind:     hidden_group_size_y
      - .offset:         80
        .size:           2
        .value_kind:     hidden_group_size_z
      - .offset:         82
        .size:           2
        .value_kind:     hidden_remainder_x
      - .offset:         84
        .size:           2
        .value_kind:     hidden_remainder_y
      - .offset:         86
        .size:           2
        .value_kind:     hidden_remainder_z
      - .offset:         104
        .size:           8
        .value_kind:     hidden_global_offset_x
      - .offset:         112
        .size:           8
        .value_kind:     hidden_global_offset_y
      - .offset:         120
        .size:           8
        .value_kind:     hidden_global_offset_z
      - .offset:         128
        .size:           2
        .value_kind:     hidden_grid_dims
      - .offset:         184
        .size:           4
        .value_kind:     hidden_dynamic_lds_size
    .group_segment_fixed_size: 0
    .kernarg_segment_align: 8
    .kernarg_segment_size: 320
    .language:       OpenCL C
    .language_version:
      - 2
      - 0
    .max_flat_workgroup_size: 1024
    .name:           _ZN2at6native12_GLOBAL__N_118cuComputeGradInputIN3c104HalfEfLb0EEEvPKT_S7_llPKT0_SA_S7_PS5_
    .private_segment_fixed_size: 0
    .sgpr_count:     57
    .sgpr_spill_count: 0
    .symbol:         _ZN2at6native12_GLOBAL__N_118cuComputeGradInputIN3c104HalfEfLb0EEEvPKT_S7_llPKT0_SA_S7_PS5_.kd
    .uniform_work_group_size: 1
    .uses_dynamic_stack: false
    .vgpr_count:     26
    .vgpr_spill_count: 0
    .wavefront_size: 64
  - .agpr_count:     0
    .args:
      - .actual_access:  read_only
        .address_space:  global
        .offset:         0
        .size:           8
        .value_kind:     global_buffer
      - .actual_access:  read_only
        .address_space:  global
        .offset:         8
        .size:           8
        .value_kind:     global_buffer
      - .actual_access:  read_only
        .address_space:  global
        .offset:         16
        .size:           8
        .value_kind:     global_buffer
      - .actual_access:  read_only
        .address_space:  global
        .offset:         24
        .size:           8
        .value_kind:     global_buffer
      - .actual_access:  read_only
        .address_space:  global
        .offset:         32
        .size:           8
        .value_kind:     global_buffer
      - .address_space:  global
        .offset:         40
        .size:           8
        .value_kind:     global_buffer
      - .offset:         48
        .size:           4
        .value_kind:     by_value
      - .offset:         56
        .size:           4
        .value_kind:     hidden_block_count_x
      - .offset:         60
        .size:           4
        .value_kind:     hidden_block_count_y
      - .offset:         64
        .size:           4
        .value_kind:     hidden_block_count_z
      - .offset:         68
        .size:           2
        .value_kind:     hidden_group_size_x
      - .offset:         70
        .size:           2
        .value_kind:     hidden_group_size_y
      - .offset:         72
        .size:           2
        .value_kind:     hidden_group_size_z
      - .offset:         74
        .size:           2
        .value_kind:     hidden_remainder_x
      - .offset:         76
        .size:           2
        .value_kind:     hidden_remainder_y
      - .offset:         78
        .size:           2
        .value_kind:     hidden_remainder_z
      - .offset:         96
        .size:           8
        .value_kind:     hidden_global_offset_x
      - .offset:         104
        .size:           8
        .value_kind:     hidden_global_offset_y
      - .offset:         112
        .size:           8
        .value_kind:     hidden_global_offset_z
      - .offset:         120
        .size:           2
        .value_kind:     hidden_grid_dims
      - .offset:         176
        .size:           4
        .value_kind:     hidden_dynamic_lds_size
    .group_segment_fixed_size: 0
    .kernarg_segment_align: 8
    .kernarg_segment_size: 312
    .language:       OpenCL C
    .language_version:
      - 2
      - 0
    .max_flat_workgroup_size: 1024
    .name:           _ZN2at6native12_GLOBAL__N_128layer_norm_grad_input_kernelIN3c104HalfEfLb0EEEvPKT_S7_PKT0_SA_S7_PS5_i
    .private_segment_fixed_size: 0
    .sgpr_count:     34
    .sgpr_spill_count: 0
    .symbol:         _ZN2at6native12_GLOBAL__N_128layer_norm_grad_input_kernelIN3c104HalfEfLb0EEEvPKT_S7_PKT0_SA_S7_PS5_i.kd
    .uniform_work_group_size: 1
    .uses_dynamic_stack: false
    .vgpr_count:     23
    .vgpr_spill_count: 0
    .wavefront_size: 64
  - .agpr_count:     0
    .args:
      - .offset:         0
        .size:           8
        .value_kind:     by_value
      - .offset:         8
        .size:           8
        .value_kind:     by_value
      - .address_space:  global
        .offset:         16
        .size:           8
        .value_kind:     global_buffer
      - .address_space:  global
        .offset:         24
        .size:           8
        .value_kind:     global_buffer
      - .address_space:  global
        .offset:         32
        .size:           8
        .value_kind:     global_buffer
      - .address_space:  global
        .offset:         40
        .size:           8
        .value_kind:     global_buffer
      - .address_space:  global
        .offset:         48
        .size:           8
        .value_kind:     global_buffer
      - .address_space:  global
        .offset:         56
        .size:           8
        .value_kind:     global_buffer
      - .offset:         64
        .size:           4
        .value_kind:     hidden_block_count_x
      - .offset:         68
        .size:           4
        .value_kind:     hidden_block_count_y
      - .offset:         72
        .size:           4
        .value_kind:     hidden_block_count_z
      - .offset:         76
        .size:           2
        .value_kind:     hidden_group_size_x
      - .offset:         78
        .size:           2
        .value_kind:     hidden_group_size_y
      - .offset:         80
        .size:           2
        .value_kind:     hidden_group_size_z
      - .offset:         82
        .size:           2
        .value_kind:     hidden_remainder_x
      - .offset:         84
        .size:           2
        .value_kind:     hidden_remainder_y
      - .offset:         86
        .size:           2
        .value_kind:     hidden_remainder_z
      - .offset:         104
        .size:           8
        .value_kind:     hidden_global_offset_x
      - .offset:         112
        .size:           8
        .value_kind:     hidden_global_offset_y
      - .offset:         120
        .size:           8
        .value_kind:     hidden_global_offset_z
      - .offset:         128
        .size:           2
        .value_kind:     hidden_grid_dims
    .group_segment_fixed_size: 0
    .kernarg_segment_align: 8
    .kernarg_segment_size: 320
    .language:       OpenCL C
    .language_version:
      - 2
      - 0
    .max_flat_workgroup_size: 1024
    .name:           _ZN2at6native12_GLOBAL__N_133GammaBetaBackwardSimpleCUDAKernelIN3c104HalfEfLb0EEEvllPKT_S7_PKT0_SA_PS5_SB_
    .private_segment_fixed_size: 0
    .sgpr_count:     28
    .sgpr_spill_count: 0
    .symbol:         _ZN2at6native12_GLOBAL__N_133GammaBetaBackwardSimpleCUDAKernelIN3c104HalfEfLb0EEEvllPKT_S7_PKT0_SA_PS5_SB_.kd
    .uniform_work_group_size: 1
    .uses_dynamic_stack: false
    .vgpr_count:     11
    .vgpr_spill_count: 0
    .wavefront_size: 64
  - .agpr_count:     0
    .args:
      - .offset:         0
        .size:           8
        .value_kind:     by_value
      - .offset:         8
        .size:           8
        .value_kind:     by_value
      - .actual_access:  read_only
        .address_space:  global
        .offset:         16
        .size:           8
        .value_kind:     global_buffer
      - .actual_access:  read_only
        .address_space:  global
        .offset:         24
        .size:           8
        .value_kind:     global_buffer
      - .actual_access:  read_only
        .address_space:  global
        .offset:         32
        .size:           8
        .value_kind:     global_buffer
      - .actual_access:  read_only
        .address_space:  global
        .offset:         40
        .size:           8
        .value_kind:     global_buffer
      - .actual_access:  write_only
        .address_space:  global
        .offset:         48
        .size:           8
        .value_kind:     global_buffer
      - .actual_access:  write_only
        .address_space:  global
        .offset:         56
        .size:           8
        .value_kind:     global_buffer
      - .offset:         64
        .size:           4
        .value_kind:     hidden_block_count_x
      - .offset:         68
        .size:           4
        .value_kind:     hidden_block_count_y
      - .offset:         72
        .size:           4
        .value_kind:     hidden_block_count_z
      - .offset:         76
        .size:           2
        .value_kind:     hidden_group_size_x
      - .offset:         78
        .size:           2
        .value_kind:     hidden_group_size_y
      - .offset:         80
        .size:           2
        .value_kind:     hidden_group_size_z
      - .offset:         82
        .size:           2
        .value_kind:     hidden_remainder_x
      - .offset:         84
        .size:           2
        .value_kind:     hidden_remainder_y
      - .offset:         86
        .size:           2
        .value_kind:     hidden_remainder_z
      - .offset:         104
        .size:           8
        .value_kind:     hidden_global_offset_x
      - .offset:         112
        .size:           8
        .value_kind:     hidden_global_offset_y
      - .offset:         120
        .size:           8
        .value_kind:     hidden_global_offset_z
      - .offset:         128
        .size:           2
        .value_kind:     hidden_grid_dims
    .group_segment_fixed_size: 0
    .kernarg_segment_align: 8
    .kernarg_segment_size: 320
    .language:       OpenCL C
    .language_version:
      - 2
      - 0
    .max_flat_workgroup_size: 64
    .name:           _ZN2at6native12_GLOBAL__N_135GammaBetaBackwardCUDAKernelTemplateIN3c104HalfEfLj64ELj1ELj32ELb1ELb1ELb0EEEvllPKT_S7_PKT0_SA_PS5_SB_
    .private_segment_fixed_size: 0
    .sgpr_count:     46
    .sgpr_spill_count: 0
    .symbol:         _ZN2at6native12_GLOBAL__N_135GammaBetaBackwardCUDAKernelTemplateIN3c104HalfEfLj64ELj1ELj32ELb1ELb1ELb0EEEvllPKT_S7_PKT0_SA_PS5_SB_.kd
    .uniform_work_group_size: 1
    .uses_dynamic_stack: false
    .vgpr_count:     71
    .vgpr_spill_count: 0
    .wavefront_size: 64
  - .agpr_count:     88
    .args:
      - .offset:         0
        .size:           8
        .value_kind:     by_value
      - .offset:         8
        .size:           8
        .value_kind:     by_value
      - .actual_access:  read_only
        .address_space:  global
        .offset:         16
        .size:           8
        .value_kind:     global_buffer
      - .actual_access:  read_only
        .address_space:  global
        .offset:         24
        .size:           8
        .value_kind:     global_buffer
      - .actual_access:  read_only
        .address_space:  global
        .offset:         32
        .size:           8
        .value_kind:     global_buffer
      - .actual_access:  read_only
        .address_space:  global
        .offset:         40
        .size:           8
        .value_kind:     global_buffer
      - .actual_access:  write_only
        .address_space:  global
        .offset:         48
        .size:           8
        .value_kind:     global_buffer
      - .actual_access:  write_only
        .address_space:  global
        .offset:         56
        .size:           8
        .value_kind:     global_buffer
      - .offset:         64
        .size:           4
        .value_kind:     hidden_block_count_x
      - .offset:         68
        .size:           4
        .value_kind:     hidden_block_count_y
      - .offset:         72
        .size:           4
        .value_kind:     hidden_block_count_z
      - .offset:         76
        .size:           2
        .value_kind:     hidden_group_size_x
      - .offset:         78
        .size:           2
        .value_kind:     hidden_group_size_y
      - .offset:         80
        .size:           2
        .value_kind:     hidden_group_size_z
      - .offset:         82
        .size:           2
        .value_kind:     hidden_remainder_x
      - .offset:         84
        .size:           2
        .value_kind:     hidden_remainder_y
      - .offset:         86
        .size:           2
        .value_kind:     hidden_remainder_z
      - .offset:         104
        .size:           8
        .value_kind:     hidden_global_offset_x
      - .offset:         112
        .size:           8
        .value_kind:     hidden_global_offset_y
      - .offset:         120
        .size:           8
        .value_kind:     hidden_global_offset_z
      - .offset:         128
        .size:           2
        .value_kind:     hidden_grid_dims
    .group_segment_fixed_size: 0
    .kernarg_segment_align: 8
    .kernarg_segment_size: 320
    .language:       OpenCL C
    .language_version:
      - 2
      - 0
    .max_flat_workgroup_size: 64
    .name:           _ZN2at6native12_GLOBAL__N_135GammaBetaBackwardCUDAKernelTemplateIN3c104HalfEfLj64ELj1ELj32ELb1ELb0ELb0EEEvllPKT_S7_PKT0_SA_PS5_SB_
    .private_segment_fixed_size: 0
    .sgpr_count:     46
    .sgpr_spill_count: 0
    .symbol:         _ZN2at6native12_GLOBAL__N_135GammaBetaBackwardCUDAKernelTemplateIN3c104HalfEfLj64ELj1ELj32ELb1ELb0ELb0EEEvllPKT_S7_PKT0_SA_PS5_SB_.kd
    .uniform_work_group_size: 1
    .uses_dynamic_stack: false
    .vgpr_count:     344
    .vgpr_spill_count: 0
    .wavefront_size: 64
  - .agpr_count:     0
    .args:
      - .offset:         0
        .size:           8
        .value_kind:     by_value
      - .offset:         8
        .size:           8
        .value_kind:     by_value
      - .actual_access:  read_only
        .address_space:  global
        .offset:         16
        .size:           8
        .value_kind:     global_buffer
      - .actual_access:  read_only
        .address_space:  global
        .offset:         24
        .size:           8
        .value_kind:     global_buffer
      - .actual_access:  read_only
        .address_space:  global
        .offset:         32
        .size:           8
        .value_kind:     global_buffer
      - .actual_access:  read_only
        .address_space:  global
        .offset:         40
        .size:           8
        .value_kind:     global_buffer
      - .actual_access:  write_only
        .address_space:  global
        .offset:         48
        .size:           8
        .value_kind:     global_buffer
      - .actual_access:  write_only
        .address_space:  global
        .offset:         56
        .size:           8
        .value_kind:     global_buffer
      - .offset:         64
        .size:           4
        .value_kind:     hidden_block_count_x
      - .offset:         68
        .size:           4
        .value_kind:     hidden_block_count_y
      - .offset:         72
        .size:           4
        .value_kind:     hidden_block_count_z
      - .offset:         76
        .size:           2
        .value_kind:     hidden_group_size_x
      - .offset:         78
        .size:           2
        .value_kind:     hidden_group_size_y
      - .offset:         80
        .size:           2
        .value_kind:     hidden_group_size_z
      - .offset:         82
        .size:           2
        .value_kind:     hidden_remainder_x
      - .offset:         84
        .size:           2
        .value_kind:     hidden_remainder_y
      - .offset:         86
        .size:           2
        .value_kind:     hidden_remainder_z
      - .offset:         104
        .size:           8
        .value_kind:     hidden_global_offset_x
      - .offset:         112
        .size:           8
        .value_kind:     hidden_global_offset_y
      - .offset:         120
        .size:           8
        .value_kind:     hidden_global_offset_z
      - .offset:         128
        .size:           2
        .value_kind:     hidden_grid_dims
    .group_segment_fixed_size: 0
    .kernarg_segment_align: 8
    .kernarg_segment_size: 320
    .language:       OpenCL C
    .language_version:
      - 2
      - 0
    .max_flat_workgroup_size: 64
    .name:           _ZN2at6native12_GLOBAL__N_135GammaBetaBackwardCUDAKernelTemplateIN3c104HalfEfLj64ELj1ELj8ELb1ELb1ELb0EEEvllPKT_S7_PKT0_SA_PS5_SB_
    .private_segment_fixed_size: 0
    .sgpr_count:     46
    .sgpr_spill_count: 0
    .symbol:         _ZN2at6native12_GLOBAL__N_135GammaBetaBackwardCUDAKernelTemplateIN3c104HalfEfLj64ELj1ELj8ELb1ELb1ELb0EEEvllPKT_S7_PKT0_SA_PS5_SB_.kd
    .uniform_work_group_size: 1
    .uses_dynamic_stack: false
    .vgpr_count:     56
    .vgpr_spill_count: 0
    .wavefront_size: 64
  - .agpr_count:     0
    .args:
      - .offset:         0
        .size:           8
        .value_kind:     by_value
      - .offset:         8
        .size:           8
        .value_kind:     by_value
      - .actual_access:  read_only
        .address_space:  global
        .offset:         16
        .size:           8
        .value_kind:     global_buffer
      - .actual_access:  read_only
        .address_space:  global
        .offset:         24
        .size:           8
        .value_kind:     global_buffer
      - .actual_access:  read_only
        .address_space:  global
        .offset:         32
        .size:           8
        .value_kind:     global_buffer
      - .actual_access:  read_only
        .address_space:  global
        .offset:         40
        .size:           8
        .value_kind:     global_buffer
      - .actual_access:  write_only
        .address_space:  global
        .offset:         48
        .size:           8
        .value_kind:     global_buffer
      - .actual_access:  write_only
        .address_space:  global
        .offset:         56
        .size:           8
        .value_kind:     global_buffer
      - .offset:         64
        .size:           4
        .value_kind:     hidden_block_count_x
      - .offset:         68
        .size:           4
        .value_kind:     hidden_block_count_y
      - .offset:         72
        .size:           4
        .value_kind:     hidden_block_count_z
      - .offset:         76
        .size:           2
        .value_kind:     hidden_group_size_x
      - .offset:         78
        .size:           2
        .value_kind:     hidden_group_size_y
      - .offset:         80
        .size:           2
        .value_kind:     hidden_group_size_z
      - .offset:         82
        .size:           2
        .value_kind:     hidden_remainder_x
      - .offset:         84
        .size:           2
        .value_kind:     hidden_remainder_y
      - .offset:         86
        .size:           2
        .value_kind:     hidden_remainder_z
      - .offset:         104
        .size:           8
        .value_kind:     hidden_global_offset_x
      - .offset:         112
        .size:           8
        .value_kind:     hidden_global_offset_y
      - .offset:         120
        .size:           8
        .value_kind:     hidden_global_offset_z
      - .offset:         128
        .size:           2
        .value_kind:     hidden_grid_dims
    .group_segment_fixed_size: 0
    .kernarg_segment_align: 8
    .kernarg_segment_size: 320
    .language:       OpenCL C
    .language_version:
      - 2
      - 0
    .max_flat_workgroup_size: 64
    .name:           _ZN2at6native12_GLOBAL__N_135GammaBetaBackwardCUDAKernelTemplateIN3c104HalfEfLj64ELj1ELj8ELb1ELb0ELb0EEEvllPKT_S7_PKT0_SA_PS5_SB_
    .private_segment_fixed_size: 0
    .sgpr_count:     46
    .sgpr_spill_count: 0
    .symbol:         _ZN2at6native12_GLOBAL__N_135GammaBetaBackwardCUDAKernelTemplateIN3c104HalfEfLj64ELj1ELj8ELb1ELb0ELb0EEEvllPKT_S7_PKT0_SA_PS5_SB_.kd
    .uniform_work_group_size: 1
    .uses_dynamic_stack: false
    .vgpr_count:     105
    .vgpr_spill_count: 0
    .wavefront_size: 64
  - .agpr_count:     0
    .args:
      - .offset:         0
        .size:           8
        .value_kind:     by_value
      - .offset:         8
        .size:           8
        .value_kind:     by_value
      - .actual_access:  read_only
        .address_space:  global
        .offset:         16
        .size:           8
        .value_kind:     global_buffer
      - .actual_access:  read_only
        .address_space:  global
        .offset:         24
        .size:           8
        .value_kind:     global_buffer
      - .actual_access:  read_only
        .address_space:  global
        .offset:         32
        .size:           8
        .value_kind:     global_buffer
      - .actual_access:  read_only
        .address_space:  global
        .offset:         40
        .size:           8
        .value_kind:     global_buffer
      - .actual_access:  write_only
        .address_space:  global
        .offset:         48
        .size:           8
        .value_kind:     global_buffer
      - .actual_access:  write_only
        .address_space:  global
        .offset:         56
        .size:           8
        .value_kind:     global_buffer
      - .offset:         64
        .size:           4
        .value_kind:     hidden_block_count_x
      - .offset:         68
        .size:           4
        .value_kind:     hidden_block_count_y
      - .offset:         72
        .size:           4
        .value_kind:     hidden_block_count_z
      - .offset:         76
        .size:           2
        .value_kind:     hidden_group_size_x
      - .offset:         78
        .size:           2
        .value_kind:     hidden_group_size_y
      - .offset:         80
        .size:           2
        .value_kind:     hidden_group_size_z
      - .offset:         82
        .size:           2
        .value_kind:     hidden_remainder_x
      - .offset:         84
        .size:           2
        .value_kind:     hidden_remainder_y
      - .offset:         86
        .size:           2
        .value_kind:     hidden_remainder_z
      - .offset:         104
        .size:           8
        .value_kind:     hidden_global_offset_x
      - .offset:         112
        .size:           8
        .value_kind:     hidden_global_offset_y
      - .offset:         120
        .size:           8
        .value_kind:     hidden_global_offset_z
      - .offset:         128
        .size:           2
        .value_kind:     hidden_grid_dims
      - .offset:         184
        .size:           4
        .value_kind:     hidden_dynamic_lds_size
    .group_segment_fixed_size: 0
    .kernarg_segment_align: 8
    .kernarg_segment_size: 320
    .language:       OpenCL C
    .language_version:
      - 2
      - 0
    .max_flat_workgroup_size: 512
    .name:           _ZN2at6native12_GLOBAL__N_135GammaBetaBackwardCUDAKernelTemplateIN3c104HalfEfLj64ELj8ELj64ELb0ELb1ELb0EEEvllPKT_S7_PKT0_SA_PS5_SB_
    .private_segment_fixed_size: 0
    .sgpr_count:     38
    .sgpr_spill_count: 0
    .symbol:         _ZN2at6native12_GLOBAL__N_135GammaBetaBackwardCUDAKernelTemplateIN3c104HalfEfLj64ELj8ELj64ELb0ELb1ELb0EEEvllPKT_S7_PKT0_SA_PS5_SB_.kd
    .uniform_work_group_size: 1
    .uses_dynamic_stack: false
    .vgpr_count:     56
    .vgpr_spill_count: 0
    .wavefront_size: 64
  - .agpr_count:     0
    .args:
      - .offset:         0
        .size:           8
        .value_kind:     by_value
      - .offset:         8
        .size:           8
        .value_kind:     by_value
      - .actual_access:  read_only
        .address_space:  global
        .offset:         16
        .size:           8
        .value_kind:     global_buffer
      - .actual_access:  read_only
        .address_space:  global
        .offset:         24
        .size:           8
        .value_kind:     global_buffer
      - .actual_access:  read_only
        .address_space:  global
        .offset:         32
        .size:           8
        .value_kind:     global_buffer
      - .actual_access:  read_only
        .address_space:  global
        .offset:         40
        .size:           8
        .value_kind:     global_buffer
      - .actual_access:  write_only
        .address_space:  global
        .offset:         48
        .size:           8
        .value_kind:     global_buffer
      - .actual_access:  write_only
        .address_space:  global
        .offset:         56
        .size:           8
        .value_kind:     global_buffer
      - .offset:         64
        .size:           4
        .value_kind:     hidden_block_count_x
      - .offset:         68
        .size:           4
        .value_kind:     hidden_block_count_y
      - .offset:         72
        .size:           4
        .value_kind:     hidden_block_count_z
      - .offset:         76
        .size:           2
        .value_kind:     hidden_group_size_x
      - .offset:         78
        .size:           2
        .value_kind:     hidden_group_size_y
      - .offset:         80
        .size:           2
        .value_kind:     hidden_group_size_z
      - .offset:         82
        .size:           2
        .value_kind:     hidden_remainder_x
      - .offset:         84
        .size:           2
        .value_kind:     hidden_remainder_y
      - .offset:         86
        .size:           2
        .value_kind:     hidden_remainder_z
      - .offset:         104
        .size:           8
        .value_kind:     hidden_global_offset_x
      - .offset:         112
        .size:           8
        .value_kind:     hidden_global_offset_y
      - .offset:         120
        .size:           8
        .value_kind:     hidden_global_offset_z
      - .offset:         128
        .size:           2
        .value_kind:     hidden_grid_dims
      - .offset:         184
        .size:           4
        .value_kind:     hidden_dynamic_lds_size
    .group_segment_fixed_size: 0
    .kernarg_segment_align: 8
    .kernarg_segment_size: 320
    .language:       OpenCL C
    .language_version:
      - 2
      - 0
    .max_flat_workgroup_size: 512
    .name:           _ZN2at6native12_GLOBAL__N_135GammaBetaBackwardCUDAKernelTemplateIN3c104HalfEfLj64ELj8ELj64ELb0ELb0ELb0EEEvllPKT_S7_PKT0_SA_PS5_SB_
    .private_segment_fixed_size: 0
    .sgpr_count:     58
    .sgpr_spill_count: 0
    .symbol:         _ZN2at6native12_GLOBAL__N_135GammaBetaBackwardCUDAKernelTemplateIN3c104HalfEfLj64ELj8ELj64ELb0ELb0ELb0EEEvllPKT_S7_PKT0_SA_PS5_SB_.kd
    .uniform_work_group_size: 1
    .uses_dynamic_stack: false
    .vgpr_count:     105
    .vgpr_spill_count: 0
    .wavefront_size: 64
  - .agpr_count:     0
    .args:
      - .offset:         0
        .size:           8
        .value_kind:     by_value
      - .offset:         8
        .size:           8
        .value_kind:     by_value
      - .actual_access:  read_only
        .address_space:  global
        .offset:         16
        .size:           8
        .value_kind:     global_buffer
      - .actual_access:  read_only
        .address_space:  global
        .offset:         24
        .size:           8
        .value_kind:     global_buffer
      - .actual_access:  read_only
        .address_space:  global
        .offset:         32
        .size:           8
        .value_kind:     global_buffer
      - .actual_access:  read_only
        .address_space:  global
        .offset:         40
        .size:           8
        .value_kind:     global_buffer
      - .actual_access:  write_only
        .address_space:  global
        .offset:         48
        .size:           8
        .value_kind:     global_buffer
      - .actual_access:  write_only
        .address_space:  global
        .offset:         56
        .size:           8
        .value_kind:     global_buffer
      - .offset:         64
        .size:           4
        .value_kind:     hidden_block_count_x
      - .offset:         68
        .size:           4
        .value_kind:     hidden_block_count_y
      - .offset:         72
        .size:           4
        .value_kind:     hidden_block_count_z
      - .offset:         76
        .size:           2
        .value_kind:     hidden_group_size_x
      - .offset:         78
        .size:           2
        .value_kind:     hidden_group_size_y
      - .offset:         80
        .size:           2
        .value_kind:     hidden_group_size_z
      - .offset:         82
        .size:           2
        .value_kind:     hidden_remainder_x
      - .offset:         84
        .size:           2
        .value_kind:     hidden_remainder_y
      - .offset:         86
        .size:           2
        .value_kind:     hidden_remainder_z
      - .offset:         104
        .size:           8
        .value_kind:     hidden_global_offset_x
      - .offset:         112
        .size:           8
        .value_kind:     hidden_global_offset_y
      - .offset:         120
        .size:           8
        .value_kind:     hidden_global_offset_z
      - .offset:         128
        .size:           2
        .value_kind:     hidden_grid_dims
      - .offset:         184
        .size:           4
        .value_kind:     hidden_dynamic_lds_size
    .group_segment_fixed_size: 0
    .kernarg_segment_align: 8
    .kernarg_segment_size: 320
    .language:       OpenCL C
    .language_version:
      - 2
      - 0
    .max_flat_workgroup_size: 1024
    .name:           _ZN2at6native12_GLOBAL__N_135GammaBetaBackwardCUDAKernelTemplateIN3c104HalfEfLj64ELj16ELj128ELb0ELb1ELb0EEEvllPKT_S7_PKT0_SA_PS5_SB_
    .private_segment_fixed_size: 0
    .sgpr_count:     38
    .sgpr_spill_count: 0
    .symbol:         _ZN2at6native12_GLOBAL__N_135GammaBetaBackwardCUDAKernelTemplateIN3c104HalfEfLj64ELj16ELj128ELb0ELb1ELb0EEEvllPKT_S7_PKT0_SA_PS5_SB_.kd
    .uniform_work_group_size: 1
    .uses_dynamic_stack: false
    .vgpr_count:     56
    .vgpr_spill_count: 0
    .wavefront_size: 64
  - .agpr_count:     0
    .args:
      - .offset:         0
        .size:           8
        .value_kind:     by_value
      - .offset:         8
        .size:           8
        .value_kind:     by_value
      - .actual_access:  read_only
        .address_space:  global
        .offset:         16
        .size:           8
        .value_kind:     global_buffer
      - .actual_access:  read_only
        .address_space:  global
        .offset:         24
        .size:           8
        .value_kind:     global_buffer
      - .actual_access:  read_only
        .address_space:  global
        .offset:         32
        .size:           8
        .value_kind:     global_buffer
      - .actual_access:  read_only
        .address_space:  global
        .offset:         40
        .size:           8
        .value_kind:     global_buffer
      - .actual_access:  write_only
        .address_space:  global
        .offset:         48
        .size:           8
        .value_kind:     global_buffer
      - .actual_access:  write_only
        .address_space:  global
        .offset:         56
        .size:           8
        .value_kind:     global_buffer
      - .offset:         64
        .size:           4
        .value_kind:     hidden_block_count_x
      - .offset:         68
        .size:           4
        .value_kind:     hidden_block_count_y
      - .offset:         72
        .size:           4
        .value_kind:     hidden_block_count_z
      - .offset:         76
        .size:           2
        .value_kind:     hidden_group_size_x
      - .offset:         78
        .size:           2
        .value_kind:     hidden_group_size_y
      - .offset:         80
        .size:           2
        .value_kind:     hidden_group_size_z
      - .offset:         82
        .size:           2
        .value_kind:     hidden_remainder_x
      - .offset:         84
        .size:           2
        .value_kind:     hidden_remainder_y
      - .offset:         86
        .size:           2
        .value_kind:     hidden_remainder_z
      - .offset:         104
        .size:           8
        .value_kind:     hidden_global_offset_x
      - .offset:         112
        .size:           8
        .value_kind:     hidden_global_offset_y
      - .offset:         120
        .size:           8
        .value_kind:     hidden_global_offset_z
      - .offset:         128
        .size:           2
        .value_kind:     hidden_grid_dims
      - .offset:         184
        .size:           4
        .value_kind:     hidden_dynamic_lds_size
    .group_segment_fixed_size: 0
    .kernarg_segment_align: 8
    .kernarg_segment_size: 320
    .language:       OpenCL C
    .language_version:
      - 2
      - 0
    .max_flat_workgroup_size: 1024
    .name:           _ZN2at6native12_GLOBAL__N_135GammaBetaBackwardCUDAKernelTemplateIN3c104HalfEfLj64ELj16ELj128ELb0ELb0ELb0EEEvllPKT_S7_PKT0_SA_PS5_SB_
    .private_segment_fixed_size: 0
    .sgpr_count:     58
    .sgpr_spill_count: 0
    .symbol:         _ZN2at6native12_GLOBAL__N_135GammaBetaBackwardCUDAKernelTemplateIN3c104HalfEfLj64ELj16ELj128ELb0ELb0ELb0EEEvllPKT_S7_PKT0_SA_PS5_SB_.kd
    .uniform_work_group_size: 1
    .uses_dynamic_stack: false
    .vgpr_count:     105
    .vgpr_spill_count: 0
    .wavefront_size: 64
  - .agpr_count:     0
    .args:
      - .offset:         0
        .size:           8
        .value_kind:     by_value
      - .offset:         8
        .size:           8
        .value_kind:     by_value
      - .actual_access:  read_only
        .address_space:  global
        .offset:         16
        .size:           8
        .value_kind:     global_buffer
      - .actual_access:  read_only
        .address_space:  global
        .offset:         24
        .size:           8
        .value_kind:     global_buffer
      - .actual_access:  read_only
        .address_space:  global
        .offset:         32
        .size:           8
        .value_kind:     global_buffer
      - .actual_access:  read_only
        .address_space:  global
        .offset:         40
        .size:           8
        .value_kind:     global_buffer
      - .actual_access:  write_only
        .address_space:  global
        .offset:         48
        .size:           8
        .value_kind:     global_buffer
      - .actual_access:  write_only
        .address_space:  global
        .offset:         56
        .size:           8
        .value_kind:     global_buffer
      - .offset:         64
        .size:           4
        .value_kind:     hidden_block_count_x
      - .offset:         68
        .size:           4
        .value_kind:     hidden_block_count_y
      - .offset:         72
        .size:           4
        .value_kind:     hidden_block_count_z
      - .offset:         76
        .size:           2
        .value_kind:     hidden_group_size_x
      - .offset:         78
        .size:           2
        .value_kind:     hidden_group_size_y
      - .offset:         80
        .size:           2
        .value_kind:     hidden_group_size_z
      - .offset:         82
        .size:           2
        .value_kind:     hidden_remainder_x
      - .offset:         84
        .size:           2
        .value_kind:     hidden_remainder_y
      - .offset:         86
        .size:           2
        .value_kind:     hidden_remainder_z
      - .offset:         104
        .size:           8
        .value_kind:     hidden_global_offset_x
      - .offset:         112
        .size:           8
        .value_kind:     hidden_global_offset_y
      - .offset:         120
        .size:           8
        .value_kind:     hidden_global_offset_z
      - .offset:         128
        .size:           2
        .value_kind:     hidden_grid_dims
      - .offset:         184
        .size:           4
        .value_kind:     hidden_dynamic_lds_size
    .group_segment_fixed_size: 0
    .kernarg_segment_align: 8
    .kernarg_segment_size: 320
    .language:       OpenCL C
    .language_version:
      - 2
      - 0
    .max_flat_workgroup_size: 1024
    .name:           _ZN2at6native12_GLOBAL__N_135GammaBetaBackwardCUDAKernelTemplateIN3c104HalfEfLj64ELj16ELj256ELb0ELb1ELb0EEEvllPKT_S7_PKT0_SA_PS5_SB_
    .private_segment_fixed_size: 0
    .sgpr_count:     38
    .sgpr_spill_count: 0
    .symbol:         _ZN2at6native12_GLOBAL__N_135GammaBetaBackwardCUDAKernelTemplateIN3c104HalfEfLj64ELj16ELj256ELb0ELb1ELb0EEEvllPKT_S7_PKT0_SA_PS5_SB_.kd
    .uniform_work_group_size: 1
    .uses_dynamic_stack: false
    .vgpr_count:     62
    .vgpr_spill_count: 0
    .wavefront_size: 64
  - .agpr_count:     0
    .args:
      - .offset:         0
        .size:           8
        .value_kind:     by_value
      - .offset:         8
        .size:           8
        .value_kind:     by_value
      - .actual_access:  read_only
        .address_space:  global
        .offset:         16
        .size:           8
        .value_kind:     global_buffer
      - .actual_access:  read_only
        .address_space:  global
        .offset:         24
        .size:           8
        .value_kind:     global_buffer
      - .actual_access:  read_only
        .address_space:  global
        .offset:         32
        .size:           8
        .value_kind:     global_buffer
      - .actual_access:  read_only
        .address_space:  global
        .offset:         40
        .size:           8
        .value_kind:     global_buffer
      - .actual_access:  write_only
        .address_space:  global
        .offset:         48
        .size:           8
        .value_kind:     global_buffer
      - .actual_access:  write_only
        .address_space:  global
        .offset:         56
        .size:           8
        .value_kind:     global_buffer
      - .offset:         64
        .size:           4
        .value_kind:     hidden_block_count_x
      - .offset:         68
        .size:           4
        .value_kind:     hidden_block_count_y
      - .offset:         72
        .size:           4
        .value_kind:     hidden_block_count_z
      - .offset:         76
        .size:           2
        .value_kind:     hidden_group_size_x
      - .offset:         78
        .size:           2
        .value_kind:     hidden_group_size_y
      - .offset:         80
        .size:           2
        .value_kind:     hidden_group_size_z
      - .offset:         82
        .size:           2
        .value_kind:     hidden_remainder_x
      - .offset:         84
        .size:           2
        .value_kind:     hidden_remainder_y
      - .offset:         86
        .size:           2
        .value_kind:     hidden_remainder_z
      - .offset:         104
        .size:           8
        .value_kind:     hidden_global_offset_x
      - .offset:         112
        .size:           8
        .value_kind:     hidden_global_offset_y
      - .offset:         120
        .size:           8
        .value_kind:     hidden_global_offset_z
      - .offset:         128
        .size:           2
        .value_kind:     hidden_grid_dims
      - .offset:         184
        .size:           4
        .value_kind:     hidden_dynamic_lds_size
    .group_segment_fixed_size: 0
    .kernarg_segment_align: 8
    .kernarg_segment_size: 320
    .language:       OpenCL C
    .language_version:
      - 2
      - 0
    .max_flat_workgroup_size: 1024
    .name:           _ZN2at6native12_GLOBAL__N_135GammaBetaBackwardCUDAKernelTemplateIN3c104HalfEfLj64ELj16ELj256ELb0ELb0ELb0EEEvllPKT_S7_PKT0_SA_PS5_SB_
    .private_segment_fixed_size: 196
    .sgpr_count:     74
    .sgpr_spill_count: 0
    .symbol:         _ZN2at6native12_GLOBAL__N_135GammaBetaBackwardCUDAKernelTemplateIN3c104HalfEfLj64ELj16ELj256ELb0ELb0ELb0EEEvllPKT_S7_PKT0_SA_PS5_SB_.kd
    .uniform_work_group_size: 1
    .uses_dynamic_stack: false
    .vgpr_count:     128
    .vgpr_spill_count: 94
    .wavefront_size: 64
  - .agpr_count:     0
    .args:
      - .offset:         0
        .size:           8
        .value_kind:     by_value
      - .offset:         8
        .size:           8
        .value_kind:     by_value
      - .actual_access:  read_only
        .address_space:  global
        .offset:         16
        .size:           8
        .value_kind:     global_buffer
      - .actual_access:  read_only
        .address_space:  global
        .offset:         24
        .size:           8
        .value_kind:     global_buffer
      - .actual_access:  read_only
        .address_space:  global
        .offset:         32
        .size:           8
        .value_kind:     global_buffer
      - .actual_access:  read_only
        .address_space:  global
        .offset:         40
        .size:           8
        .value_kind:     global_buffer
      - .actual_access:  write_only
        .address_space:  global
        .offset:         48
        .size:           8
        .value_kind:     global_buffer
      - .actual_access:  write_only
        .address_space:  global
        .offset:         56
        .size:           8
        .value_kind:     global_buffer
      - .offset:         64
        .size:           4
        .value_kind:     hidden_block_count_x
      - .offset:         68
        .size:           4
        .value_kind:     hidden_block_count_y
      - .offset:         72
        .size:           4
        .value_kind:     hidden_block_count_z
      - .offset:         76
        .size:           2
        .value_kind:     hidden_group_size_x
      - .offset:         78
        .size:           2
        .value_kind:     hidden_group_size_y
      - .offset:         80
        .size:           2
        .value_kind:     hidden_group_size_z
      - .offset:         82
        .size:           2
        .value_kind:     hidden_remainder_x
      - .offset:         84
        .size:           2
        .value_kind:     hidden_remainder_y
      - .offset:         86
        .size:           2
        .value_kind:     hidden_remainder_z
      - .offset:         104
        .size:           8
        .value_kind:     hidden_global_offset_x
      - .offset:         112
        .size:           8
        .value_kind:     hidden_global_offset_y
      - .offset:         120
        .size:           8
        .value_kind:     hidden_global_offset_z
      - .offset:         128
        .size:           2
        .value_kind:     hidden_grid_dims
    .group_segment_fixed_size: 0
    .kernarg_segment_align: 8
    .kernarg_segment_size: 320
    .language:       OpenCL C
    .language_version:
      - 2
      - 0
    .max_flat_workgroup_size: 32
    .name:           _ZN2at6native12_GLOBAL__N_135GammaBetaBackwardCUDAKernelTemplateIN3c104HalfEfLj32ELj1ELj32ELb1ELb1ELb0EEEvllPKT_S7_PKT0_SA_PS5_SB_
    .private_segment_fixed_size: 0
    .sgpr_count:     46
    .sgpr_spill_count: 0
    .symbol:         _ZN2at6native12_GLOBAL__N_135GammaBetaBackwardCUDAKernelTemplateIN3c104HalfEfLj32ELj1ELj32ELb1ELb1ELb0EEEvllPKT_S7_PKT0_SA_PS5_SB_.kd
    .uniform_work_group_size: 1
    .uses_dynamic_stack: false
    .vgpr_count:     71
    .vgpr_spill_count: 0
    .wavefront_size: 64
  - .agpr_count:     88
    .args:
      - .offset:         0
        .size:           8
        .value_kind:     by_value
      - .offset:         8
        .size:           8
        .value_kind:     by_value
      - .actual_access:  read_only
        .address_space:  global
        .offset:         16
        .size:           8
        .value_kind:     global_buffer
      - .actual_access:  read_only
        .address_space:  global
        .offset:         24
        .size:           8
        .value_kind:     global_buffer
      - .actual_access:  read_only
        .address_space:  global
        .offset:         32
        .size:           8
        .value_kind:     global_buffer
      - .actual_access:  read_only
        .address_space:  global
        .offset:         40
        .size:           8
        .value_kind:     global_buffer
      - .actual_access:  write_only
        .address_space:  global
        .offset:         48
        .size:           8
        .value_kind:     global_buffer
      - .actual_access:  write_only
        .address_space:  global
        .offset:         56
        .size:           8
        .value_kind:     global_buffer
      - .offset:         64
        .size:           4
        .value_kind:     hidden_block_count_x
      - .offset:         68
        .size:           4
        .value_kind:     hidden_block_count_y
      - .offset:         72
        .size:           4
        .value_kind:     hidden_block_count_z
      - .offset:         76
        .size:           2
        .value_kind:     hidden_group_size_x
      - .offset:         78
        .size:           2
        .value_kind:     hidden_group_size_y
      - .offset:         80
        .size:           2
        .value_kind:     hidden_group_size_z
      - .offset:         82
        .size:           2
        .value_kind:     hidden_remainder_x
      - .offset:         84
        .size:           2
        .value_kind:     hidden_remainder_y
      - .offset:         86
        .size:           2
        .value_kind:     hidden_remainder_z
      - .offset:         104
        .size:           8
        .value_kind:     hidden_global_offset_x
      - .offset:         112
        .size:           8
        .value_kind:     hidden_global_offset_y
      - .offset:         120
        .size:           8
        .value_kind:     hidden_global_offset_z
      - .offset:         128
        .size:           2
        .value_kind:     hidden_grid_dims
    .group_segment_fixed_size: 0
    .kernarg_segment_align: 8
    .kernarg_segment_size: 320
    .language:       OpenCL C
    .language_version:
      - 2
      - 0
    .max_flat_workgroup_size: 32
    .name:           _ZN2at6native12_GLOBAL__N_135GammaBetaBackwardCUDAKernelTemplateIN3c104HalfEfLj32ELj1ELj32ELb1ELb0ELb0EEEvllPKT_S7_PKT0_SA_PS5_SB_
    .private_segment_fixed_size: 0
    .sgpr_count:     46
    .sgpr_spill_count: 0
    .symbol:         _ZN2at6native12_GLOBAL__N_135GammaBetaBackwardCUDAKernelTemplateIN3c104HalfEfLj32ELj1ELj32ELb1ELb0ELb0EEEvllPKT_S7_PKT0_SA_PS5_SB_.kd
    .uniform_work_group_size: 1
    .uses_dynamic_stack: false
    .vgpr_count:     344
    .vgpr_spill_count: 0
    .wavefront_size: 64
  - .agpr_count:     0
    .args:
      - .offset:         0
        .size:           8
        .value_kind:     by_value
      - .offset:         8
        .size:           8
        .value_kind:     by_value
      - .actual_access:  read_only
        .address_space:  global
        .offset:         16
        .size:           8
        .value_kind:     global_buffer
      - .actual_access:  read_only
        .address_space:  global
        .offset:         24
        .size:           8
        .value_kind:     global_buffer
      - .actual_access:  read_only
        .address_space:  global
        .offset:         32
        .size:           8
        .value_kind:     global_buffer
      - .actual_access:  read_only
        .address_space:  global
        .offset:         40
        .size:           8
        .value_kind:     global_buffer
      - .actual_access:  write_only
        .address_space:  global
        .offset:         48
        .size:           8
        .value_kind:     global_buffer
      - .actual_access:  write_only
        .address_space:  global
        .offset:         56
        .size:           8
        .value_kind:     global_buffer
      - .offset:         64
        .size:           4
        .value_kind:     hidden_block_count_x
      - .offset:         68
        .size:           4
        .value_kind:     hidden_block_count_y
      - .offset:         72
        .size:           4
        .value_kind:     hidden_block_count_z
      - .offset:         76
        .size:           2
        .value_kind:     hidden_group_size_x
      - .offset:         78
        .size:           2
        .value_kind:     hidden_group_size_y
      - .offset:         80
        .size:           2
        .value_kind:     hidden_group_size_z
      - .offset:         82
        .size:           2
        .value_kind:     hidden_remainder_x
      - .offset:         84
        .size:           2
        .value_kind:     hidden_remainder_y
      - .offset:         86
        .size:           2
        .value_kind:     hidden_remainder_z
      - .offset:         104
        .size:           8
        .value_kind:     hidden_global_offset_x
      - .offset:         112
        .size:           8
        .value_kind:     hidden_global_offset_y
      - .offset:         120
        .size:           8
        .value_kind:     hidden_global_offset_z
      - .offset:         128
        .size:           2
        .value_kind:     hidden_grid_dims
    .group_segment_fixed_size: 0
    .kernarg_segment_align: 8
    .kernarg_segment_size: 320
    .language:       OpenCL C
    .language_version:
      - 2
      - 0
    .max_flat_workgroup_size: 32
    .name:           _ZN2at6native12_GLOBAL__N_135GammaBetaBackwardCUDAKernelTemplateIN3c104HalfEfLj32ELj1ELj8ELb1ELb1ELb0EEEvllPKT_S7_PKT0_SA_PS5_SB_
    .private_segment_fixed_size: 0
    .sgpr_count:     46
    .sgpr_spill_count: 0
    .symbol:         _ZN2at6native12_GLOBAL__N_135GammaBetaBackwardCUDAKernelTemplateIN3c104HalfEfLj32ELj1ELj8ELb1ELb1ELb0EEEvllPKT_S7_PKT0_SA_PS5_SB_.kd
    .uniform_work_group_size: 1
    .uses_dynamic_stack: false
    .vgpr_count:     56
    .vgpr_spill_count: 0
    .wavefront_size: 64
  - .agpr_count:     0
    .args:
      - .offset:         0
        .size:           8
        .value_kind:     by_value
      - .offset:         8
        .size:           8
        .value_kind:     by_value
      - .actual_access:  read_only
        .address_space:  global
        .offset:         16
        .size:           8
        .value_kind:     global_buffer
      - .actual_access:  read_only
        .address_space:  global
        .offset:         24
        .size:           8
        .value_kind:     global_buffer
      - .actual_access:  read_only
        .address_space:  global
        .offset:         32
        .size:           8
        .value_kind:     global_buffer
      - .actual_access:  read_only
        .address_space:  global
        .offset:         40
        .size:           8
        .value_kind:     global_buffer
      - .actual_access:  write_only
        .address_space:  global
        .offset:         48
        .size:           8
        .value_kind:     global_buffer
      - .actual_access:  write_only
        .address_space:  global
        .offset:         56
        .size:           8
        .value_kind:     global_buffer
      - .offset:         64
        .size:           4
        .value_kind:     hidden_block_count_x
      - .offset:         68
        .size:           4
        .value_kind:     hidden_block_count_y
      - .offset:         72
        .size:           4
        .value_kind:     hidden_block_count_z
      - .offset:         76
        .size:           2
        .value_kind:     hidden_group_size_x
      - .offset:         78
        .size:           2
        .value_kind:     hidden_group_size_y
      - .offset:         80
        .size:           2
        .value_kind:     hidden_group_size_z
      - .offset:         82
        .size:           2
        .value_kind:     hidden_remainder_x
      - .offset:         84
        .size:           2
        .value_kind:     hidden_remainder_y
      - .offset:         86
        .size:           2
        .value_kind:     hidden_remainder_z
      - .offset:         104
        .size:           8
        .value_kind:     hidden_global_offset_x
      - .offset:         112
        .size:           8
        .value_kind:     hidden_global_offset_y
      - .offset:         120
        .size:           8
        .value_kind:     hidden_global_offset_z
      - .offset:         128
        .size:           2
        .value_kind:     hidden_grid_dims
    .group_segment_fixed_size: 0
    .kernarg_segment_align: 8
    .kernarg_segment_size: 320
    .language:       OpenCL C
    .language_version:
      - 2
      - 0
    .max_flat_workgroup_size: 32
    .name:           _ZN2at6native12_GLOBAL__N_135GammaBetaBackwardCUDAKernelTemplateIN3c104HalfEfLj32ELj1ELj8ELb1ELb0ELb0EEEvllPKT_S7_PKT0_SA_PS5_SB_
    .private_segment_fixed_size: 0
    .sgpr_count:     46
    .sgpr_spill_count: 0
    .symbol:         _ZN2at6native12_GLOBAL__N_135GammaBetaBackwardCUDAKernelTemplateIN3c104HalfEfLj32ELj1ELj8ELb1ELb0ELb0EEEvllPKT_S7_PKT0_SA_PS5_SB_.kd
    .uniform_work_group_size: 1
    .uses_dynamic_stack: false
    .vgpr_count:     105
    .vgpr_spill_count: 0
    .wavefront_size: 64
  - .agpr_count:     0
    .args:
      - .offset:         0
        .size:           8
        .value_kind:     by_value
      - .offset:         8
        .size:           8
        .value_kind:     by_value
      - .actual_access:  read_only
        .address_space:  global
        .offset:         16
        .size:           8
        .value_kind:     global_buffer
      - .actual_access:  read_only
        .address_space:  global
        .offset:         24
        .size:           8
        .value_kind:     global_buffer
      - .actual_access:  read_only
        .address_space:  global
        .offset:         32
        .size:           8
        .value_kind:     global_buffer
      - .actual_access:  read_only
        .address_space:  global
        .offset:         40
        .size:           8
        .value_kind:     global_buffer
      - .actual_access:  write_only
        .address_space:  global
        .offset:         48
        .size:           8
        .value_kind:     global_buffer
      - .actual_access:  write_only
        .address_space:  global
        .offset:         56
        .size:           8
        .value_kind:     global_buffer
      - .offset:         64
        .size:           4
        .value_kind:     hidden_block_count_x
      - .offset:         68
        .size:           4
        .value_kind:     hidden_block_count_y
      - .offset:         72
        .size:           4
        .value_kind:     hidden_block_count_z
      - .offset:         76
        .size:           2
        .value_kind:     hidden_group_size_x
      - .offset:         78
        .size:           2
        .value_kind:     hidden_group_size_y
      - .offset:         80
        .size:           2
        .value_kind:     hidden_group_size_z
      - .offset:         82
        .size:           2
        .value_kind:     hidden_remainder_x
      - .offset:         84
        .size:           2
        .value_kind:     hidden_remainder_y
      - .offset:         86
        .size:           2
        .value_kind:     hidden_remainder_z
      - .offset:         104
        .size:           8
        .value_kind:     hidden_global_offset_x
      - .offset:         112
        .size:           8
        .value_kind:     hidden_global_offset_y
      - .offset:         120
        .size:           8
        .value_kind:     hidden_global_offset_z
      - .offset:         128
        .size:           2
        .value_kind:     hidden_grid_dims
      - .offset:         184
        .size:           4
        .value_kind:     hidden_dynamic_lds_size
    .group_segment_fixed_size: 0
    .kernarg_segment_align: 8
    .kernarg_segment_size: 320
    .language:       OpenCL C
    .language_version:
      - 2
      - 0
    .max_flat_workgroup_size: 256
    .name:           _ZN2at6native12_GLOBAL__N_135GammaBetaBackwardCUDAKernelTemplateIN3c104HalfEfLj32ELj8ELj64ELb0ELb1ELb0EEEvllPKT_S7_PKT0_SA_PS5_SB_
    .private_segment_fixed_size: 0
    .sgpr_count:     38
    .sgpr_spill_count: 0
    .symbol:         _ZN2at6native12_GLOBAL__N_135GammaBetaBackwardCUDAKernelTemplateIN3c104HalfEfLj32ELj8ELj64ELb0ELb1ELb0EEEvllPKT_S7_PKT0_SA_PS5_SB_.kd
    .uniform_work_group_size: 1
    .uses_dynamic_stack: false
    .vgpr_count:     56
    .vgpr_spill_count: 0
    .wavefront_size: 64
  - .agpr_count:     0
    .args:
      - .offset:         0
        .size:           8
        .value_kind:     by_value
      - .offset:         8
        .size:           8
        .value_kind:     by_value
      - .actual_access:  read_only
        .address_space:  global
        .offset:         16
        .size:           8
        .value_kind:     global_buffer
      - .actual_access:  read_only
        .address_space:  global
        .offset:         24
        .size:           8
        .value_kind:     global_buffer
      - .actual_access:  read_only
        .address_space:  global
        .offset:         32
        .size:           8
        .value_kind:     global_buffer
      - .actual_access:  read_only
        .address_space:  global
        .offset:         40
        .size:           8
        .value_kind:     global_buffer
      - .actual_access:  write_only
        .address_space:  global
        .offset:         48
        .size:           8
        .value_kind:     global_buffer
      - .actual_access:  write_only
        .address_space:  global
        .offset:         56
        .size:           8
        .value_kind:     global_buffer
      - .offset:         64
        .size:           4
        .value_kind:     hidden_block_count_x
      - .offset:         68
        .size:           4
        .value_kind:     hidden_block_count_y
      - .offset:         72
        .size:           4
        .value_kind:     hidden_block_count_z
      - .offset:         76
        .size:           2
        .value_kind:     hidden_group_size_x
      - .offset:         78
        .size:           2
        .value_kind:     hidden_group_size_y
      - .offset:         80
        .size:           2
        .value_kind:     hidden_group_size_z
      - .offset:         82
        .size:           2
        .value_kind:     hidden_remainder_x
      - .offset:         84
        .size:           2
        .value_kind:     hidden_remainder_y
      - .offset:         86
        .size:           2
        .value_kind:     hidden_remainder_z
      - .offset:         104
        .size:           8
        .value_kind:     hidden_global_offset_x
      - .offset:         112
        .size:           8
        .value_kind:     hidden_global_offset_y
      - .offset:         120
        .size:           8
        .value_kind:     hidden_global_offset_z
      - .offset:         128
        .size:           2
        .value_kind:     hidden_grid_dims
      - .offset:         184
        .size:           4
        .value_kind:     hidden_dynamic_lds_size
    .group_segment_fixed_size: 0
    .kernarg_segment_align: 8
    .kernarg_segment_size: 320
    .language:       OpenCL C
    .language_version:
      - 2
      - 0
    .max_flat_workgroup_size: 256
    .name:           _ZN2at6native12_GLOBAL__N_135GammaBetaBackwardCUDAKernelTemplateIN3c104HalfEfLj32ELj8ELj64ELb0ELb0ELb0EEEvllPKT_S7_PKT0_SA_PS5_SB_
    .private_segment_fixed_size: 0
    .sgpr_count:     58
    .sgpr_spill_count: 0
    .symbol:         _ZN2at6native12_GLOBAL__N_135GammaBetaBackwardCUDAKernelTemplateIN3c104HalfEfLj32ELj8ELj64ELb0ELb0ELb0EEEvllPKT_S7_PKT0_SA_PS5_SB_.kd
    .uniform_work_group_size: 1
    .uses_dynamic_stack: false
    .vgpr_count:     105
    .vgpr_spill_count: 0
    .wavefront_size: 64
  - .agpr_count:     0
    .args:
      - .offset:         0
        .size:           8
        .value_kind:     by_value
      - .offset:         8
        .size:           8
        .value_kind:     by_value
      - .actual_access:  read_only
        .address_space:  global
        .offset:         16
        .size:           8
        .value_kind:     global_buffer
      - .actual_access:  read_only
        .address_space:  global
        .offset:         24
        .size:           8
        .value_kind:     global_buffer
      - .actual_access:  read_only
        .address_space:  global
        .offset:         32
        .size:           8
        .value_kind:     global_buffer
      - .actual_access:  read_only
        .address_space:  global
        .offset:         40
        .size:           8
        .value_kind:     global_buffer
      - .actual_access:  write_only
        .address_space:  global
        .offset:         48
        .size:           8
        .value_kind:     global_buffer
      - .actual_access:  write_only
        .address_space:  global
        .offset:         56
        .size:           8
        .value_kind:     global_buffer
      - .offset:         64
        .size:           4
        .value_kind:     hidden_block_count_x
      - .offset:         68
        .size:           4
        .value_kind:     hidden_block_count_y
      - .offset:         72
        .size:           4
        .value_kind:     hidden_block_count_z
      - .offset:         76
        .size:           2
        .value_kind:     hidden_group_size_x
      - .offset:         78
        .size:           2
        .value_kind:     hidden_group_size_y
      - .offset:         80
        .size:           2
        .value_kind:     hidden_group_size_z
      - .offset:         82
        .size:           2
        .value_kind:     hidden_remainder_x
      - .offset:         84
        .size:           2
        .value_kind:     hidden_remainder_y
      - .offset:         86
        .size:           2
        .value_kind:     hidden_remainder_z
      - .offset:         104
        .size:           8
        .value_kind:     hidden_global_offset_x
      - .offset:         112
        .size:           8
        .value_kind:     hidden_global_offset_y
      - .offset:         120
        .size:           8
        .value_kind:     hidden_global_offset_z
      - .offset:         128
        .size:           2
        .value_kind:     hidden_grid_dims
      - .offset:         184
        .size:           4
        .value_kind:     hidden_dynamic_lds_size
    .group_segment_fixed_size: 0
    .kernarg_segment_align: 8
    .kernarg_segment_size: 320
    .language:       OpenCL C
    .language_version:
      - 2
      - 0
    .max_flat_workgroup_size: 512
    .name:           _ZN2at6native12_GLOBAL__N_135GammaBetaBackwardCUDAKernelTemplateIN3c104HalfEfLj32ELj16ELj128ELb0ELb1ELb0EEEvllPKT_S7_PKT0_SA_PS5_SB_
    .private_segment_fixed_size: 0
    .sgpr_count:     38
    .sgpr_spill_count: 0
    .symbol:         _ZN2at6native12_GLOBAL__N_135GammaBetaBackwardCUDAKernelTemplateIN3c104HalfEfLj32ELj16ELj128ELb0ELb1ELb0EEEvllPKT_S7_PKT0_SA_PS5_SB_.kd
    .uniform_work_group_size: 1
    .uses_dynamic_stack: false
    .vgpr_count:     56
    .vgpr_spill_count: 0
    .wavefront_size: 64
  - .agpr_count:     0
    .args:
      - .offset:         0
        .size:           8
        .value_kind:     by_value
      - .offset:         8
        .size:           8
        .value_kind:     by_value
      - .actual_access:  read_only
        .address_space:  global
        .offset:         16
        .size:           8
        .value_kind:     global_buffer
      - .actual_access:  read_only
        .address_space:  global
        .offset:         24
        .size:           8
        .value_kind:     global_buffer
      - .actual_access:  read_only
        .address_space:  global
        .offset:         32
        .size:           8
        .value_kind:     global_buffer
      - .actual_access:  read_only
        .address_space:  global
        .offset:         40
        .size:           8
        .value_kind:     global_buffer
      - .actual_access:  write_only
        .address_space:  global
        .offset:         48
        .size:           8
        .value_kind:     global_buffer
      - .actual_access:  write_only
        .address_space:  global
        .offset:         56
        .size:           8
        .value_kind:     global_buffer
      - .offset:         64
        .size:           4
        .value_kind:     hidden_block_count_x
      - .offset:         68
        .size:           4
        .value_kind:     hidden_block_count_y
      - .offset:         72
        .size:           4
        .value_kind:     hidden_block_count_z
      - .offset:         76
        .size:           2
        .value_kind:     hidden_group_size_x
      - .offset:         78
        .size:           2
        .value_kind:     hidden_group_size_y
      - .offset:         80
        .size:           2
        .value_kind:     hidden_group_size_z
      - .offset:         82
        .size:           2
        .value_kind:     hidden_remainder_x
      - .offset:         84
        .size:           2
        .value_kind:     hidden_remainder_y
      - .offset:         86
        .size:           2
        .value_kind:     hidden_remainder_z
      - .offset:         104
        .size:           8
        .value_kind:     hidden_global_offset_x
      - .offset:         112
        .size:           8
        .value_kind:     hidden_global_offset_y
      - .offset:         120
        .size:           8
        .value_kind:     hidden_global_offset_z
      - .offset:         128
        .size:           2
        .value_kind:     hidden_grid_dims
      - .offset:         184
        .size:           4
        .value_kind:     hidden_dynamic_lds_size
    .group_segment_fixed_size: 0
    .kernarg_segment_align: 8
    .kernarg_segment_size: 320
    .language:       OpenCL C
    .language_version:
      - 2
      - 0
    .max_flat_workgroup_size: 512
    .name:           _ZN2at6native12_GLOBAL__N_135GammaBetaBackwardCUDAKernelTemplateIN3c104HalfEfLj32ELj16ELj128ELb0ELb0ELb0EEEvllPKT_S7_PKT0_SA_PS5_SB_
    .private_segment_fixed_size: 0
    .sgpr_count:     58
    .sgpr_spill_count: 0
    .symbol:         _ZN2at6native12_GLOBAL__N_135GammaBetaBackwardCUDAKernelTemplateIN3c104HalfEfLj32ELj16ELj128ELb0ELb0ELb0EEEvllPKT_S7_PKT0_SA_PS5_SB_.kd
    .uniform_work_group_size: 1
    .uses_dynamic_stack: false
    .vgpr_count:     105
    .vgpr_spill_count: 0
    .wavefront_size: 64
  - .agpr_count:     0
    .args:
      - .offset:         0
        .size:           8
        .value_kind:     by_value
      - .offset:         8
        .size:           8
        .value_kind:     by_value
      - .actual_access:  read_only
        .address_space:  global
        .offset:         16
        .size:           8
        .value_kind:     global_buffer
      - .actual_access:  read_only
        .address_space:  global
        .offset:         24
        .size:           8
        .value_kind:     global_buffer
      - .actual_access:  read_only
        .address_space:  global
        .offset:         32
        .size:           8
        .value_kind:     global_buffer
      - .actual_access:  read_only
        .address_space:  global
        .offset:         40
        .size:           8
        .value_kind:     global_buffer
      - .actual_access:  write_only
        .address_space:  global
        .offset:         48
        .size:           8
        .value_kind:     global_buffer
      - .actual_access:  write_only
        .address_space:  global
        .offset:         56
        .size:           8
        .value_kind:     global_buffer
      - .offset:         64
        .size:           4
        .value_kind:     hidden_block_count_x
      - .offset:         68
        .size:           4
        .value_kind:     hidden_block_count_y
      - .offset:         72
        .size:           4
        .value_kind:     hidden_block_count_z
      - .offset:         76
        .size:           2
        .value_kind:     hidden_group_size_x
      - .offset:         78
        .size:           2
        .value_kind:     hidden_group_size_y
      - .offset:         80
        .size:           2
        .value_kind:     hidden_group_size_z
      - .offset:         82
        .size:           2
        .value_kind:     hidden_remainder_x
      - .offset:         84
        .size:           2
        .value_kind:     hidden_remainder_y
      - .offset:         86
        .size:           2
        .value_kind:     hidden_remainder_z
      - .offset:         104
        .size:           8
        .value_kind:     hidden_global_offset_x
      - .offset:         112
        .size:           8
        .value_kind:     hidden_global_offset_y
      - .offset:         120
        .size:           8
        .value_kind:     hidden_global_offset_z
      - .offset:         128
        .size:           2
        .value_kind:     hidden_grid_dims
      - .offset:         184
        .size:           4
        .value_kind:     hidden_dynamic_lds_size
    .group_segment_fixed_size: 0
    .kernarg_segment_align: 8
    .kernarg_segment_size: 320
    .language:       OpenCL C
    .language_version:
      - 2
      - 0
    .max_flat_workgroup_size: 1024
    .name:           _ZN2at6native12_GLOBAL__N_135GammaBetaBackwardCUDAKernelTemplateIN3c104HalfEfLj32ELj32ELj256ELb0ELb1ELb0EEEvllPKT_S7_PKT0_SA_PS5_SB_
    .private_segment_fixed_size: 0
    .sgpr_count:     38
    .sgpr_spill_count: 0
    .symbol:         _ZN2at6native12_GLOBAL__N_135GammaBetaBackwardCUDAKernelTemplateIN3c104HalfEfLj32ELj32ELj256ELb0ELb1ELb0EEEvllPKT_S7_PKT0_SA_PS5_SB_.kd
    .uniform_work_group_size: 1
    .uses_dynamic_stack: false
    .vgpr_count:     56
    .vgpr_spill_count: 0
    .wavefront_size: 64
  - .agpr_count:     0
    .args:
      - .offset:         0
        .size:           8
        .value_kind:     by_value
      - .offset:         8
        .size:           8
        .value_kind:     by_value
      - .actual_access:  read_only
        .address_space:  global
        .offset:         16
        .size:           8
        .value_kind:     global_buffer
      - .actual_access:  read_only
        .address_space:  global
        .offset:         24
        .size:           8
        .value_kind:     global_buffer
      - .actual_access:  read_only
        .address_space:  global
        .offset:         32
        .size:           8
        .value_kind:     global_buffer
      - .actual_access:  read_only
        .address_space:  global
        .offset:         40
        .size:           8
        .value_kind:     global_buffer
      - .actual_access:  write_only
        .address_space:  global
        .offset:         48
        .size:           8
        .value_kind:     global_buffer
      - .actual_access:  write_only
        .address_space:  global
        .offset:         56
        .size:           8
        .value_kind:     global_buffer
      - .offset:         64
        .size:           4
        .value_kind:     hidden_block_count_x
      - .offset:         68
        .size:           4
        .value_kind:     hidden_block_count_y
      - .offset:         72
        .size:           4
        .value_kind:     hidden_block_count_z
      - .offset:         76
        .size:           2
        .value_kind:     hidden_group_size_x
      - .offset:         78
        .size:           2
        .value_kind:     hidden_group_size_y
      - .offset:         80
        .size:           2
        .value_kind:     hidden_group_size_z
      - .offset:         82
        .size:           2
        .value_kind:     hidden_remainder_x
      - .offset:         84
        .size:           2
        .value_kind:     hidden_remainder_y
      - .offset:         86
        .size:           2
        .value_kind:     hidden_remainder_z
      - .offset:         104
        .size:           8
        .value_kind:     hidden_global_offset_x
      - .offset:         112
        .size:           8
        .value_kind:     hidden_global_offset_y
      - .offset:         120
        .size:           8
        .value_kind:     hidden_global_offset_z
      - .offset:         128
        .size:           2
        .value_kind:     hidden_grid_dims
      - .offset:         184
        .size:           4
        .value_kind:     hidden_dynamic_lds_size
    .group_segment_fixed_size: 0
    .kernarg_segment_align: 8
    .kernarg_segment_size: 320
    .language:       OpenCL C
    .language_version:
      - 2
      - 0
    .max_flat_workgroup_size: 1024
    .name:           _ZN2at6native12_GLOBAL__N_135GammaBetaBackwardCUDAKernelTemplateIN3c104HalfEfLj32ELj32ELj256ELb0ELb0ELb0EEEvllPKT_S7_PKT0_SA_PS5_SB_
    .private_segment_fixed_size: 0
    .sgpr_count:     58
    .sgpr_spill_count: 0
    .symbol:         _ZN2at6native12_GLOBAL__N_135GammaBetaBackwardCUDAKernelTemplateIN3c104HalfEfLj32ELj32ELj256ELb0ELb0ELb0EEEvllPKT_S7_PKT0_SA_PS5_SB_.kd
    .uniform_work_group_size: 1
    .uses_dynamic_stack: false
    .vgpr_count:     105
    .vgpr_spill_count: 0
    .wavefront_size: 64
  - .agpr_count:     0
    .args:
      - .actual_access:  read_only
        .address_space:  global
        .offset:         0
        .size:           8
        .value_kind:     global_buffer
      - .actual_access:  read_only
        .address_space:  global
        .offset:         8
        .size:           8
        .value_kind:     global_buffer
      - .offset:         16
        .size:           8
        .value_kind:     by_value
      - .offset:         24
        .size:           8
        .value_kind:     by_value
      - .actual_access:  read_only
        .address_space:  global
        .offset:         32
        .size:           8
        .value_kind:     global_buffer
      - .actual_access:  read_only
        .address_space:  global
        .offset:         40
        .size:           8
        .value_kind:     global_buffer
      - .address_space:  global
        .offset:         48
        .size:           8
        .value_kind:     global_buffer
      - .address_space:  global
        .offset:         56
        .size:           8
        .value_kind:     global_buffer
      - .offset:         64
        .size:           4
        .value_kind:     hidden_block_count_x
      - .offset:         68
        .size:           4
        .value_kind:     hidden_block_count_y
      - .offset:         72
        .size:           4
        .value_kind:     hidden_block_count_z
      - .offset:         76
        .size:           2
        .value_kind:     hidden_group_size_x
      - .offset:         78
        .size:           2
        .value_kind:     hidden_group_size_y
      - .offset:         80
        .size:           2
        .value_kind:     hidden_group_size_z
      - .offset:         82
        .size:           2
        .value_kind:     hidden_remainder_x
      - .offset:         84
        .size:           2
        .value_kind:     hidden_remainder_y
      - .offset:         86
        .size:           2
        .value_kind:     hidden_remainder_z
      - .offset:         104
        .size:           8
        .value_kind:     hidden_global_offset_x
      - .offset:         112
        .size:           8
        .value_kind:     hidden_global_offset_y
      - .offset:         120
        .size:           8
        .value_kind:     hidden_global_offset_z
      - .offset:         128
        .size:           2
        .value_kind:     hidden_grid_dims
      - .offset:         184
        .size:           4
        .value_kind:     hidden_dynamic_lds_size
    .group_segment_fixed_size: 0
    .kernarg_segment_align: 8
    .kernarg_segment_size: 320
    .language:       OpenCL C
    .language_version:
      - 2
      - 0
    .max_flat_workgroup_size: 1024
    .name:           _ZN2at6native12_GLOBAL__N_118cuComputeGradInputIN3c108BFloat16EfLb0EEEvPKT_S7_llPKT0_SA_S7_PS5_
    .private_segment_fixed_size: 0
    .sgpr_count:     57
    .sgpr_spill_count: 0
    .symbol:         _ZN2at6native12_GLOBAL__N_118cuComputeGradInputIN3c108BFloat16EfLb0EEEvPKT_S7_llPKT0_SA_S7_PS5_.kd
    .uniform_work_group_size: 1
    .uses_dynamic_stack: false
    .vgpr_count:     29
    .vgpr_spill_count: 0
    .wavefront_size: 64
  - .agpr_count:     0
    .args:
      - .actual_access:  read_only
        .address_space:  global
        .offset:         0
        .size:           8
        .value_kind:     global_buffer
      - .actual_access:  read_only
        .address_space:  global
        .offset:         8
        .size:           8
        .value_kind:     global_buffer
      - .actual_access:  read_only
        .address_space:  global
        .offset:         16
        .size:           8
        .value_kind:     global_buffer
      - .actual_access:  read_only
        .address_space:  global
        .offset:         24
        .size:           8
        .value_kind:     global_buffer
      - .actual_access:  read_only
        .address_space:  global
        .offset:         32
        .size:           8
        .value_kind:     global_buffer
      - .address_space:  global
        .offset:         40
        .size:           8
        .value_kind:     global_buffer
      - .offset:         48
        .size:           4
        .value_kind:     by_value
      - .offset:         56
        .size:           4
        .value_kind:     hidden_block_count_x
      - .offset:         60
        .size:           4
        .value_kind:     hidden_block_count_y
      - .offset:         64
        .size:           4
        .value_kind:     hidden_block_count_z
      - .offset:         68
        .size:           2
        .value_kind:     hidden_group_size_x
      - .offset:         70
        .size:           2
        .value_kind:     hidden_group_size_y
      - .offset:         72
        .size:           2
        .value_kind:     hidden_group_size_z
      - .offset:         74
        .size:           2
        .value_kind:     hidden_remainder_x
      - .offset:         76
        .size:           2
        .value_kind:     hidden_remainder_y
      - .offset:         78
        .size:           2
        .value_kind:     hidden_remainder_z
      - .offset:         96
        .size:           8
        .value_kind:     hidden_global_offset_x
      - .offset:         104
        .size:           8
        .value_kind:     hidden_global_offset_y
      - .offset:         112
        .size:           8
        .value_kind:     hidden_global_offset_z
      - .offset:         120
        .size:           2
        .value_kind:     hidden_grid_dims
      - .offset:         176
        .size:           4
        .value_kind:     hidden_dynamic_lds_size
    .group_segment_fixed_size: 0
    .kernarg_segment_align: 8
    .kernarg_segment_size: 312
    .language:       OpenCL C
    .language_version:
      - 2
      - 0
    .max_flat_workgroup_size: 1024
    .name:           _ZN2at6native12_GLOBAL__N_128layer_norm_grad_input_kernelIN3c108BFloat16EfLb0EEEvPKT_S7_PKT0_SA_S7_PS5_i
    .private_segment_fixed_size: 0
    .sgpr_count:     34
    .sgpr_spill_count: 0
    .symbol:         _ZN2at6native12_GLOBAL__N_128layer_norm_grad_input_kernelIN3c108BFloat16EfLb0EEEvPKT_S7_PKT0_SA_S7_PS5_i.kd
    .uniform_work_group_size: 1
    .uses_dynamic_stack: false
    .vgpr_count:     23
    .vgpr_spill_count: 0
    .wavefront_size: 64
  - .agpr_count:     0
    .args:
      - .offset:         0
        .size:           8
        .value_kind:     by_value
      - .offset:         8
        .size:           8
        .value_kind:     by_value
      - .address_space:  global
        .offset:         16
        .size:           8
        .value_kind:     global_buffer
      - .address_space:  global
        .offset:         24
        .size:           8
        .value_kind:     global_buffer
      - .address_space:  global
        .offset:         32
        .size:           8
        .value_kind:     global_buffer
      - .address_space:  global
        .offset:         40
        .size:           8
        .value_kind:     global_buffer
      - .address_space:  global
        .offset:         48
        .size:           8
        .value_kind:     global_buffer
      - .address_space:  global
        .offset:         56
        .size:           8
        .value_kind:     global_buffer
      - .offset:         64
        .size:           4
        .value_kind:     hidden_block_count_x
      - .offset:         68
        .size:           4
        .value_kind:     hidden_block_count_y
      - .offset:         72
        .size:           4
        .value_kind:     hidden_block_count_z
      - .offset:         76
        .size:           2
        .value_kind:     hidden_group_size_x
      - .offset:         78
        .size:           2
        .value_kind:     hidden_group_size_y
      - .offset:         80
        .size:           2
        .value_kind:     hidden_group_size_z
      - .offset:         82
        .size:           2
        .value_kind:     hidden_remainder_x
      - .offset:         84
        .size:           2
        .value_kind:     hidden_remainder_y
      - .offset:         86
        .size:           2
        .value_kind:     hidden_remainder_z
      - .offset:         104
        .size:           8
        .value_kind:     hidden_global_offset_x
      - .offset:         112
        .size:           8
        .value_kind:     hidden_global_offset_y
      - .offset:         120
        .size:           8
        .value_kind:     hidden_global_offset_z
      - .offset:         128
        .size:           2
        .value_kind:     hidden_grid_dims
    .group_segment_fixed_size: 0
    .kernarg_segment_align: 8
    .kernarg_segment_size: 320
    .language:       OpenCL C
    .language_version:
      - 2
      - 0
    .max_flat_workgroup_size: 1024
    .name:           _ZN2at6native12_GLOBAL__N_133GammaBetaBackwardSimpleCUDAKernelIN3c108BFloat16EfLb0EEEvllPKT_S7_PKT0_SA_PS5_SB_
    .private_segment_fixed_size: 0
    .sgpr_count:     28
    .sgpr_spill_count: 0
    .symbol:         _ZN2at6native12_GLOBAL__N_133GammaBetaBackwardSimpleCUDAKernelIN3c108BFloat16EfLb0EEEvllPKT_S7_PKT0_SA_PS5_SB_.kd
    .uniform_work_group_size: 1
    .uses_dynamic_stack: false
    .vgpr_count:     11
    .vgpr_spill_count: 0
    .wavefront_size: 64
  - .agpr_count:     0
    .args:
      - .offset:         0
        .size:           8
        .value_kind:     by_value
      - .offset:         8
        .size:           8
        .value_kind:     by_value
      - .actual_access:  read_only
        .address_space:  global
        .offset:         16
        .size:           8
        .value_kind:     global_buffer
      - .actual_access:  read_only
        .address_space:  global
        .offset:         24
        .size:           8
        .value_kind:     global_buffer
      - .actual_access:  read_only
        .address_space:  global
        .offset:         32
        .size:           8
        .value_kind:     global_buffer
      - .actual_access:  read_only
        .address_space:  global
        .offset:         40
        .size:           8
        .value_kind:     global_buffer
      - .actual_access:  write_only
        .address_space:  global
        .offset:         48
        .size:           8
        .value_kind:     global_buffer
      - .actual_access:  write_only
        .address_space:  global
        .offset:         56
        .size:           8
        .value_kind:     global_buffer
      - .offset:         64
        .size:           4
        .value_kind:     hidden_block_count_x
      - .offset:         68
        .size:           4
        .value_kind:     hidden_block_count_y
      - .offset:         72
        .size:           4
        .value_kind:     hidden_block_count_z
      - .offset:         76
        .size:           2
        .value_kind:     hidden_group_size_x
      - .offset:         78
        .size:           2
        .value_kind:     hidden_group_size_y
      - .offset:         80
        .size:           2
        .value_kind:     hidden_group_size_z
      - .offset:         82
        .size:           2
        .value_kind:     hidden_remainder_x
      - .offset:         84
        .size:           2
        .value_kind:     hidden_remainder_y
      - .offset:         86
        .size:           2
        .value_kind:     hidden_remainder_z
      - .offset:         104
        .size:           8
        .value_kind:     hidden_global_offset_x
      - .offset:         112
        .size:           8
        .value_kind:     hidden_global_offset_y
      - .offset:         120
        .size:           8
        .value_kind:     hidden_global_offset_z
      - .offset:         128
        .size:           2
        .value_kind:     hidden_grid_dims
    .group_segment_fixed_size: 0
    .kernarg_segment_align: 8
    .kernarg_segment_size: 320
    .language:       OpenCL C
    .language_version:
      - 2
      - 0
    .max_flat_workgroup_size: 64
    .name:           _ZN2at6native12_GLOBAL__N_135GammaBetaBackwardCUDAKernelTemplateIN3c108BFloat16EfLj64ELj1ELj32ELb1ELb1ELb0EEEvllPKT_S7_PKT0_SA_PS5_SB_
    .private_segment_fixed_size: 0
    .sgpr_count:     46
    .sgpr_spill_count: 0
    .symbol:         _ZN2at6native12_GLOBAL__N_135GammaBetaBackwardCUDAKernelTemplateIN3c108BFloat16EfLj64ELj1ELj32ELb1ELb1ELb0EEEvllPKT_S7_PKT0_SA_PS5_SB_.kd
    .uniform_work_group_size: 1
    .uses_dynamic_stack: false
    .vgpr_count:     84
    .vgpr_spill_count: 0
    .wavefront_size: 64
  - .agpr_count:     88
    .args:
      - .offset:         0
        .size:           8
        .value_kind:     by_value
      - .offset:         8
        .size:           8
        .value_kind:     by_value
      - .actual_access:  read_only
        .address_space:  global
        .offset:         16
        .size:           8
        .value_kind:     global_buffer
      - .actual_access:  read_only
        .address_space:  global
        .offset:         24
        .size:           8
        .value_kind:     global_buffer
      - .actual_access:  read_only
        .address_space:  global
        .offset:         32
        .size:           8
        .value_kind:     global_buffer
      - .actual_access:  read_only
        .address_space:  global
        .offset:         40
        .size:           8
        .value_kind:     global_buffer
      - .actual_access:  write_only
        .address_space:  global
        .offset:         48
        .size:           8
        .value_kind:     global_buffer
      - .actual_access:  write_only
        .address_space:  global
        .offset:         56
        .size:           8
        .value_kind:     global_buffer
      - .offset:         64
        .size:           4
        .value_kind:     hidden_block_count_x
      - .offset:         68
        .size:           4
        .value_kind:     hidden_block_count_y
      - .offset:         72
        .size:           4
        .value_kind:     hidden_block_count_z
      - .offset:         76
        .size:           2
        .value_kind:     hidden_group_size_x
      - .offset:         78
        .size:           2
        .value_kind:     hidden_group_size_y
      - .offset:         80
        .size:           2
        .value_kind:     hidden_group_size_z
      - .offset:         82
        .size:           2
        .value_kind:     hidden_remainder_x
      - .offset:         84
        .size:           2
        .value_kind:     hidden_remainder_y
      - .offset:         86
        .size:           2
        .value_kind:     hidden_remainder_z
      - .offset:         104
        .size:           8
        .value_kind:     hidden_global_offset_x
      - .offset:         112
        .size:           8
        .value_kind:     hidden_global_offset_y
      - .offset:         120
        .size:           8
        .value_kind:     hidden_global_offset_z
      - .offset:         128
        .size:           2
        .value_kind:     hidden_grid_dims
    .group_segment_fixed_size: 0
    .kernarg_segment_align: 8
    .kernarg_segment_size: 320
    .language:       OpenCL C
    .language_version:
      - 2
      - 0
    .max_flat_workgroup_size: 64
    .name:           _ZN2at6native12_GLOBAL__N_135GammaBetaBackwardCUDAKernelTemplateIN3c108BFloat16EfLj64ELj1ELj32ELb1ELb0ELb0EEEvllPKT_S7_PKT0_SA_PS5_SB_
    .private_segment_fixed_size: 0
    .sgpr_count:     46
    .sgpr_spill_count: 0
    .symbol:         _ZN2at6native12_GLOBAL__N_135GammaBetaBackwardCUDAKernelTemplateIN3c108BFloat16EfLj64ELj1ELj32ELb1ELb0ELb0EEEvllPKT_S7_PKT0_SA_PS5_SB_.kd
    .uniform_work_group_size: 1
    .uses_dynamic_stack: false
    .vgpr_count:     344
    .vgpr_spill_count: 0
    .wavefront_size: 64
  - .agpr_count:     0
    .args:
      - .offset:         0
        .size:           8
        .value_kind:     by_value
      - .offset:         8
        .size:           8
        .value_kind:     by_value
      - .actual_access:  read_only
        .address_space:  global
        .offset:         16
        .size:           8
        .value_kind:     global_buffer
      - .actual_access:  read_only
        .address_space:  global
        .offset:         24
        .size:           8
        .value_kind:     global_buffer
      - .actual_access:  read_only
        .address_space:  global
        .offset:         32
        .size:           8
        .value_kind:     global_buffer
      - .actual_access:  read_only
        .address_space:  global
        .offset:         40
        .size:           8
        .value_kind:     global_buffer
      - .actual_access:  write_only
        .address_space:  global
        .offset:         48
        .size:           8
        .value_kind:     global_buffer
      - .actual_access:  write_only
        .address_space:  global
        .offset:         56
        .size:           8
        .value_kind:     global_buffer
      - .offset:         64
        .size:           4
        .value_kind:     hidden_block_count_x
      - .offset:         68
        .size:           4
        .value_kind:     hidden_block_count_y
      - .offset:         72
        .size:           4
        .value_kind:     hidden_block_count_z
      - .offset:         76
        .size:           2
        .value_kind:     hidden_group_size_x
      - .offset:         78
        .size:           2
        .value_kind:     hidden_group_size_y
      - .offset:         80
        .size:           2
        .value_kind:     hidden_group_size_z
      - .offset:         82
        .size:           2
        .value_kind:     hidden_remainder_x
      - .offset:         84
        .size:           2
        .value_kind:     hidden_remainder_y
      - .offset:         86
        .size:           2
        .value_kind:     hidden_remainder_z
      - .offset:         104
        .size:           8
        .value_kind:     hidden_global_offset_x
      - .offset:         112
        .size:           8
        .value_kind:     hidden_global_offset_y
      - .offset:         120
        .size:           8
        .value_kind:     hidden_global_offset_z
      - .offset:         128
        .size:           2
        .value_kind:     hidden_grid_dims
    .group_segment_fixed_size: 0
    .kernarg_segment_align: 8
    .kernarg_segment_size: 320
    .language:       OpenCL C
    .language_version:
      - 2
      - 0
    .max_flat_workgroup_size: 64
    .name:           _ZN2at6native12_GLOBAL__N_135GammaBetaBackwardCUDAKernelTemplateIN3c108BFloat16EfLj64ELj1ELj8ELb1ELb1ELb0EEEvllPKT_S7_PKT0_SA_PS5_SB_
    .private_segment_fixed_size: 0
    .sgpr_count:     46
    .sgpr_spill_count: 0
    .symbol:         _ZN2at6native12_GLOBAL__N_135GammaBetaBackwardCUDAKernelTemplateIN3c108BFloat16EfLj64ELj1ELj8ELb1ELb1ELb0EEEvllPKT_S7_PKT0_SA_PS5_SB_.kd
    .uniform_work_group_size: 1
    .uses_dynamic_stack: false
    .vgpr_count:     55
    .vgpr_spill_count: 0
    .wavefront_size: 64
  - .agpr_count:     0
    .args:
      - .offset:         0
        .size:           8
        .value_kind:     by_value
      - .offset:         8
        .size:           8
        .value_kind:     by_value
      - .actual_access:  read_only
        .address_space:  global
        .offset:         16
        .size:           8
        .value_kind:     global_buffer
      - .actual_access:  read_only
        .address_space:  global
        .offset:         24
        .size:           8
        .value_kind:     global_buffer
      - .actual_access:  read_only
        .address_space:  global
        .offset:         32
        .size:           8
        .value_kind:     global_buffer
      - .actual_access:  read_only
        .address_space:  global
        .offset:         40
        .size:           8
        .value_kind:     global_buffer
      - .actual_access:  write_only
        .address_space:  global
        .offset:         48
        .size:           8
        .value_kind:     global_buffer
      - .actual_access:  write_only
        .address_space:  global
        .offset:         56
        .size:           8
        .value_kind:     global_buffer
      - .offset:         64
        .size:           4
        .value_kind:     hidden_block_count_x
      - .offset:         68
        .size:           4
        .value_kind:     hidden_block_count_y
      - .offset:         72
        .size:           4
        .value_kind:     hidden_block_count_z
      - .offset:         76
        .size:           2
        .value_kind:     hidden_group_size_x
      - .offset:         78
        .size:           2
        .value_kind:     hidden_group_size_y
      - .offset:         80
        .size:           2
        .value_kind:     hidden_group_size_z
      - .offset:         82
        .size:           2
        .value_kind:     hidden_remainder_x
      - .offset:         84
        .size:           2
        .value_kind:     hidden_remainder_y
      - .offset:         86
        .size:           2
        .value_kind:     hidden_remainder_z
      - .offset:         104
        .size:           8
        .value_kind:     hidden_global_offset_x
      - .offset:         112
        .size:           8
        .value_kind:     hidden_global_offset_y
      - .offset:         120
        .size:           8
        .value_kind:     hidden_global_offset_z
      - .offset:         128
        .size:           2
        .value_kind:     hidden_grid_dims
    .group_segment_fixed_size: 0
    .kernarg_segment_align: 8
    .kernarg_segment_size: 320
    .language:       OpenCL C
    .language_version:
      - 2
      - 0
    .max_flat_workgroup_size: 64
    .name:           _ZN2at6native12_GLOBAL__N_135GammaBetaBackwardCUDAKernelTemplateIN3c108BFloat16EfLj64ELj1ELj8ELb1ELb0ELb0EEEvllPKT_S7_PKT0_SA_PS5_SB_
    .private_segment_fixed_size: 0
    .sgpr_count:     46
    .sgpr_spill_count: 0
    .symbol:         _ZN2at6native12_GLOBAL__N_135GammaBetaBackwardCUDAKernelTemplateIN3c108BFloat16EfLj64ELj1ELj8ELb1ELb0ELb0EEEvllPKT_S7_PKT0_SA_PS5_SB_.kd
    .uniform_work_group_size: 1
    .uses_dynamic_stack: false
    .vgpr_count:     105
    .vgpr_spill_count: 0
    .wavefront_size: 64
  - .agpr_count:     0
    .args:
      - .offset:         0
        .size:           8
        .value_kind:     by_value
      - .offset:         8
        .size:           8
        .value_kind:     by_value
      - .actual_access:  read_only
        .address_space:  global
        .offset:         16
        .size:           8
        .value_kind:     global_buffer
      - .actual_access:  read_only
        .address_space:  global
        .offset:         24
        .size:           8
        .value_kind:     global_buffer
      - .actual_access:  read_only
        .address_space:  global
        .offset:         32
        .size:           8
        .value_kind:     global_buffer
      - .actual_access:  read_only
        .address_space:  global
        .offset:         40
        .size:           8
        .value_kind:     global_buffer
      - .actual_access:  write_only
        .address_space:  global
        .offset:         48
        .size:           8
        .value_kind:     global_buffer
      - .actual_access:  write_only
        .address_space:  global
        .offset:         56
        .size:           8
        .value_kind:     global_buffer
      - .offset:         64
        .size:           4
        .value_kind:     hidden_block_count_x
      - .offset:         68
        .size:           4
        .value_kind:     hidden_block_count_y
      - .offset:         72
        .size:           4
        .value_kind:     hidden_block_count_z
      - .offset:         76
        .size:           2
        .value_kind:     hidden_group_size_x
      - .offset:         78
        .size:           2
        .value_kind:     hidden_group_size_y
      - .offset:         80
        .size:           2
        .value_kind:     hidden_group_size_z
      - .offset:         82
        .size:           2
        .value_kind:     hidden_remainder_x
      - .offset:         84
        .size:           2
        .value_kind:     hidden_remainder_y
      - .offset:         86
        .size:           2
        .value_kind:     hidden_remainder_z
      - .offset:         104
        .size:           8
        .value_kind:     hidden_global_offset_x
      - .offset:         112
        .size:           8
        .value_kind:     hidden_global_offset_y
      - .offset:         120
        .size:           8
        .value_kind:     hidden_global_offset_z
      - .offset:         128
        .size:           2
        .value_kind:     hidden_grid_dims
      - .offset:         184
        .size:           4
        .value_kind:     hidden_dynamic_lds_size
    .group_segment_fixed_size: 0
    .kernarg_segment_align: 8
    .kernarg_segment_size: 320
    .language:       OpenCL C
    .language_version:
      - 2
      - 0
    .max_flat_workgroup_size: 512
    .name:           _ZN2at6native12_GLOBAL__N_135GammaBetaBackwardCUDAKernelTemplateIN3c108BFloat16EfLj64ELj8ELj64ELb0ELb1ELb0EEEvllPKT_S7_PKT0_SA_PS5_SB_
    .private_segment_fixed_size: 0
    .sgpr_count:     38
    .sgpr_spill_count: 0
    .symbol:         _ZN2at6native12_GLOBAL__N_135GammaBetaBackwardCUDAKernelTemplateIN3c108BFloat16EfLj64ELj8ELj64ELb0ELb1ELb0EEEvllPKT_S7_PKT0_SA_PS5_SB_.kd
    .uniform_work_group_size: 1
    .uses_dynamic_stack: false
    .vgpr_count:     55
    .vgpr_spill_count: 0
    .wavefront_size: 64
  - .agpr_count:     0
    .args:
      - .offset:         0
        .size:           8
        .value_kind:     by_value
      - .offset:         8
        .size:           8
        .value_kind:     by_value
      - .actual_access:  read_only
        .address_space:  global
        .offset:         16
        .size:           8
        .value_kind:     global_buffer
      - .actual_access:  read_only
        .address_space:  global
        .offset:         24
        .size:           8
        .value_kind:     global_buffer
      - .actual_access:  read_only
        .address_space:  global
        .offset:         32
        .size:           8
        .value_kind:     global_buffer
      - .actual_access:  read_only
        .address_space:  global
        .offset:         40
        .size:           8
        .value_kind:     global_buffer
      - .actual_access:  write_only
        .address_space:  global
        .offset:         48
        .size:           8
        .value_kind:     global_buffer
      - .actual_access:  write_only
        .address_space:  global
        .offset:         56
        .size:           8
        .value_kind:     global_buffer
      - .offset:         64
        .size:           4
        .value_kind:     hidden_block_count_x
      - .offset:         68
        .size:           4
        .value_kind:     hidden_block_count_y
      - .offset:         72
        .size:           4
        .value_kind:     hidden_block_count_z
      - .offset:         76
        .size:           2
        .value_kind:     hidden_group_size_x
      - .offset:         78
        .size:           2
        .value_kind:     hidden_group_size_y
      - .offset:         80
        .size:           2
        .value_kind:     hidden_group_size_z
      - .offset:         82
        .size:           2
        .value_kind:     hidden_remainder_x
      - .offset:         84
        .size:           2
        .value_kind:     hidden_remainder_y
      - .offset:         86
        .size:           2
        .value_kind:     hidden_remainder_z
      - .offset:         104
        .size:           8
        .value_kind:     hidden_global_offset_x
      - .offset:         112
        .size:           8
        .value_kind:     hidden_global_offset_y
      - .offset:         120
        .size:           8
        .value_kind:     hidden_global_offset_z
      - .offset:         128
        .size:           2
        .value_kind:     hidden_grid_dims
      - .offset:         184
        .size:           4
        .value_kind:     hidden_dynamic_lds_size
    .group_segment_fixed_size: 0
    .kernarg_segment_align: 8
    .kernarg_segment_size: 320
    .language:       OpenCL C
    .language_version:
      - 2
      - 0
    .max_flat_workgroup_size: 512
    .name:           _ZN2at6native12_GLOBAL__N_135GammaBetaBackwardCUDAKernelTemplateIN3c108BFloat16EfLj64ELj8ELj64ELb0ELb0ELb0EEEvllPKT_S7_PKT0_SA_PS5_SB_
    .private_segment_fixed_size: 0
    .sgpr_count:     58
    .sgpr_spill_count: 0
    .symbol:         _ZN2at6native12_GLOBAL__N_135GammaBetaBackwardCUDAKernelTemplateIN3c108BFloat16EfLj64ELj8ELj64ELb0ELb0ELb0EEEvllPKT_S7_PKT0_SA_PS5_SB_.kd
    .uniform_work_group_size: 1
    .uses_dynamic_stack: false
    .vgpr_count:     105
    .vgpr_spill_count: 0
    .wavefront_size: 64
  - .agpr_count:     0
    .args:
      - .offset:         0
        .size:           8
        .value_kind:     by_value
      - .offset:         8
        .size:           8
        .value_kind:     by_value
      - .actual_access:  read_only
        .address_space:  global
        .offset:         16
        .size:           8
        .value_kind:     global_buffer
      - .actual_access:  read_only
        .address_space:  global
        .offset:         24
        .size:           8
        .value_kind:     global_buffer
      - .actual_access:  read_only
        .address_space:  global
        .offset:         32
        .size:           8
        .value_kind:     global_buffer
      - .actual_access:  read_only
        .address_space:  global
        .offset:         40
        .size:           8
        .value_kind:     global_buffer
      - .actual_access:  write_only
        .address_space:  global
        .offset:         48
        .size:           8
        .value_kind:     global_buffer
      - .actual_access:  write_only
        .address_space:  global
        .offset:         56
        .size:           8
        .value_kind:     global_buffer
      - .offset:         64
        .size:           4
        .value_kind:     hidden_block_count_x
      - .offset:         68
        .size:           4
        .value_kind:     hidden_block_count_y
      - .offset:         72
        .size:           4
        .value_kind:     hidden_block_count_z
      - .offset:         76
        .size:           2
        .value_kind:     hidden_group_size_x
      - .offset:         78
        .size:           2
        .value_kind:     hidden_group_size_y
      - .offset:         80
        .size:           2
        .value_kind:     hidden_group_size_z
      - .offset:         82
        .size:           2
        .value_kind:     hidden_remainder_x
      - .offset:         84
        .size:           2
        .value_kind:     hidden_remainder_y
      - .offset:         86
        .size:           2
        .value_kind:     hidden_remainder_z
      - .offset:         104
        .size:           8
        .value_kind:     hidden_global_offset_x
      - .offset:         112
        .size:           8
        .value_kind:     hidden_global_offset_y
      - .offset:         120
        .size:           8
        .value_kind:     hidden_global_offset_z
      - .offset:         128
        .size:           2
        .value_kind:     hidden_grid_dims
      - .offset:         184
        .size:           4
        .value_kind:     hidden_dynamic_lds_size
    .group_segment_fixed_size: 0
    .kernarg_segment_align: 8
    .kernarg_segment_size: 320
    .language:       OpenCL C
    .language_version:
      - 2
      - 0
    .max_flat_workgroup_size: 1024
    .name:           _ZN2at6native12_GLOBAL__N_135GammaBetaBackwardCUDAKernelTemplateIN3c108BFloat16EfLj64ELj16ELj128ELb0ELb1ELb0EEEvllPKT_S7_PKT0_SA_PS5_SB_
    .private_segment_fixed_size: 0
    .sgpr_count:     38
    .sgpr_spill_count: 0
    .symbol:         _ZN2at6native12_GLOBAL__N_135GammaBetaBackwardCUDAKernelTemplateIN3c108BFloat16EfLj64ELj16ELj128ELb0ELb1ELb0EEEvllPKT_S7_PKT0_SA_PS5_SB_.kd
    .uniform_work_group_size: 1
    .uses_dynamic_stack: false
    .vgpr_count:     55
    .vgpr_spill_count: 0
    .wavefront_size: 64
  - .agpr_count:     0
    .args:
      - .offset:         0
        .size:           8
        .value_kind:     by_value
      - .offset:         8
        .size:           8
        .value_kind:     by_value
      - .actual_access:  read_only
        .address_space:  global
        .offset:         16
        .size:           8
        .value_kind:     global_buffer
      - .actual_access:  read_only
        .address_space:  global
        .offset:         24
        .size:           8
        .value_kind:     global_buffer
      - .actual_access:  read_only
        .address_space:  global
        .offset:         32
        .size:           8
        .value_kind:     global_buffer
      - .actual_access:  read_only
        .address_space:  global
        .offset:         40
        .size:           8
        .value_kind:     global_buffer
      - .actual_access:  write_only
        .address_space:  global
        .offset:         48
        .size:           8
        .value_kind:     global_buffer
      - .actual_access:  write_only
        .address_space:  global
        .offset:         56
        .size:           8
        .value_kind:     global_buffer
      - .offset:         64
        .size:           4
        .value_kind:     hidden_block_count_x
      - .offset:         68
        .size:           4
        .value_kind:     hidden_block_count_y
      - .offset:         72
        .size:           4
        .value_kind:     hidden_block_count_z
      - .offset:         76
        .size:           2
        .value_kind:     hidden_group_size_x
      - .offset:         78
        .size:           2
        .value_kind:     hidden_group_size_y
      - .offset:         80
        .size:           2
        .value_kind:     hidden_group_size_z
      - .offset:         82
        .size:           2
        .value_kind:     hidden_remainder_x
      - .offset:         84
        .size:           2
        .value_kind:     hidden_remainder_y
      - .offset:         86
        .size:           2
        .value_kind:     hidden_remainder_z
      - .offset:         104
        .size:           8
        .value_kind:     hidden_global_offset_x
      - .offset:         112
        .size:           8
        .value_kind:     hidden_global_offset_y
      - .offset:         120
        .size:           8
        .value_kind:     hidden_global_offset_z
      - .offset:         128
        .size:           2
        .value_kind:     hidden_grid_dims
      - .offset:         184
        .size:           4
        .value_kind:     hidden_dynamic_lds_size
    .group_segment_fixed_size: 0
    .kernarg_segment_align: 8
    .kernarg_segment_size: 320
    .language:       OpenCL C
    .language_version:
      - 2
      - 0
    .max_flat_workgroup_size: 1024
    .name:           _ZN2at6native12_GLOBAL__N_135GammaBetaBackwardCUDAKernelTemplateIN3c108BFloat16EfLj64ELj16ELj128ELb0ELb0ELb0EEEvllPKT_S7_PKT0_SA_PS5_SB_
    .private_segment_fixed_size: 0
    .sgpr_count:     58
    .sgpr_spill_count: 0
    .symbol:         _ZN2at6native12_GLOBAL__N_135GammaBetaBackwardCUDAKernelTemplateIN3c108BFloat16EfLj64ELj16ELj128ELb0ELb0ELb0EEEvllPKT_S7_PKT0_SA_PS5_SB_.kd
    .uniform_work_group_size: 1
    .uses_dynamic_stack: false
    .vgpr_count:     105
    .vgpr_spill_count: 0
    .wavefront_size: 64
  - .agpr_count:     0
    .args:
      - .offset:         0
        .size:           8
        .value_kind:     by_value
      - .offset:         8
        .size:           8
        .value_kind:     by_value
      - .actual_access:  read_only
        .address_space:  global
        .offset:         16
        .size:           8
        .value_kind:     global_buffer
      - .actual_access:  read_only
        .address_space:  global
        .offset:         24
        .size:           8
        .value_kind:     global_buffer
      - .actual_access:  read_only
        .address_space:  global
        .offset:         32
        .size:           8
        .value_kind:     global_buffer
      - .actual_access:  read_only
        .address_space:  global
        .offset:         40
        .size:           8
        .value_kind:     global_buffer
      - .actual_access:  write_only
        .address_space:  global
        .offset:         48
        .size:           8
        .value_kind:     global_buffer
      - .actual_access:  write_only
        .address_space:  global
        .offset:         56
        .size:           8
        .value_kind:     global_buffer
      - .offset:         64
        .size:           4
        .value_kind:     hidden_block_count_x
      - .offset:         68
        .size:           4
        .value_kind:     hidden_block_count_y
      - .offset:         72
        .size:           4
        .value_kind:     hidden_block_count_z
      - .offset:         76
        .size:           2
        .value_kind:     hidden_group_size_x
      - .offset:         78
        .size:           2
        .value_kind:     hidden_group_size_y
      - .offset:         80
        .size:           2
        .value_kind:     hidden_group_size_z
      - .offset:         82
        .size:           2
        .value_kind:     hidden_remainder_x
      - .offset:         84
        .size:           2
        .value_kind:     hidden_remainder_y
      - .offset:         86
        .size:           2
        .value_kind:     hidden_remainder_z
      - .offset:         104
        .size:           8
        .value_kind:     hidden_global_offset_x
      - .offset:         112
        .size:           8
        .value_kind:     hidden_global_offset_y
      - .offset:         120
        .size:           8
        .value_kind:     hidden_global_offset_z
      - .offset:         128
        .size:           2
        .value_kind:     hidden_grid_dims
      - .offset:         184
        .size:           4
        .value_kind:     hidden_dynamic_lds_size
    .group_segment_fixed_size: 0
    .kernarg_segment_align: 8
    .kernarg_segment_size: 320
    .language:       OpenCL C
    .language_version:
      - 2
      - 0
    .max_flat_workgroup_size: 1024
    .name:           _ZN2at6native12_GLOBAL__N_135GammaBetaBackwardCUDAKernelTemplateIN3c108BFloat16EfLj64ELj16ELj256ELb0ELb1ELb0EEEvllPKT_S7_PKT0_SA_PS5_SB_
    .private_segment_fixed_size: 0
    .sgpr_count:     38
    .sgpr_spill_count: 0
    .symbol:         _ZN2at6native12_GLOBAL__N_135GammaBetaBackwardCUDAKernelTemplateIN3c108BFloat16EfLj64ELj16ELj256ELb0ELb1ELb0EEEvllPKT_S7_PKT0_SA_PS5_SB_.kd
    .uniform_work_group_size: 1
    .uses_dynamic_stack: false
    .vgpr_count:     64
    .vgpr_spill_count: 0
    .wavefront_size: 64
  - .agpr_count:     0
    .args:
      - .offset:         0
        .size:           8
        .value_kind:     by_value
      - .offset:         8
        .size:           8
        .value_kind:     by_value
      - .actual_access:  read_only
        .address_space:  global
        .offset:         16
        .size:           8
        .value_kind:     global_buffer
      - .actual_access:  read_only
        .address_space:  global
        .offset:         24
        .size:           8
        .value_kind:     global_buffer
      - .actual_access:  read_only
        .address_space:  global
        .offset:         32
        .size:           8
        .value_kind:     global_buffer
      - .actual_access:  read_only
        .address_space:  global
        .offset:         40
        .size:           8
        .value_kind:     global_buffer
      - .actual_access:  write_only
        .address_space:  global
        .offset:         48
        .size:           8
        .value_kind:     global_buffer
      - .actual_access:  write_only
        .address_space:  global
        .offset:         56
        .size:           8
        .value_kind:     global_buffer
      - .offset:         64
        .size:           4
        .value_kind:     hidden_block_count_x
      - .offset:         68
        .size:           4
        .value_kind:     hidden_block_count_y
      - .offset:         72
        .size:           4
        .value_kind:     hidden_block_count_z
      - .offset:         76
        .size:           2
        .value_kind:     hidden_group_size_x
      - .offset:         78
        .size:           2
        .value_kind:     hidden_group_size_y
      - .offset:         80
        .size:           2
        .value_kind:     hidden_group_size_z
      - .offset:         82
        .size:           2
        .value_kind:     hidden_remainder_x
      - .offset:         84
        .size:           2
        .value_kind:     hidden_remainder_y
      - .offset:         86
        .size:           2
        .value_kind:     hidden_remainder_z
      - .offset:         104
        .size:           8
        .value_kind:     hidden_global_offset_x
      - .offset:         112
        .size:           8
        .value_kind:     hidden_global_offset_y
      - .offset:         120
        .size:           8
        .value_kind:     hidden_global_offset_z
      - .offset:         128
        .size:           2
        .value_kind:     hidden_grid_dims
      - .offset:         184
        .size:           4
        .value_kind:     hidden_dynamic_lds_size
    .group_segment_fixed_size: 0
    .kernarg_segment_align: 8
    .kernarg_segment_size: 320
    .language:       OpenCL C
    .language_version:
      - 2
      - 0
    .max_flat_workgroup_size: 1024
    .name:           _ZN2at6native12_GLOBAL__N_135GammaBetaBackwardCUDAKernelTemplateIN3c108BFloat16EfLj64ELj16ELj256ELb0ELb0ELb0EEEvllPKT_S7_PKT0_SA_PS5_SB_
    .private_segment_fixed_size: 196
    .sgpr_count:     74
    .sgpr_spill_count: 0
    .symbol:         _ZN2at6native12_GLOBAL__N_135GammaBetaBackwardCUDAKernelTemplateIN3c108BFloat16EfLj64ELj16ELj256ELb0ELb0ELb0EEEvllPKT_S7_PKT0_SA_PS5_SB_.kd
    .uniform_work_group_size: 1
    .uses_dynamic_stack: false
    .vgpr_count:     128
    .vgpr_spill_count: 94
    .wavefront_size: 64
  - .agpr_count:     0
    .args:
      - .offset:         0
        .size:           8
        .value_kind:     by_value
      - .offset:         8
        .size:           8
        .value_kind:     by_value
      - .actual_access:  read_only
        .address_space:  global
        .offset:         16
        .size:           8
        .value_kind:     global_buffer
      - .actual_access:  read_only
        .address_space:  global
        .offset:         24
        .size:           8
        .value_kind:     global_buffer
      - .actual_access:  read_only
        .address_space:  global
        .offset:         32
        .size:           8
        .value_kind:     global_buffer
      - .actual_access:  read_only
        .address_space:  global
        .offset:         40
        .size:           8
        .value_kind:     global_buffer
      - .actual_access:  write_only
        .address_space:  global
        .offset:         48
        .size:           8
        .value_kind:     global_buffer
      - .actual_access:  write_only
        .address_space:  global
        .offset:         56
        .size:           8
        .value_kind:     global_buffer
      - .offset:         64
        .size:           4
        .value_kind:     hidden_block_count_x
      - .offset:         68
        .size:           4
        .value_kind:     hidden_block_count_y
      - .offset:         72
        .size:           4
        .value_kind:     hidden_block_count_z
      - .offset:         76
        .size:           2
        .value_kind:     hidden_group_size_x
      - .offset:         78
        .size:           2
        .value_kind:     hidden_group_size_y
      - .offset:         80
        .size:           2
        .value_kind:     hidden_group_size_z
      - .offset:         82
        .size:           2
        .value_kind:     hidden_remainder_x
      - .offset:         84
        .size:           2
        .value_kind:     hidden_remainder_y
      - .offset:         86
        .size:           2
        .value_kind:     hidden_remainder_z
      - .offset:         104
        .size:           8
        .value_kind:     hidden_global_offset_x
      - .offset:         112
        .size:           8
        .value_kind:     hidden_global_offset_y
      - .offset:         120
        .size:           8
        .value_kind:     hidden_global_offset_z
      - .offset:         128
        .size:           2
        .value_kind:     hidden_grid_dims
    .group_segment_fixed_size: 0
    .kernarg_segment_align: 8
    .kernarg_segment_size: 320
    .language:       OpenCL C
    .language_version:
      - 2
      - 0
    .max_flat_workgroup_size: 32
    .name:           _ZN2at6native12_GLOBAL__N_135GammaBetaBackwardCUDAKernelTemplateIN3c108BFloat16EfLj32ELj1ELj32ELb1ELb1ELb0EEEvllPKT_S7_PKT0_SA_PS5_SB_
    .private_segment_fixed_size: 0
    .sgpr_count:     46
    .sgpr_spill_count: 0
    .symbol:         _ZN2at6native12_GLOBAL__N_135GammaBetaBackwardCUDAKernelTemplateIN3c108BFloat16EfLj32ELj1ELj32ELb1ELb1ELb0EEEvllPKT_S7_PKT0_SA_PS5_SB_.kd
    .uniform_work_group_size: 1
    .uses_dynamic_stack: false
    .vgpr_count:     84
    .vgpr_spill_count: 0
    .wavefront_size: 64
  - .agpr_count:     88
    .args:
      - .offset:         0
        .size:           8
        .value_kind:     by_value
      - .offset:         8
        .size:           8
        .value_kind:     by_value
      - .actual_access:  read_only
        .address_space:  global
        .offset:         16
        .size:           8
        .value_kind:     global_buffer
      - .actual_access:  read_only
        .address_space:  global
        .offset:         24
        .size:           8
        .value_kind:     global_buffer
      - .actual_access:  read_only
        .address_space:  global
        .offset:         32
        .size:           8
        .value_kind:     global_buffer
      - .actual_access:  read_only
        .address_space:  global
        .offset:         40
        .size:           8
        .value_kind:     global_buffer
      - .actual_access:  write_only
        .address_space:  global
        .offset:         48
        .size:           8
        .value_kind:     global_buffer
      - .actual_access:  write_only
        .address_space:  global
        .offset:         56
        .size:           8
        .value_kind:     global_buffer
      - .offset:         64
        .size:           4
        .value_kind:     hidden_block_count_x
      - .offset:         68
        .size:           4
        .value_kind:     hidden_block_count_y
      - .offset:         72
        .size:           4
        .value_kind:     hidden_block_count_z
      - .offset:         76
        .size:           2
        .value_kind:     hidden_group_size_x
      - .offset:         78
        .size:           2
        .value_kind:     hidden_group_size_y
      - .offset:         80
        .size:           2
        .value_kind:     hidden_group_size_z
      - .offset:         82
        .size:           2
        .value_kind:     hidden_remainder_x
      - .offset:         84
        .size:           2
        .value_kind:     hidden_remainder_y
      - .offset:         86
        .size:           2
        .value_kind:     hidden_remainder_z
      - .offset:         104
        .size:           8
        .value_kind:     hidden_global_offset_x
      - .offset:         112
        .size:           8
        .value_kind:     hidden_global_offset_y
      - .offset:         120
        .size:           8
        .value_kind:     hidden_global_offset_z
      - .offset:         128
        .size:           2
        .value_kind:     hidden_grid_dims
    .group_segment_fixed_size: 0
    .kernarg_segment_align: 8
    .kernarg_segment_size: 320
    .language:       OpenCL C
    .language_version:
      - 2
      - 0
    .max_flat_workgroup_size: 32
    .name:           _ZN2at6native12_GLOBAL__N_135GammaBetaBackwardCUDAKernelTemplateIN3c108BFloat16EfLj32ELj1ELj32ELb1ELb0ELb0EEEvllPKT_S7_PKT0_SA_PS5_SB_
    .private_segment_fixed_size: 0
    .sgpr_count:     46
    .sgpr_spill_count: 0
    .symbol:         _ZN2at6native12_GLOBAL__N_135GammaBetaBackwardCUDAKernelTemplateIN3c108BFloat16EfLj32ELj1ELj32ELb1ELb0ELb0EEEvllPKT_S7_PKT0_SA_PS5_SB_.kd
    .uniform_work_group_size: 1
    .uses_dynamic_stack: false
    .vgpr_count:     344
    .vgpr_spill_count: 0
    .wavefront_size: 64
  - .agpr_count:     0
    .args:
      - .offset:         0
        .size:           8
        .value_kind:     by_value
      - .offset:         8
        .size:           8
        .value_kind:     by_value
      - .actual_access:  read_only
        .address_space:  global
        .offset:         16
        .size:           8
        .value_kind:     global_buffer
      - .actual_access:  read_only
        .address_space:  global
        .offset:         24
        .size:           8
        .value_kind:     global_buffer
      - .actual_access:  read_only
        .address_space:  global
        .offset:         32
        .size:           8
        .value_kind:     global_buffer
      - .actual_access:  read_only
        .address_space:  global
        .offset:         40
        .size:           8
        .value_kind:     global_buffer
      - .actual_access:  write_only
        .address_space:  global
        .offset:         48
        .size:           8
        .value_kind:     global_buffer
      - .actual_access:  write_only
        .address_space:  global
        .offset:         56
        .size:           8
        .value_kind:     global_buffer
      - .offset:         64
        .size:           4
        .value_kind:     hidden_block_count_x
      - .offset:         68
        .size:           4
        .value_kind:     hidden_block_count_y
      - .offset:         72
        .size:           4
        .value_kind:     hidden_block_count_z
      - .offset:         76
        .size:           2
        .value_kind:     hidden_group_size_x
      - .offset:         78
        .size:           2
        .value_kind:     hidden_group_size_y
      - .offset:         80
        .size:           2
        .value_kind:     hidden_group_size_z
      - .offset:         82
        .size:           2
        .value_kind:     hidden_remainder_x
      - .offset:         84
        .size:           2
        .value_kind:     hidden_remainder_y
      - .offset:         86
        .size:           2
        .value_kind:     hidden_remainder_z
      - .offset:         104
        .size:           8
        .value_kind:     hidden_global_offset_x
      - .offset:         112
        .size:           8
        .value_kind:     hidden_global_offset_y
      - .offset:         120
        .size:           8
        .value_kind:     hidden_global_offset_z
      - .offset:         128
        .size:           2
        .value_kind:     hidden_grid_dims
    .group_segment_fixed_size: 0
    .kernarg_segment_align: 8
    .kernarg_segment_size: 320
    .language:       OpenCL C
    .language_version:
      - 2
      - 0
    .max_flat_workgroup_size: 32
    .name:           _ZN2at6native12_GLOBAL__N_135GammaBetaBackwardCUDAKernelTemplateIN3c108BFloat16EfLj32ELj1ELj8ELb1ELb1ELb0EEEvllPKT_S7_PKT0_SA_PS5_SB_
    .private_segment_fixed_size: 0
    .sgpr_count:     46
    .sgpr_spill_count: 0
    .symbol:         _ZN2at6native12_GLOBAL__N_135GammaBetaBackwardCUDAKernelTemplateIN3c108BFloat16EfLj32ELj1ELj8ELb1ELb1ELb0EEEvllPKT_S7_PKT0_SA_PS5_SB_.kd
    .uniform_work_group_size: 1
    .uses_dynamic_stack: false
    .vgpr_count:     55
    .vgpr_spill_count: 0
    .wavefront_size: 64
  - .agpr_count:     0
    .args:
      - .offset:         0
        .size:           8
        .value_kind:     by_value
      - .offset:         8
        .size:           8
        .value_kind:     by_value
      - .actual_access:  read_only
        .address_space:  global
        .offset:         16
        .size:           8
        .value_kind:     global_buffer
      - .actual_access:  read_only
        .address_space:  global
        .offset:         24
        .size:           8
        .value_kind:     global_buffer
      - .actual_access:  read_only
        .address_space:  global
        .offset:         32
        .size:           8
        .value_kind:     global_buffer
      - .actual_access:  read_only
        .address_space:  global
        .offset:         40
        .size:           8
        .value_kind:     global_buffer
      - .actual_access:  write_only
        .address_space:  global
        .offset:         48
        .size:           8
        .value_kind:     global_buffer
      - .actual_access:  write_only
        .address_space:  global
        .offset:         56
        .size:           8
        .value_kind:     global_buffer
      - .offset:         64
        .size:           4
        .value_kind:     hidden_block_count_x
      - .offset:         68
        .size:           4
        .value_kind:     hidden_block_count_y
      - .offset:         72
        .size:           4
        .value_kind:     hidden_block_count_z
      - .offset:         76
        .size:           2
        .value_kind:     hidden_group_size_x
      - .offset:         78
        .size:           2
        .value_kind:     hidden_group_size_y
      - .offset:         80
        .size:           2
        .value_kind:     hidden_group_size_z
      - .offset:         82
        .size:           2
        .value_kind:     hidden_remainder_x
      - .offset:         84
        .size:           2
        .value_kind:     hidden_remainder_y
      - .offset:         86
        .size:           2
        .value_kind:     hidden_remainder_z
      - .offset:         104
        .size:           8
        .value_kind:     hidden_global_offset_x
      - .offset:         112
        .size:           8
        .value_kind:     hidden_global_offset_y
      - .offset:         120
        .size:           8
        .value_kind:     hidden_global_offset_z
      - .offset:         128
        .size:           2
        .value_kind:     hidden_grid_dims
    .group_segment_fixed_size: 0
    .kernarg_segment_align: 8
    .kernarg_segment_size: 320
    .language:       OpenCL C
    .language_version:
      - 2
      - 0
    .max_flat_workgroup_size: 32
    .name:           _ZN2at6native12_GLOBAL__N_135GammaBetaBackwardCUDAKernelTemplateIN3c108BFloat16EfLj32ELj1ELj8ELb1ELb0ELb0EEEvllPKT_S7_PKT0_SA_PS5_SB_
    .private_segment_fixed_size: 0
    .sgpr_count:     46
    .sgpr_spill_count: 0
    .symbol:         _ZN2at6native12_GLOBAL__N_135GammaBetaBackwardCUDAKernelTemplateIN3c108BFloat16EfLj32ELj1ELj8ELb1ELb0ELb0EEEvllPKT_S7_PKT0_SA_PS5_SB_.kd
    .uniform_work_group_size: 1
    .uses_dynamic_stack: false
    .vgpr_count:     105
    .vgpr_spill_count: 0
    .wavefront_size: 64
  - .agpr_count:     0
    .args:
      - .offset:         0
        .size:           8
        .value_kind:     by_value
      - .offset:         8
        .size:           8
        .value_kind:     by_value
      - .actual_access:  read_only
        .address_space:  global
        .offset:         16
        .size:           8
        .value_kind:     global_buffer
      - .actual_access:  read_only
        .address_space:  global
        .offset:         24
        .size:           8
        .value_kind:     global_buffer
      - .actual_access:  read_only
        .address_space:  global
        .offset:         32
        .size:           8
        .value_kind:     global_buffer
      - .actual_access:  read_only
        .address_space:  global
        .offset:         40
        .size:           8
        .value_kind:     global_buffer
      - .actual_access:  write_only
        .address_space:  global
        .offset:         48
        .size:           8
        .value_kind:     global_buffer
      - .actual_access:  write_only
        .address_space:  global
        .offset:         56
        .size:           8
        .value_kind:     global_buffer
      - .offset:         64
        .size:           4
        .value_kind:     hidden_block_count_x
      - .offset:         68
        .size:           4
        .value_kind:     hidden_block_count_y
      - .offset:         72
        .size:           4
        .value_kind:     hidden_block_count_z
      - .offset:         76
        .size:           2
        .value_kind:     hidden_group_size_x
      - .offset:         78
        .size:           2
        .value_kind:     hidden_group_size_y
      - .offset:         80
        .size:           2
        .value_kind:     hidden_group_size_z
      - .offset:         82
        .size:           2
        .value_kind:     hidden_remainder_x
      - .offset:         84
        .size:           2
        .value_kind:     hidden_remainder_y
      - .offset:         86
        .size:           2
        .value_kind:     hidden_remainder_z
      - .offset:         104
        .size:           8
        .value_kind:     hidden_global_offset_x
      - .offset:         112
        .size:           8
        .value_kind:     hidden_global_offset_y
      - .offset:         120
        .size:           8
        .value_kind:     hidden_global_offset_z
      - .offset:         128
        .size:           2
        .value_kind:     hidden_grid_dims
      - .offset:         184
        .size:           4
        .value_kind:     hidden_dynamic_lds_size
    .group_segment_fixed_size: 0
    .kernarg_segment_align: 8
    .kernarg_segment_size: 320
    .language:       OpenCL C
    .language_version:
      - 2
      - 0
    .max_flat_workgroup_size: 256
    .name:           _ZN2at6native12_GLOBAL__N_135GammaBetaBackwardCUDAKernelTemplateIN3c108BFloat16EfLj32ELj8ELj64ELb0ELb1ELb0EEEvllPKT_S7_PKT0_SA_PS5_SB_
    .private_segment_fixed_size: 0
    .sgpr_count:     38
    .sgpr_spill_count: 0
    .symbol:         _ZN2at6native12_GLOBAL__N_135GammaBetaBackwardCUDAKernelTemplateIN3c108BFloat16EfLj32ELj8ELj64ELb0ELb1ELb0EEEvllPKT_S7_PKT0_SA_PS5_SB_.kd
    .uniform_work_group_size: 1
    .uses_dynamic_stack: false
    .vgpr_count:     55
    .vgpr_spill_count: 0
    .wavefront_size: 64
  - .agpr_count:     0
    .args:
      - .offset:         0
        .size:           8
        .value_kind:     by_value
      - .offset:         8
        .size:           8
        .value_kind:     by_value
      - .actual_access:  read_only
        .address_space:  global
        .offset:         16
        .size:           8
        .value_kind:     global_buffer
      - .actual_access:  read_only
        .address_space:  global
        .offset:         24
        .size:           8
        .value_kind:     global_buffer
      - .actual_access:  read_only
        .address_space:  global
        .offset:         32
        .size:           8
        .value_kind:     global_buffer
      - .actual_access:  read_only
        .address_space:  global
        .offset:         40
        .size:           8
        .value_kind:     global_buffer
      - .actual_access:  write_only
        .address_space:  global
        .offset:         48
        .size:           8
        .value_kind:     global_buffer
      - .actual_access:  write_only
        .address_space:  global
        .offset:         56
        .size:           8
        .value_kind:     global_buffer
      - .offset:         64
        .size:           4
        .value_kind:     hidden_block_count_x
      - .offset:         68
        .size:           4
        .value_kind:     hidden_block_count_y
      - .offset:         72
        .size:           4
        .value_kind:     hidden_block_count_z
      - .offset:         76
        .size:           2
        .value_kind:     hidden_group_size_x
      - .offset:         78
        .size:           2
        .value_kind:     hidden_group_size_y
      - .offset:         80
        .size:           2
        .value_kind:     hidden_group_size_z
      - .offset:         82
        .size:           2
        .value_kind:     hidden_remainder_x
      - .offset:         84
        .size:           2
        .value_kind:     hidden_remainder_y
      - .offset:         86
        .size:           2
        .value_kind:     hidden_remainder_z
      - .offset:         104
        .size:           8
        .value_kind:     hidden_global_offset_x
      - .offset:         112
        .size:           8
        .value_kind:     hidden_global_offset_y
      - .offset:         120
        .size:           8
        .value_kind:     hidden_global_offset_z
      - .offset:         128
        .size:           2
        .value_kind:     hidden_grid_dims
      - .offset:         184
        .size:           4
        .value_kind:     hidden_dynamic_lds_size
    .group_segment_fixed_size: 0
    .kernarg_segment_align: 8
    .kernarg_segment_size: 320
    .language:       OpenCL C
    .language_version:
      - 2
      - 0
    .max_flat_workgroup_size: 256
    .name:           _ZN2at6native12_GLOBAL__N_135GammaBetaBackwardCUDAKernelTemplateIN3c108BFloat16EfLj32ELj8ELj64ELb0ELb0ELb0EEEvllPKT_S7_PKT0_SA_PS5_SB_
    .private_segment_fixed_size: 0
    .sgpr_count:     58
    .sgpr_spill_count: 0
    .symbol:         _ZN2at6native12_GLOBAL__N_135GammaBetaBackwardCUDAKernelTemplateIN3c108BFloat16EfLj32ELj8ELj64ELb0ELb0ELb0EEEvllPKT_S7_PKT0_SA_PS5_SB_.kd
    .uniform_work_group_size: 1
    .uses_dynamic_stack: false
    .vgpr_count:     105
    .vgpr_spill_count: 0
    .wavefront_size: 64
  - .agpr_count:     0
    .args:
      - .offset:         0
        .size:           8
        .value_kind:     by_value
      - .offset:         8
        .size:           8
        .value_kind:     by_value
      - .actual_access:  read_only
        .address_space:  global
        .offset:         16
        .size:           8
        .value_kind:     global_buffer
      - .actual_access:  read_only
        .address_space:  global
        .offset:         24
        .size:           8
        .value_kind:     global_buffer
      - .actual_access:  read_only
        .address_space:  global
        .offset:         32
        .size:           8
        .value_kind:     global_buffer
      - .actual_access:  read_only
        .address_space:  global
        .offset:         40
        .size:           8
        .value_kind:     global_buffer
      - .actual_access:  write_only
        .address_space:  global
        .offset:         48
        .size:           8
        .value_kind:     global_buffer
      - .actual_access:  write_only
        .address_space:  global
        .offset:         56
        .size:           8
        .value_kind:     global_buffer
      - .offset:         64
        .size:           4
        .value_kind:     hidden_block_count_x
      - .offset:         68
        .size:           4
        .value_kind:     hidden_block_count_y
      - .offset:         72
        .size:           4
        .value_kind:     hidden_block_count_z
      - .offset:         76
        .size:           2
        .value_kind:     hidden_group_size_x
      - .offset:         78
        .size:           2
        .value_kind:     hidden_group_size_y
      - .offset:         80
        .size:           2
        .value_kind:     hidden_group_size_z
      - .offset:         82
        .size:           2
        .value_kind:     hidden_remainder_x
      - .offset:         84
        .size:           2
        .value_kind:     hidden_remainder_y
      - .offset:         86
        .size:           2
        .value_kind:     hidden_remainder_z
      - .offset:         104
        .size:           8
        .value_kind:     hidden_global_offset_x
      - .offset:         112
        .size:           8
        .value_kind:     hidden_global_offset_y
      - .offset:         120
        .size:           8
        .value_kind:     hidden_global_offset_z
      - .offset:         128
        .size:           2
        .value_kind:     hidden_grid_dims
      - .offset:         184
        .size:           4
        .value_kind:     hidden_dynamic_lds_size
    .group_segment_fixed_size: 0
    .kernarg_segment_align: 8
    .kernarg_segment_size: 320
    .language:       OpenCL C
    .language_version:
      - 2
      - 0
    .max_flat_workgroup_size: 512
    .name:           _ZN2at6native12_GLOBAL__N_135GammaBetaBackwardCUDAKernelTemplateIN3c108BFloat16EfLj32ELj16ELj128ELb0ELb1ELb0EEEvllPKT_S7_PKT0_SA_PS5_SB_
    .private_segment_fixed_size: 0
    .sgpr_count:     38
    .sgpr_spill_count: 0
    .symbol:         _ZN2at6native12_GLOBAL__N_135GammaBetaBackwardCUDAKernelTemplateIN3c108BFloat16EfLj32ELj16ELj128ELb0ELb1ELb0EEEvllPKT_S7_PKT0_SA_PS5_SB_.kd
    .uniform_work_group_size: 1
    .uses_dynamic_stack: false
    .vgpr_count:     55
    .vgpr_spill_count: 0
    .wavefront_size: 64
  - .agpr_count:     0
    .args:
      - .offset:         0
        .size:           8
        .value_kind:     by_value
      - .offset:         8
        .size:           8
        .value_kind:     by_value
      - .actual_access:  read_only
        .address_space:  global
        .offset:         16
        .size:           8
        .value_kind:     global_buffer
      - .actual_access:  read_only
        .address_space:  global
        .offset:         24
        .size:           8
        .value_kind:     global_buffer
      - .actual_access:  read_only
        .address_space:  global
        .offset:         32
        .size:           8
        .value_kind:     global_buffer
      - .actual_access:  read_only
        .address_space:  global
        .offset:         40
        .size:           8
        .value_kind:     global_buffer
      - .actual_access:  write_only
        .address_space:  global
        .offset:         48
        .size:           8
        .value_kind:     global_buffer
      - .actual_access:  write_only
        .address_space:  global
        .offset:         56
        .size:           8
        .value_kind:     global_buffer
      - .offset:         64
        .size:           4
        .value_kind:     hidden_block_count_x
      - .offset:         68
        .size:           4
        .value_kind:     hidden_block_count_y
      - .offset:         72
        .size:           4
        .value_kind:     hidden_block_count_z
      - .offset:         76
        .size:           2
        .value_kind:     hidden_group_size_x
      - .offset:         78
        .size:           2
        .value_kind:     hidden_group_size_y
      - .offset:         80
        .size:           2
        .value_kind:     hidden_group_size_z
      - .offset:         82
        .size:           2
        .value_kind:     hidden_remainder_x
      - .offset:         84
        .size:           2
        .value_kind:     hidden_remainder_y
      - .offset:         86
        .size:           2
        .value_kind:     hidden_remainder_z
      - .offset:         104
        .size:           8
        .value_kind:     hidden_global_offset_x
      - .offset:         112
        .size:           8
        .value_kind:     hidden_global_offset_y
      - .offset:         120
        .size:           8
        .value_kind:     hidden_global_offset_z
      - .offset:         128
        .size:           2
        .value_kind:     hidden_grid_dims
      - .offset:         184
        .size:           4
        .value_kind:     hidden_dynamic_lds_size
    .group_segment_fixed_size: 0
    .kernarg_segment_align: 8
    .kernarg_segment_size: 320
    .language:       OpenCL C
    .language_version:
      - 2
      - 0
    .max_flat_workgroup_size: 512
    .name:           _ZN2at6native12_GLOBAL__N_135GammaBetaBackwardCUDAKernelTemplateIN3c108BFloat16EfLj32ELj16ELj128ELb0ELb0ELb0EEEvllPKT_S7_PKT0_SA_PS5_SB_
    .private_segment_fixed_size: 0
    .sgpr_count:     58
    .sgpr_spill_count: 0
    .symbol:         _ZN2at6native12_GLOBAL__N_135GammaBetaBackwardCUDAKernelTemplateIN3c108BFloat16EfLj32ELj16ELj128ELb0ELb0ELb0EEEvllPKT_S7_PKT0_SA_PS5_SB_.kd
    .uniform_work_group_size: 1
    .uses_dynamic_stack: false
    .vgpr_count:     105
    .vgpr_spill_count: 0
    .wavefront_size: 64
  - .agpr_count:     0
    .args:
      - .offset:         0
        .size:           8
        .value_kind:     by_value
      - .offset:         8
        .size:           8
        .value_kind:     by_value
      - .actual_access:  read_only
        .address_space:  global
        .offset:         16
        .size:           8
        .value_kind:     global_buffer
      - .actual_access:  read_only
        .address_space:  global
        .offset:         24
        .size:           8
        .value_kind:     global_buffer
      - .actual_access:  read_only
        .address_space:  global
        .offset:         32
        .size:           8
        .value_kind:     global_buffer
      - .actual_access:  read_only
        .address_space:  global
        .offset:         40
        .size:           8
        .value_kind:     global_buffer
      - .actual_access:  write_only
        .address_space:  global
        .offset:         48
        .size:           8
        .value_kind:     global_buffer
      - .actual_access:  write_only
        .address_space:  global
        .offset:         56
        .size:           8
        .value_kind:     global_buffer
      - .offset:         64
        .size:           4
        .value_kind:     hidden_block_count_x
      - .offset:         68
        .size:           4
        .value_kind:     hidden_block_count_y
      - .offset:         72
        .size:           4
        .value_kind:     hidden_block_count_z
      - .offset:         76
        .size:           2
        .value_kind:     hidden_group_size_x
      - .offset:         78
        .size:           2
        .value_kind:     hidden_group_size_y
      - .offset:         80
        .size:           2
        .value_kind:     hidden_group_size_z
      - .offset:         82
        .size:           2
        .value_kind:     hidden_remainder_x
      - .offset:         84
        .size:           2
        .value_kind:     hidden_remainder_y
      - .offset:         86
        .size:           2
        .value_kind:     hidden_remainder_z
      - .offset:         104
        .size:           8
        .value_kind:     hidden_global_offset_x
      - .offset:         112
        .size:           8
        .value_kind:     hidden_global_offset_y
      - .offset:         120
        .size:           8
        .value_kind:     hidden_global_offset_z
      - .offset:         128
        .size:           2
        .value_kind:     hidden_grid_dims
      - .offset:         184
        .size:           4
        .value_kind:     hidden_dynamic_lds_size
    .group_segment_fixed_size: 0
    .kernarg_segment_align: 8
    .kernarg_segment_size: 320
    .language:       OpenCL C
    .language_version:
      - 2
      - 0
    .max_flat_workgroup_size: 1024
    .name:           _ZN2at6native12_GLOBAL__N_135GammaBetaBackwardCUDAKernelTemplateIN3c108BFloat16EfLj32ELj32ELj256ELb0ELb1ELb0EEEvllPKT_S7_PKT0_SA_PS5_SB_
    .private_segment_fixed_size: 0
    .sgpr_count:     38
    .sgpr_spill_count: 0
    .symbol:         _ZN2at6native12_GLOBAL__N_135GammaBetaBackwardCUDAKernelTemplateIN3c108BFloat16EfLj32ELj32ELj256ELb0ELb1ELb0EEEvllPKT_S7_PKT0_SA_PS5_SB_.kd
    .uniform_work_group_size: 1
    .uses_dynamic_stack: false
    .vgpr_count:     55
    .vgpr_spill_count: 0
    .wavefront_size: 64
  - .agpr_count:     0
    .args:
      - .offset:         0
        .size:           8
        .value_kind:     by_value
      - .offset:         8
        .size:           8
        .value_kind:     by_value
      - .actual_access:  read_only
        .address_space:  global
        .offset:         16
        .size:           8
        .value_kind:     global_buffer
      - .actual_access:  read_only
        .address_space:  global
        .offset:         24
        .size:           8
        .value_kind:     global_buffer
      - .actual_access:  read_only
        .address_space:  global
        .offset:         32
        .size:           8
        .value_kind:     global_buffer
      - .actual_access:  read_only
        .address_space:  global
        .offset:         40
        .size:           8
        .value_kind:     global_buffer
      - .actual_access:  write_only
        .address_space:  global
        .offset:         48
        .size:           8
        .value_kind:     global_buffer
      - .actual_access:  write_only
        .address_space:  global
        .offset:         56
        .size:           8
        .value_kind:     global_buffer
      - .offset:         64
        .size:           4
        .value_kind:     hidden_block_count_x
      - .offset:         68
        .size:           4
        .value_kind:     hidden_block_count_y
      - .offset:         72
        .size:           4
        .value_kind:     hidden_block_count_z
      - .offset:         76
        .size:           2
        .value_kind:     hidden_group_size_x
      - .offset:         78
        .size:           2
        .value_kind:     hidden_group_size_y
      - .offset:         80
        .size:           2
        .value_kind:     hidden_group_size_z
      - .offset:         82
        .size:           2
        .value_kind:     hidden_remainder_x
      - .offset:         84
        .size:           2
        .value_kind:     hidden_remainder_y
      - .offset:         86
        .size:           2
        .value_kind:     hidden_remainder_z
      - .offset:         104
        .size:           8
        .value_kind:     hidden_global_offset_x
      - .offset:         112
        .size:           8
        .value_kind:     hidden_global_offset_y
      - .offset:         120
        .size:           8
        .value_kind:     hidden_global_offset_z
      - .offset:         128
        .size:           2
        .value_kind:     hidden_grid_dims
      - .offset:         184
        .size:           4
        .value_kind:     hidden_dynamic_lds_size
    .group_segment_fixed_size: 0
    .kernarg_segment_align: 8
    .kernarg_segment_size: 320
    .language:       OpenCL C
    .language_version:
      - 2
      - 0
    .max_flat_workgroup_size: 1024
    .name:           _ZN2at6native12_GLOBAL__N_135GammaBetaBackwardCUDAKernelTemplateIN3c108BFloat16EfLj32ELj32ELj256ELb0ELb0ELb0EEEvllPKT_S7_PKT0_SA_PS5_SB_
    .private_segment_fixed_size: 0
    .sgpr_count:     58
    .sgpr_spill_count: 0
    .symbol:         _ZN2at6native12_GLOBAL__N_135GammaBetaBackwardCUDAKernelTemplateIN3c108BFloat16EfLj32ELj32ELj256ELb0ELb0ELb0EEEvllPKT_S7_PKT0_SA_PS5_SB_.kd
    .uniform_work_group_size: 1
    .uses_dynamic_stack: false
    .vgpr_count:     105
    .vgpr_spill_count: 0
    .wavefront_size: 64
  - .agpr_count:     0
    .args:
      - .actual_access:  read_only
        .address_space:  global
        .offset:         0
        .size:           8
        .value_kind:     global_buffer
      - .actual_access:  read_only
        .address_space:  global
        .offset:         8
        .size:           8
        .value_kind:     global_buffer
      - .offset:         16
        .size:           8
        .value_kind:     by_value
      - .offset:         24
        .size:           8
        .value_kind:     by_value
      - .actual_access:  read_only
        .address_space:  global
        .offset:         32
        .size:           8
        .value_kind:     global_buffer
      - .actual_access:  read_only
        .address_space:  global
        .offset:         40
        .size:           8
        .value_kind:     global_buffer
      - .address_space:  global
        .offset:         48
        .size:           8
        .value_kind:     global_buffer
      - .address_space:  global
        .offset:         56
        .size:           8
        .value_kind:     global_buffer
      - .offset:         64
        .size:           4
        .value_kind:     hidden_block_count_x
      - .offset:         68
        .size:           4
        .value_kind:     hidden_block_count_y
      - .offset:         72
        .size:           4
        .value_kind:     hidden_block_count_z
      - .offset:         76
        .size:           2
        .value_kind:     hidden_group_size_x
      - .offset:         78
        .size:           2
        .value_kind:     hidden_group_size_y
      - .offset:         80
        .size:           2
        .value_kind:     hidden_group_size_z
      - .offset:         82
        .size:           2
        .value_kind:     hidden_remainder_x
      - .offset:         84
        .size:           2
        .value_kind:     hidden_remainder_y
      - .offset:         86
        .size:           2
        .value_kind:     hidden_remainder_z
      - .offset:         104
        .size:           8
        .value_kind:     hidden_global_offset_x
      - .offset:         112
        .size:           8
        .value_kind:     hidden_global_offset_y
      - .offset:         120
        .size:           8
        .value_kind:     hidden_global_offset_z
      - .offset:         128
        .size:           2
        .value_kind:     hidden_grid_dims
      - .offset:         184
        .size:           4
        .value_kind:     hidden_dynamic_lds_size
    .group_segment_fixed_size: 0
    .kernarg_segment_align: 8
    .kernarg_segment_size: 320
    .language:       OpenCL C
    .language_version:
      - 2
      - 0
    .max_flat_workgroup_size: 1024
    .name:           _ZN2at6native12_GLOBAL__N_118cuComputeGradInputIddLb1EEEvPKT_S5_llPKT0_S8_S5_PS3_
    .private_segment_fixed_size: 0
    .sgpr_count:     55
    .sgpr_spill_count: 0
    .symbol:         _ZN2at6native12_GLOBAL__N_118cuComputeGradInputIddLb1EEEvPKT_S5_llPKT0_S8_S5_PS3_.kd
    .uniform_work_group_size: 1
    .uses_dynamic_stack: false
    .vgpr_count:     34
    .vgpr_spill_count: 0
    .wavefront_size: 64
  - .agpr_count:     0
    .args:
      - .actual_access:  read_only
        .address_space:  global
        .offset:         0
        .size:           8
        .value_kind:     global_buffer
      - .actual_access:  read_only
        .address_space:  global
        .offset:         8
        .size:           8
        .value_kind:     global_buffer
      - .actual_access:  read_only
        .address_space:  global
        .offset:         16
        .size:           8
        .value_kind:     global_buffer
      - .actual_access:  read_only
        .address_space:  global
        .offset:         24
        .size:           8
        .value_kind:     global_buffer
      - .actual_access:  read_only
        .address_space:  global
        .offset:         32
        .size:           8
        .value_kind:     global_buffer
      - .address_space:  global
        .offset:         40
        .size:           8
        .value_kind:     global_buffer
      - .offset:         48
        .size:           4
        .value_kind:     by_value
      - .offset:         56
        .size:           4
        .value_kind:     hidden_block_count_x
      - .offset:         60
        .size:           4
        .value_kind:     hidden_block_count_y
      - .offset:         64
        .size:           4
        .value_kind:     hidden_block_count_z
      - .offset:         68
        .size:           2
        .value_kind:     hidden_group_size_x
      - .offset:         70
        .size:           2
        .value_kind:     hidden_group_size_y
      - .offset:         72
        .size:           2
        .value_kind:     hidden_group_size_z
      - .offset:         74
        .size:           2
        .value_kind:     hidden_remainder_x
      - .offset:         76
        .size:           2
        .value_kind:     hidden_remainder_y
      - .offset:         78
        .size:           2
        .value_kind:     hidden_remainder_z
      - .offset:         96
        .size:           8
        .value_kind:     hidden_global_offset_x
      - .offset:         104
        .size:           8
        .value_kind:     hidden_global_offset_y
      - .offset:         112
        .size:           8
        .value_kind:     hidden_global_offset_z
      - .offset:         120
        .size:           2
        .value_kind:     hidden_grid_dims
      - .offset:         176
        .size:           4
        .value_kind:     hidden_dynamic_lds_size
    .group_segment_fixed_size: 0
    .kernarg_segment_align: 8
    .kernarg_segment_size: 312
    .language:       OpenCL C
    .language_version:
      - 2
      - 0
    .max_flat_workgroup_size: 1024
    .name:           _ZN2at6native12_GLOBAL__N_128layer_norm_grad_input_kernelIddLb1EEEvPKT_S5_PKT0_S8_S5_PS3_i
    .private_segment_fixed_size: 0
    .sgpr_count:     34
    .sgpr_spill_count: 0
    .symbol:         _ZN2at6native12_GLOBAL__N_128layer_norm_grad_input_kernelIddLb1EEEvPKT_S5_PKT0_S8_S5_PS3_i.kd
    .uniform_work_group_size: 1
    .uses_dynamic_stack: false
    .vgpr_count:     34
    .vgpr_spill_count: 0
    .wavefront_size: 64
  - .agpr_count:     0
    .args:
      - .offset:         0
        .size:           8
        .value_kind:     by_value
      - .offset:         8
        .size:           8
        .value_kind:     by_value
      - .address_space:  global
        .offset:         16
        .size:           8
        .value_kind:     global_buffer
      - .address_space:  global
        .offset:         24
        .size:           8
        .value_kind:     global_buffer
      - .address_space:  global
        .offset:         32
        .size:           8
        .value_kind:     global_buffer
      - .address_space:  global
        .offset:         40
        .size:           8
        .value_kind:     global_buffer
      - .address_space:  global
        .offset:         48
        .size:           8
        .value_kind:     global_buffer
      - .address_space:  global
        .offset:         56
        .size:           8
        .value_kind:     global_buffer
      - .offset:         64
        .size:           4
        .value_kind:     hidden_block_count_x
      - .offset:         68
        .size:           4
        .value_kind:     hidden_block_count_y
      - .offset:         72
        .size:           4
        .value_kind:     hidden_block_count_z
      - .offset:         76
        .size:           2
        .value_kind:     hidden_group_size_x
      - .offset:         78
        .size:           2
        .value_kind:     hidden_group_size_y
      - .offset:         80
        .size:           2
        .value_kind:     hidden_group_size_z
      - .offset:         82
        .size:           2
        .value_kind:     hidden_remainder_x
      - .offset:         84
        .size:           2
        .value_kind:     hidden_remainder_y
      - .offset:         86
        .size:           2
        .value_kind:     hidden_remainder_z
      - .offset:         104
        .size:           8
        .value_kind:     hidden_global_offset_x
      - .offset:         112
        .size:           8
        .value_kind:     hidden_global_offset_y
      - .offset:         120
        .size:           8
        .value_kind:     hidden_global_offset_z
      - .offset:         128
        .size:           2
        .value_kind:     hidden_grid_dims
    .group_segment_fixed_size: 0
    .kernarg_segment_align: 8
    .kernarg_segment_size: 320
    .language:       OpenCL C
    .language_version:
      - 2
      - 0
    .max_flat_workgroup_size: 1024
    .name:           _ZN2at6native12_GLOBAL__N_133GammaBetaBackwardSimpleCUDAKernelIddLb1EEEvllPKT_S5_PKT0_S8_PS3_S9_
    .private_segment_fixed_size: 0
    .sgpr_count:     22
    .sgpr_spill_count: 0
    .symbol:         _ZN2at6native12_GLOBAL__N_133GammaBetaBackwardSimpleCUDAKernelIddLb1EEEvllPKT_S5_PKT0_S8_PS3_S9_.kd
    .uniform_work_group_size: 1
    .uses_dynamic_stack: false
    .vgpr_count:     10
    .vgpr_spill_count: 0
    .wavefront_size: 64
  - .agpr_count:     0
    .args:
      - .offset:         0
        .size:           8
        .value_kind:     by_value
      - .offset:         8
        .size:           8
        .value_kind:     by_value
      - .actual_access:  read_only
        .address_space:  global
        .offset:         16
        .size:           8
        .value_kind:     global_buffer
      - .actual_access:  read_only
        .address_space:  global
        .offset:         24
        .size:           8
        .value_kind:     global_buffer
      - .actual_access:  read_only
        .address_space:  global
        .offset:         32
        .size:           8
        .value_kind:     global_buffer
      - .actual_access:  read_only
        .address_space:  global
        .offset:         40
        .size:           8
        .value_kind:     global_buffer
      - .actual_access:  write_only
        .address_space:  global
        .offset:         48
        .size:           8
        .value_kind:     global_buffer
      - .actual_access:  read_only
        .address_space:  global
        .offset:         56
        .size:           8
        .value_kind:     global_buffer
      - .offset:         64
        .size:           4
        .value_kind:     hidden_block_count_x
      - .offset:         68
        .size:           4
        .value_kind:     hidden_block_count_y
      - .offset:         72
        .size:           4
        .value_kind:     hidden_block_count_z
      - .offset:         76
        .size:           2
        .value_kind:     hidden_group_size_x
      - .offset:         78
        .size:           2
        .value_kind:     hidden_group_size_y
      - .offset:         80
        .size:           2
        .value_kind:     hidden_group_size_z
      - .offset:         82
        .size:           2
        .value_kind:     hidden_remainder_x
      - .offset:         84
        .size:           2
        .value_kind:     hidden_remainder_y
      - .offset:         86
        .size:           2
        .value_kind:     hidden_remainder_z
      - .offset:         104
        .size:           8
        .value_kind:     hidden_global_offset_x
      - .offset:         112
        .size:           8
        .value_kind:     hidden_global_offset_y
      - .offset:         120
        .size:           8
        .value_kind:     hidden_global_offset_z
      - .offset:         128
        .size:           2
        .value_kind:     hidden_grid_dims
    .group_segment_fixed_size: 0
    .kernarg_segment_align: 8
    .kernarg_segment_size: 320
    .language:       OpenCL C
    .language_version:
      - 2
      - 0
    .max_flat_workgroup_size: 64
    .name:           _ZN2at6native12_GLOBAL__N_135GammaBetaBackwardCUDAKernelTemplateIddLj64ELj1ELj32ELb1ELb1ELb1EEEvllPKT_S5_PKT0_S8_PS3_S9_
    .private_segment_fixed_size: 0
    .sgpr_count:     38
    .sgpr_spill_count: 0
    .symbol:         _ZN2at6native12_GLOBAL__N_135GammaBetaBackwardCUDAKernelTemplateIddLj64ELj1ELj32ELb1ELb1ELb1EEEvllPKT_S5_PKT0_S8_PS3_S9_.kd
    .uniform_work_group_size: 1
    .uses_dynamic_stack: false
    .vgpr_count:     62
    .vgpr_spill_count: 0
    .wavefront_size: 64
  - .agpr_count:     142
    .args:
      - .offset:         0
        .size:           8
        .value_kind:     by_value
      - .offset:         8
        .size:           8
        .value_kind:     by_value
      - .actual_access:  read_only
        .address_space:  global
        .offset:         16
        .size:           8
        .value_kind:     global_buffer
      - .actual_access:  read_only
        .address_space:  global
        .offset:         24
        .size:           8
        .value_kind:     global_buffer
      - .actual_access:  read_only
        .address_space:  global
        .offset:         32
        .size:           8
        .value_kind:     global_buffer
      - .actual_access:  read_only
        .address_space:  global
        .offset:         40
        .size:           8
        .value_kind:     global_buffer
      - .actual_access:  write_only
        .address_space:  global
        .offset:         48
        .size:           8
        .value_kind:     global_buffer
      - .actual_access:  read_only
        .address_space:  global
        .offset:         56
        .size:           8
        .value_kind:     global_buffer
      - .offset:         64
        .size:           4
        .value_kind:     hidden_block_count_x
      - .offset:         68
        .size:           4
        .value_kind:     hidden_block_count_y
      - .offset:         72
        .size:           4
        .value_kind:     hidden_block_count_z
      - .offset:         76
        .size:           2
        .value_kind:     hidden_group_size_x
      - .offset:         78
        .size:           2
        .value_kind:     hidden_group_size_y
      - .offset:         80
        .size:           2
        .value_kind:     hidden_group_size_z
      - .offset:         82
        .size:           2
        .value_kind:     hidden_remainder_x
      - .offset:         84
        .size:           2
        .value_kind:     hidden_remainder_y
      - .offset:         86
        .size:           2
        .value_kind:     hidden_remainder_z
      - .offset:         104
        .size:           8
        .value_kind:     hidden_global_offset_x
      - .offset:         112
        .size:           8
        .value_kind:     hidden_global_offset_y
      - .offset:         120
        .size:           8
        .value_kind:     hidden_global_offset_z
      - .offset:         128
        .size:           2
        .value_kind:     hidden_grid_dims
    .group_segment_fixed_size: 0
    .kernarg_segment_align: 8
    .kernarg_segment_size: 320
    .language:       OpenCL C
    .language_version:
      - 2
      - 0
    .max_flat_workgroup_size: 64
    .name:           _ZN2at6native12_GLOBAL__N_135GammaBetaBackwardCUDAKernelTemplateIddLj64ELj1ELj32ELb1ELb0ELb1EEEvllPKT_S5_PKT0_S8_PS3_S9_
    .private_segment_fixed_size: 0
    .sgpr_count:     44
    .sgpr_spill_count: 0
    .symbol:         _ZN2at6native12_GLOBAL__N_135GammaBetaBackwardCUDAKernelTemplateIddLj64ELj1ELj32ELb1ELb0ELb1EEEvllPKT_S5_PKT0_S8_PS3_S9_.kd
    .uniform_work_group_size: 1
    .uses_dynamic_stack: false
    .vgpr_count:     398
    .vgpr_spill_count: 0
    .wavefront_size: 64
  - .agpr_count:     0
    .args:
      - .offset:         0
        .size:           8
        .value_kind:     by_value
      - .offset:         8
        .size:           8
        .value_kind:     by_value
      - .actual_access:  read_only
        .address_space:  global
        .offset:         16
        .size:           8
        .value_kind:     global_buffer
      - .actual_access:  read_only
        .address_space:  global
        .offset:         24
        .size:           8
        .value_kind:     global_buffer
      - .actual_access:  read_only
        .address_space:  global
        .offset:         32
        .size:           8
        .value_kind:     global_buffer
      - .actual_access:  read_only
        .address_space:  global
        .offset:         40
        .size:           8
        .value_kind:     global_buffer
      - .actual_access:  write_only
        .address_space:  global
        .offset:         48
        .size:           8
        .value_kind:     global_buffer
      - .actual_access:  read_only
        .address_space:  global
        .offset:         56
        .size:           8
        .value_kind:     global_buffer
      - .offset:         64
        .size:           4
        .value_kind:     hidden_block_count_x
      - .offset:         68
        .size:           4
        .value_kind:     hidden_block_count_y
      - .offset:         72
        .size:           4
        .value_kind:     hidden_block_count_z
      - .offset:         76
        .size:           2
        .value_kind:     hidden_group_size_x
      - .offset:         78
        .size:           2
        .value_kind:     hidden_group_size_y
      - .offset:         80
        .size:           2
        .value_kind:     hidden_group_size_z
      - .offset:         82
        .size:           2
        .value_kind:     hidden_remainder_x
      - .offset:         84
        .size:           2
        .value_kind:     hidden_remainder_y
      - .offset:         86
        .size:           2
        .value_kind:     hidden_remainder_z
      - .offset:         104
        .size:           8
        .value_kind:     hidden_global_offset_x
      - .offset:         112
        .size:           8
        .value_kind:     hidden_global_offset_y
      - .offset:         120
        .size:           8
        .value_kind:     hidden_global_offset_z
      - .offset:         128
        .size:           2
        .value_kind:     hidden_grid_dims
    .group_segment_fixed_size: 0
    .kernarg_segment_align: 8
    .kernarg_segment_size: 320
    .language:       OpenCL C
    .language_version:
      - 2
      - 0
    .max_flat_workgroup_size: 64
    .name:           _ZN2at6native12_GLOBAL__N_135GammaBetaBackwardCUDAKernelTemplateIddLj64ELj1ELj8ELb1ELb1ELb1EEEvllPKT_S5_PKT0_S8_PS3_S9_
    .private_segment_fixed_size: 0
    .sgpr_count:     38
    .sgpr_spill_count: 0
    .symbol:         _ZN2at6native12_GLOBAL__N_135GammaBetaBackwardCUDAKernelTemplateIddLj64ELj1ELj8ELb1ELb1ELb1EEEvllPKT_S5_PKT0_S8_PS3_S9_.kd
    .uniform_work_group_size: 1
    .uses_dynamic_stack: false
    .vgpr_count:     62
    .vgpr_spill_count: 0
    .wavefront_size: 64
  - .agpr_count:     0
    .args:
      - .offset:         0
        .size:           8
        .value_kind:     by_value
      - .offset:         8
        .size:           8
        .value_kind:     by_value
      - .actual_access:  read_only
        .address_space:  global
        .offset:         16
        .size:           8
        .value_kind:     global_buffer
      - .actual_access:  read_only
        .address_space:  global
        .offset:         24
        .size:           8
        .value_kind:     global_buffer
      - .actual_access:  read_only
        .address_space:  global
        .offset:         32
        .size:           8
        .value_kind:     global_buffer
      - .actual_access:  read_only
        .address_space:  global
        .offset:         40
        .size:           8
        .value_kind:     global_buffer
      - .actual_access:  write_only
        .address_space:  global
        .offset:         48
        .size:           8
        .value_kind:     global_buffer
      - .actual_access:  read_only
        .address_space:  global
        .offset:         56
        .size:           8
        .value_kind:     global_buffer
      - .offset:         64
        .size:           4
        .value_kind:     hidden_block_count_x
      - .offset:         68
        .size:           4
        .value_kind:     hidden_block_count_y
      - .offset:         72
        .size:           4
        .value_kind:     hidden_block_count_z
      - .offset:         76
        .size:           2
        .value_kind:     hidden_group_size_x
      - .offset:         78
        .size:           2
        .value_kind:     hidden_group_size_y
      - .offset:         80
        .size:           2
        .value_kind:     hidden_group_size_z
      - .offset:         82
        .size:           2
        .value_kind:     hidden_remainder_x
      - .offset:         84
        .size:           2
        .value_kind:     hidden_remainder_y
      - .offset:         86
        .size:           2
        .value_kind:     hidden_remainder_z
      - .offset:         104
        .size:           8
        .value_kind:     hidden_global_offset_x
      - .offset:         112
        .size:           8
        .value_kind:     hidden_global_offset_y
      - .offset:         120
        .size:           8
        .value_kind:     hidden_global_offset_z
      - .offset:         128
        .size:           2
        .value_kind:     hidden_grid_dims
    .group_segment_fixed_size: 0
    .kernarg_segment_align: 8
    .kernarg_segment_size: 320
    .language:       OpenCL C
    .language_version:
      - 2
      - 0
    .max_flat_workgroup_size: 64
    .name:           _ZN2at6native12_GLOBAL__N_135GammaBetaBackwardCUDAKernelTemplateIddLj64ELj1ELj8ELb1ELb0ELb1EEEvllPKT_S5_PKT0_S8_PS3_S9_
    .private_segment_fixed_size: 0
    .sgpr_count:     44
    .sgpr_spill_count: 0
    .symbol:         _ZN2at6native12_GLOBAL__N_135GammaBetaBackwardCUDAKernelTemplateIddLj64ELj1ELj8ELb1ELb0ELb1EEEvllPKT_S5_PKT0_S8_PS3_S9_.kd
    .uniform_work_group_size: 1
    .uses_dynamic_stack: false
    .vgpr_count:     120
    .vgpr_spill_count: 0
    .wavefront_size: 64
  - .agpr_count:     0
    .args:
      - .offset:         0
        .size:           8
        .value_kind:     by_value
      - .offset:         8
        .size:           8
        .value_kind:     by_value
      - .actual_access:  read_only
        .address_space:  global
        .offset:         16
        .size:           8
        .value_kind:     global_buffer
      - .actual_access:  read_only
        .address_space:  global
        .offset:         24
        .size:           8
        .value_kind:     global_buffer
      - .actual_access:  read_only
        .address_space:  global
        .offset:         32
        .size:           8
        .value_kind:     global_buffer
      - .actual_access:  read_only
        .address_space:  global
        .offset:         40
        .size:           8
        .value_kind:     global_buffer
      - .actual_access:  write_only
        .address_space:  global
        .offset:         48
        .size:           8
        .value_kind:     global_buffer
      - .actual_access:  read_only
        .address_space:  global
        .offset:         56
        .size:           8
        .value_kind:     global_buffer
      - .offset:         64
        .size:           4
        .value_kind:     hidden_block_count_x
      - .offset:         68
        .size:           4
        .value_kind:     hidden_block_count_y
      - .offset:         72
        .size:           4
        .value_kind:     hidden_block_count_z
      - .offset:         76
        .size:           2
        .value_kind:     hidden_group_size_x
      - .offset:         78
        .size:           2
        .value_kind:     hidden_group_size_y
      - .offset:         80
        .size:           2
        .value_kind:     hidden_group_size_z
      - .offset:         82
        .size:           2
        .value_kind:     hidden_remainder_x
      - .offset:         84
        .size:           2
        .value_kind:     hidden_remainder_y
      - .offset:         86
        .size:           2
        .value_kind:     hidden_remainder_z
      - .offset:         104
        .size:           8
        .value_kind:     hidden_global_offset_x
      - .offset:         112
        .size:           8
        .value_kind:     hidden_global_offset_y
      - .offset:         120
        .size:           8
        .value_kind:     hidden_global_offset_z
      - .offset:         128
        .size:           2
        .value_kind:     hidden_grid_dims
      - .offset:         184
        .size:           4
        .value_kind:     hidden_dynamic_lds_size
    .group_segment_fixed_size: 0
    .kernarg_segment_align: 8
    .kernarg_segment_size: 320
    .language:       OpenCL C
    .language_version:
      - 2
      - 0
    .max_flat_workgroup_size: 512
    .name:           _ZN2at6native12_GLOBAL__N_135GammaBetaBackwardCUDAKernelTemplateIddLj64ELj8ELj64ELb0ELb1ELb1EEEvllPKT_S5_PKT0_S8_PS3_S9_
    .private_segment_fixed_size: 0
    .sgpr_count:     32
    .sgpr_spill_count: 0
    .symbol:         _ZN2at6native12_GLOBAL__N_135GammaBetaBackwardCUDAKernelTemplateIddLj64ELj8ELj64ELb0ELb1ELb1EEEvllPKT_S5_PKT0_S8_PS3_S9_.kd
    .uniform_work_group_size: 1
    .uses_dynamic_stack: false
    .vgpr_count:     58
    .vgpr_spill_count: 0
    .wavefront_size: 64
  - .agpr_count:     0
    .args:
      - .offset:         0
        .size:           8
        .value_kind:     by_value
      - .offset:         8
        .size:           8
        .value_kind:     by_value
      - .actual_access:  read_only
        .address_space:  global
        .offset:         16
        .size:           8
        .value_kind:     global_buffer
      - .actual_access:  read_only
        .address_space:  global
        .offset:         24
        .size:           8
        .value_kind:     global_buffer
      - .actual_access:  read_only
        .address_space:  global
        .offset:         32
        .size:           8
        .value_kind:     global_buffer
      - .actual_access:  read_only
        .address_space:  global
        .offset:         40
        .size:           8
        .value_kind:     global_buffer
      - .actual_access:  write_only
        .address_space:  global
        .offset:         48
        .size:           8
        .value_kind:     global_buffer
      - .actual_access:  read_only
        .address_space:  global
        .offset:         56
        .size:           8
        .value_kind:     global_buffer
      - .offset:         64
        .size:           4
        .value_kind:     hidden_block_count_x
      - .offset:         68
        .size:           4
        .value_kind:     hidden_block_count_y
      - .offset:         72
        .size:           4
        .value_kind:     hidden_block_count_z
      - .offset:         76
        .size:           2
        .value_kind:     hidden_group_size_x
      - .offset:         78
        .size:           2
        .value_kind:     hidden_group_size_y
      - .offset:         80
        .size:           2
        .value_kind:     hidden_group_size_z
      - .offset:         82
        .size:           2
        .value_kind:     hidden_remainder_x
      - .offset:         84
        .size:           2
        .value_kind:     hidden_remainder_y
      - .offset:         86
        .size:           2
        .value_kind:     hidden_remainder_z
      - .offset:         104
        .size:           8
        .value_kind:     hidden_global_offset_x
      - .offset:         112
        .size:           8
        .value_kind:     hidden_global_offset_y
      - .offset:         120
        .size:           8
        .value_kind:     hidden_global_offset_z
      - .offset:         128
        .size:           2
        .value_kind:     hidden_grid_dims
      - .offset:         184
        .size:           4
        .value_kind:     hidden_dynamic_lds_size
    .group_segment_fixed_size: 0
    .kernarg_segment_align: 8
    .kernarg_segment_size: 320
    .language:       OpenCL C
    .language_version:
      - 2
      - 0
    .max_flat_workgroup_size: 512
    .name:           _ZN2at6native12_GLOBAL__N_135GammaBetaBackwardCUDAKernelTemplateIddLj64ELj8ELj64ELb0ELb0ELb1EEEvllPKT_S5_PKT0_S8_PS3_S9_
    .private_segment_fixed_size: 0
    .sgpr_count:     56
    .sgpr_spill_count: 0
    .symbol:         _ZN2at6native12_GLOBAL__N_135GammaBetaBackwardCUDAKernelTemplateIddLj64ELj8ELj64ELb0ELb0ELb1EEEvllPKT_S5_PKT0_S8_PS3_S9_.kd
    .uniform_work_group_size: 1
    .uses_dynamic_stack: false
    .vgpr_count:     120
    .vgpr_spill_count: 0
    .wavefront_size: 64
  - .agpr_count:     0
    .args:
      - .offset:         0
        .size:           8
        .value_kind:     by_value
      - .offset:         8
        .size:           8
        .value_kind:     by_value
      - .actual_access:  read_only
        .address_space:  global
        .offset:         16
        .size:           8
        .value_kind:     global_buffer
      - .actual_access:  read_only
        .address_space:  global
        .offset:         24
        .size:           8
        .value_kind:     global_buffer
      - .actual_access:  read_only
        .address_space:  global
        .offset:         32
        .size:           8
        .value_kind:     global_buffer
      - .actual_access:  read_only
        .address_space:  global
        .offset:         40
        .size:           8
        .value_kind:     global_buffer
      - .actual_access:  write_only
        .address_space:  global
        .offset:         48
        .size:           8
        .value_kind:     global_buffer
      - .actual_access:  read_only
        .address_space:  global
        .offset:         56
        .size:           8
        .value_kind:     global_buffer
      - .offset:         64
        .size:           4
        .value_kind:     hidden_block_count_x
      - .offset:         68
        .size:           4
        .value_kind:     hidden_block_count_y
      - .offset:         72
        .size:           4
        .value_kind:     hidden_block_count_z
      - .offset:         76
        .size:           2
        .value_kind:     hidden_group_size_x
      - .offset:         78
        .size:           2
        .value_kind:     hidden_group_size_y
      - .offset:         80
        .size:           2
        .value_kind:     hidden_group_size_z
      - .offset:         82
        .size:           2
        .value_kind:     hidden_remainder_x
      - .offset:         84
        .size:           2
        .value_kind:     hidden_remainder_y
      - .offset:         86
        .size:           2
        .value_kind:     hidden_remainder_z
      - .offset:         104
        .size:           8
        .value_kind:     hidden_global_offset_x
      - .offset:         112
        .size:           8
        .value_kind:     hidden_global_offset_y
      - .offset:         120
        .size:           8
        .value_kind:     hidden_global_offset_z
      - .offset:         128
        .size:           2
        .value_kind:     hidden_grid_dims
      - .offset:         184
        .size:           4
        .value_kind:     hidden_dynamic_lds_size
    .group_segment_fixed_size: 0
    .kernarg_segment_align: 8
    .kernarg_segment_size: 320
    .language:       OpenCL C
    .language_version:
      - 2
      - 0
    .max_flat_workgroup_size: 1024
    .name:           _ZN2at6native12_GLOBAL__N_135GammaBetaBackwardCUDAKernelTemplateIddLj64ELj16ELj128ELb0ELb1ELb1EEEvllPKT_S5_PKT0_S8_PS3_S9_
    .private_segment_fixed_size: 0
    .sgpr_count:     32
    .sgpr_spill_count: 0
    .symbol:         _ZN2at6native12_GLOBAL__N_135GammaBetaBackwardCUDAKernelTemplateIddLj64ELj16ELj128ELb0ELb1ELb1EEEvllPKT_S5_PKT0_S8_PS3_S9_.kd
    .uniform_work_group_size: 1
    .uses_dynamic_stack: false
    .vgpr_count:     58
    .vgpr_spill_count: 0
    .wavefront_size: 64
  - .agpr_count:     0
    .args:
      - .offset:         0
        .size:           8
        .value_kind:     by_value
      - .offset:         8
        .size:           8
        .value_kind:     by_value
      - .actual_access:  read_only
        .address_space:  global
        .offset:         16
        .size:           8
        .value_kind:     global_buffer
      - .actual_access:  read_only
        .address_space:  global
        .offset:         24
        .size:           8
        .value_kind:     global_buffer
      - .actual_access:  read_only
        .address_space:  global
        .offset:         32
        .size:           8
        .value_kind:     global_buffer
      - .actual_access:  read_only
        .address_space:  global
        .offset:         40
        .size:           8
        .value_kind:     global_buffer
      - .actual_access:  write_only
        .address_space:  global
        .offset:         48
        .size:           8
        .value_kind:     global_buffer
      - .actual_access:  read_only
        .address_space:  global
        .offset:         56
        .size:           8
        .value_kind:     global_buffer
      - .offset:         64
        .size:           4
        .value_kind:     hidden_block_count_x
      - .offset:         68
        .size:           4
        .value_kind:     hidden_block_count_y
      - .offset:         72
        .size:           4
        .value_kind:     hidden_block_count_z
      - .offset:         76
        .size:           2
        .value_kind:     hidden_group_size_x
      - .offset:         78
        .size:           2
        .value_kind:     hidden_group_size_y
      - .offset:         80
        .size:           2
        .value_kind:     hidden_group_size_z
      - .offset:         82
        .size:           2
        .value_kind:     hidden_remainder_x
      - .offset:         84
        .size:           2
        .value_kind:     hidden_remainder_y
      - .offset:         86
        .size:           2
        .value_kind:     hidden_remainder_z
      - .offset:         104
        .size:           8
        .value_kind:     hidden_global_offset_x
      - .offset:         112
        .size:           8
        .value_kind:     hidden_global_offset_y
      - .offset:         120
        .size:           8
        .value_kind:     hidden_global_offset_z
      - .offset:         128
        .size:           2
        .value_kind:     hidden_grid_dims
      - .offset:         184
        .size:           4
        .value_kind:     hidden_dynamic_lds_size
    .group_segment_fixed_size: 0
    .kernarg_segment_align: 8
    .kernarg_segment_size: 320
    .language:       OpenCL C
    .language_version:
      - 2
      - 0
    .max_flat_workgroup_size: 1024
    .name:           _ZN2at6native12_GLOBAL__N_135GammaBetaBackwardCUDAKernelTemplateIddLj64ELj16ELj128ELb0ELb0ELb1EEEvllPKT_S5_PKT0_S8_PS3_S9_
    .private_segment_fixed_size: 0
    .sgpr_count:     56
    .sgpr_spill_count: 0
    .symbol:         _ZN2at6native12_GLOBAL__N_135GammaBetaBackwardCUDAKernelTemplateIddLj64ELj16ELj128ELb0ELb0ELb1EEEvllPKT_S5_PKT0_S8_PS3_S9_.kd
    .uniform_work_group_size: 1
    .uses_dynamic_stack: false
    .vgpr_count:     120
    .vgpr_spill_count: 0
    .wavefront_size: 64
  - .agpr_count:     0
    .args:
      - .offset:         0
        .size:           8
        .value_kind:     by_value
      - .offset:         8
        .size:           8
        .value_kind:     by_value
      - .actual_access:  read_only
        .address_space:  global
        .offset:         16
        .size:           8
        .value_kind:     global_buffer
      - .actual_access:  read_only
        .address_space:  global
        .offset:         24
        .size:           8
        .value_kind:     global_buffer
      - .actual_access:  read_only
        .address_space:  global
        .offset:         32
        .size:           8
        .value_kind:     global_buffer
      - .actual_access:  read_only
        .address_space:  global
        .offset:         40
        .size:           8
        .value_kind:     global_buffer
      - .actual_access:  write_only
        .address_space:  global
        .offset:         48
        .size:           8
        .value_kind:     global_buffer
      - .actual_access:  read_only
        .address_space:  global
        .offset:         56
        .size:           8
        .value_kind:     global_buffer
      - .offset:         64
        .size:           4
        .value_kind:     hidden_block_count_x
      - .offset:         68
        .size:           4
        .value_kind:     hidden_block_count_y
      - .offset:         72
        .size:           4
        .value_kind:     hidden_block_count_z
      - .offset:         76
        .size:           2
        .value_kind:     hidden_group_size_x
      - .offset:         78
        .size:           2
        .value_kind:     hidden_group_size_y
      - .offset:         80
        .size:           2
        .value_kind:     hidden_group_size_z
      - .offset:         82
        .size:           2
        .value_kind:     hidden_remainder_x
      - .offset:         84
        .size:           2
        .value_kind:     hidden_remainder_y
      - .offset:         86
        .size:           2
        .value_kind:     hidden_remainder_z
      - .offset:         104
        .size:           8
        .value_kind:     hidden_global_offset_x
      - .offset:         112
        .size:           8
        .value_kind:     hidden_global_offset_y
      - .offset:         120
        .size:           8
        .value_kind:     hidden_global_offset_z
      - .offset:         128
        .size:           2
        .value_kind:     hidden_grid_dims
      - .offset:         184
        .size:           4
        .value_kind:     hidden_dynamic_lds_size
    .group_segment_fixed_size: 0
    .kernarg_segment_align: 8
    .kernarg_segment_size: 320
    .language:       OpenCL C
    .language_version:
      - 2
      - 0
    .max_flat_workgroup_size: 1024
    .name:           _ZN2at6native12_GLOBAL__N_135GammaBetaBackwardCUDAKernelTemplateIddLj64ELj16ELj256ELb0ELb1ELb1EEEvllPKT_S5_PKT0_S8_PS3_S9_
    .private_segment_fixed_size: 0
    .sgpr_count:     32
    .sgpr_spill_count: 0
    .symbol:         _ZN2at6native12_GLOBAL__N_135GammaBetaBackwardCUDAKernelTemplateIddLj64ELj16ELj256ELb0ELb1ELb1EEEvllPKT_S5_PKT0_S8_PS3_S9_.kd
    .uniform_work_group_size: 1
    .uses_dynamic_stack: false
    .vgpr_count:     56
    .vgpr_spill_count: 0
    .wavefront_size: 64
  - .agpr_count:     0
    .args:
      - .offset:         0
        .size:           8
        .value_kind:     by_value
      - .offset:         8
        .size:           8
        .value_kind:     by_value
      - .actual_access:  read_only
        .address_space:  global
        .offset:         16
        .size:           8
        .value_kind:     global_buffer
      - .actual_access:  read_only
        .address_space:  global
        .offset:         24
        .size:           8
        .value_kind:     global_buffer
      - .actual_access:  read_only
        .address_space:  global
        .offset:         32
        .size:           8
        .value_kind:     global_buffer
      - .actual_access:  read_only
        .address_space:  global
        .offset:         40
        .size:           8
        .value_kind:     global_buffer
      - .actual_access:  write_only
        .address_space:  global
        .offset:         48
        .size:           8
        .value_kind:     global_buffer
      - .actual_access:  read_only
        .address_space:  global
        .offset:         56
        .size:           8
        .value_kind:     global_buffer
      - .offset:         64
        .size:           4
        .value_kind:     hidden_block_count_x
      - .offset:         68
        .size:           4
        .value_kind:     hidden_block_count_y
      - .offset:         72
        .size:           4
        .value_kind:     hidden_block_count_z
      - .offset:         76
        .size:           2
        .value_kind:     hidden_group_size_x
      - .offset:         78
        .size:           2
        .value_kind:     hidden_group_size_y
      - .offset:         80
        .size:           2
        .value_kind:     hidden_group_size_z
      - .offset:         82
        .size:           2
        .value_kind:     hidden_remainder_x
      - .offset:         84
        .size:           2
        .value_kind:     hidden_remainder_y
      - .offset:         86
        .size:           2
        .value_kind:     hidden_remainder_z
      - .offset:         104
        .size:           8
        .value_kind:     hidden_global_offset_x
      - .offset:         112
        .size:           8
        .value_kind:     hidden_global_offset_y
      - .offset:         120
        .size:           8
        .value_kind:     hidden_global_offset_z
      - .offset:         128
        .size:           2
        .value_kind:     hidden_grid_dims
      - .offset:         184
        .size:           4
        .value_kind:     hidden_dynamic_lds_size
    .group_segment_fixed_size: 0
    .kernarg_segment_align: 8
    .kernarg_segment_size: 320
    .language:       OpenCL C
    .language_version:
      - 2
      - 0
    .max_flat_workgroup_size: 1024
    .name:           _ZN2at6native12_GLOBAL__N_135GammaBetaBackwardCUDAKernelTemplateIddLj64ELj16ELj256ELb0ELb0ELb1EEEvllPKT_S5_PKT0_S8_PS3_S9_
    .private_segment_fixed_size: 316
    .sgpr_count:     72
    .sgpr_spill_count: 0
    .symbol:         _ZN2at6native12_GLOBAL__N_135GammaBetaBackwardCUDAKernelTemplateIddLj64ELj16ELj256ELb0ELb0ELb1EEEvllPKT_S5_PKT0_S8_PS3_S9_.kd
    .uniform_work_group_size: 1
    .uses_dynamic_stack: false
    .vgpr_count:     128
    .vgpr_spill_count: 194
    .wavefront_size: 64
  - .agpr_count:     0
    .args:
      - .offset:         0
        .size:           8
        .value_kind:     by_value
      - .offset:         8
        .size:           8
        .value_kind:     by_value
      - .actual_access:  read_only
        .address_space:  global
        .offset:         16
        .size:           8
        .value_kind:     global_buffer
      - .actual_access:  read_only
        .address_space:  global
        .offset:         24
        .size:           8
        .value_kind:     global_buffer
      - .actual_access:  read_only
        .address_space:  global
        .offset:         32
        .size:           8
        .value_kind:     global_buffer
      - .actual_access:  read_only
        .address_space:  global
        .offset:         40
        .size:           8
        .value_kind:     global_buffer
      - .actual_access:  write_only
        .address_space:  global
        .offset:         48
        .size:           8
        .value_kind:     global_buffer
      - .actual_access:  read_only
        .address_space:  global
        .offset:         56
        .size:           8
        .value_kind:     global_buffer
      - .offset:         64
        .size:           4
        .value_kind:     hidden_block_count_x
      - .offset:         68
        .size:           4
        .value_kind:     hidden_block_count_y
      - .offset:         72
        .size:           4
        .value_kind:     hidden_block_count_z
      - .offset:         76
        .size:           2
        .value_kind:     hidden_group_size_x
      - .offset:         78
        .size:           2
        .value_kind:     hidden_group_size_y
      - .offset:         80
        .size:           2
        .value_kind:     hidden_group_size_z
      - .offset:         82
        .size:           2
        .value_kind:     hidden_remainder_x
      - .offset:         84
        .size:           2
        .value_kind:     hidden_remainder_y
      - .offset:         86
        .size:           2
        .value_kind:     hidden_remainder_z
      - .offset:         104
        .size:           8
        .value_kind:     hidden_global_offset_x
      - .offset:         112
        .size:           8
        .value_kind:     hidden_global_offset_y
      - .offset:         120
        .size:           8
        .value_kind:     hidden_global_offset_z
      - .offset:         128
        .size:           2
        .value_kind:     hidden_grid_dims
    .group_segment_fixed_size: 0
    .kernarg_segment_align: 8
    .kernarg_segment_size: 320
    .language:       OpenCL C
    .language_version:
      - 2
      - 0
    .max_flat_workgroup_size: 32
    .name:           _ZN2at6native12_GLOBAL__N_135GammaBetaBackwardCUDAKernelTemplateIddLj32ELj1ELj32ELb1ELb1ELb1EEEvllPKT_S5_PKT0_S8_PS3_S9_
    .private_segment_fixed_size: 0
    .sgpr_count:     38
    .sgpr_spill_count: 0
    .symbol:         _ZN2at6native12_GLOBAL__N_135GammaBetaBackwardCUDAKernelTemplateIddLj32ELj1ELj32ELb1ELb1ELb1EEEvllPKT_S5_PKT0_S8_PS3_S9_.kd
    .uniform_work_group_size: 1
    .uses_dynamic_stack: false
    .vgpr_count:     62
    .vgpr_spill_count: 0
    .wavefront_size: 64
  - .agpr_count:     142
    .args:
      - .offset:         0
        .size:           8
        .value_kind:     by_value
      - .offset:         8
        .size:           8
        .value_kind:     by_value
      - .actual_access:  read_only
        .address_space:  global
        .offset:         16
        .size:           8
        .value_kind:     global_buffer
      - .actual_access:  read_only
        .address_space:  global
        .offset:         24
        .size:           8
        .value_kind:     global_buffer
      - .actual_access:  read_only
        .address_space:  global
        .offset:         32
        .size:           8
        .value_kind:     global_buffer
      - .actual_access:  read_only
        .address_space:  global
        .offset:         40
        .size:           8
        .value_kind:     global_buffer
      - .actual_access:  write_only
        .address_space:  global
        .offset:         48
        .size:           8
        .value_kind:     global_buffer
      - .actual_access:  read_only
        .address_space:  global
        .offset:         56
        .size:           8
        .value_kind:     global_buffer
      - .offset:         64
        .size:           4
        .value_kind:     hidden_block_count_x
      - .offset:         68
        .size:           4
        .value_kind:     hidden_block_count_y
      - .offset:         72
        .size:           4
        .value_kind:     hidden_block_count_z
      - .offset:         76
        .size:           2
        .value_kind:     hidden_group_size_x
      - .offset:         78
        .size:           2
        .value_kind:     hidden_group_size_y
      - .offset:         80
        .size:           2
        .value_kind:     hidden_group_size_z
      - .offset:         82
        .size:           2
        .value_kind:     hidden_remainder_x
      - .offset:         84
        .size:           2
        .value_kind:     hidden_remainder_y
      - .offset:         86
        .size:           2
        .value_kind:     hidden_remainder_z
      - .offset:         104
        .size:           8
        .value_kind:     hidden_global_offset_x
      - .offset:         112
        .size:           8
        .value_kind:     hidden_global_offset_y
      - .offset:         120
        .size:           8
        .value_kind:     hidden_global_offset_z
      - .offset:         128
        .size:           2
        .value_kind:     hidden_grid_dims
    .group_segment_fixed_size: 0
    .kernarg_segment_align: 8
    .kernarg_segment_size: 320
    .language:       OpenCL C
    .language_version:
      - 2
      - 0
    .max_flat_workgroup_size: 32
    .name:           _ZN2at6native12_GLOBAL__N_135GammaBetaBackwardCUDAKernelTemplateIddLj32ELj1ELj32ELb1ELb0ELb1EEEvllPKT_S5_PKT0_S8_PS3_S9_
    .private_segment_fixed_size: 0
    .sgpr_count:     44
    .sgpr_spill_count: 0
    .symbol:         _ZN2at6native12_GLOBAL__N_135GammaBetaBackwardCUDAKernelTemplateIddLj32ELj1ELj32ELb1ELb0ELb1EEEvllPKT_S5_PKT0_S8_PS3_S9_.kd
    .uniform_work_group_size: 1
    .uses_dynamic_stack: false
    .vgpr_count:     398
    .vgpr_spill_count: 0
    .wavefront_size: 64
  - .agpr_count:     0
    .args:
      - .offset:         0
        .size:           8
        .value_kind:     by_value
      - .offset:         8
        .size:           8
        .value_kind:     by_value
      - .actual_access:  read_only
        .address_space:  global
        .offset:         16
        .size:           8
        .value_kind:     global_buffer
      - .actual_access:  read_only
        .address_space:  global
        .offset:         24
        .size:           8
        .value_kind:     global_buffer
      - .actual_access:  read_only
        .address_space:  global
        .offset:         32
        .size:           8
        .value_kind:     global_buffer
      - .actual_access:  read_only
        .address_space:  global
        .offset:         40
        .size:           8
        .value_kind:     global_buffer
      - .actual_access:  write_only
        .address_space:  global
        .offset:         48
        .size:           8
        .value_kind:     global_buffer
      - .actual_access:  read_only
        .address_space:  global
        .offset:         56
        .size:           8
        .value_kind:     global_buffer
      - .offset:         64
        .size:           4
        .value_kind:     hidden_block_count_x
      - .offset:         68
        .size:           4
        .value_kind:     hidden_block_count_y
      - .offset:         72
        .size:           4
        .value_kind:     hidden_block_count_z
      - .offset:         76
        .size:           2
        .value_kind:     hidden_group_size_x
      - .offset:         78
        .size:           2
        .value_kind:     hidden_group_size_y
      - .offset:         80
        .size:           2
        .value_kind:     hidden_group_size_z
      - .offset:         82
        .size:           2
        .value_kind:     hidden_remainder_x
      - .offset:         84
        .size:           2
        .value_kind:     hidden_remainder_y
      - .offset:         86
        .size:           2
        .value_kind:     hidden_remainder_z
      - .offset:         104
        .size:           8
        .value_kind:     hidden_global_offset_x
      - .offset:         112
        .size:           8
        .value_kind:     hidden_global_offset_y
      - .offset:         120
        .size:           8
        .value_kind:     hidden_global_offset_z
      - .offset:         128
        .size:           2
        .value_kind:     hidden_grid_dims
    .group_segment_fixed_size: 0
    .kernarg_segment_align: 8
    .kernarg_segment_size: 320
    .language:       OpenCL C
    .language_version:
      - 2
      - 0
    .max_flat_workgroup_size: 32
    .name:           _ZN2at6native12_GLOBAL__N_135GammaBetaBackwardCUDAKernelTemplateIddLj32ELj1ELj8ELb1ELb1ELb1EEEvllPKT_S5_PKT0_S8_PS3_S9_
    .private_segment_fixed_size: 0
    .sgpr_count:     38
    .sgpr_spill_count: 0
    .symbol:         _ZN2at6native12_GLOBAL__N_135GammaBetaBackwardCUDAKernelTemplateIddLj32ELj1ELj8ELb1ELb1ELb1EEEvllPKT_S5_PKT0_S8_PS3_S9_.kd
    .uniform_work_group_size: 1
    .uses_dynamic_stack: false
    .vgpr_count:     62
    .vgpr_spill_count: 0
    .wavefront_size: 64
  - .agpr_count:     0
    .args:
      - .offset:         0
        .size:           8
        .value_kind:     by_value
      - .offset:         8
        .size:           8
        .value_kind:     by_value
      - .actual_access:  read_only
        .address_space:  global
        .offset:         16
        .size:           8
        .value_kind:     global_buffer
      - .actual_access:  read_only
        .address_space:  global
        .offset:         24
        .size:           8
        .value_kind:     global_buffer
      - .actual_access:  read_only
        .address_space:  global
        .offset:         32
        .size:           8
        .value_kind:     global_buffer
      - .actual_access:  read_only
        .address_space:  global
        .offset:         40
        .size:           8
        .value_kind:     global_buffer
      - .actual_access:  write_only
        .address_space:  global
        .offset:         48
        .size:           8
        .value_kind:     global_buffer
      - .actual_access:  read_only
        .address_space:  global
        .offset:         56
        .size:           8
        .value_kind:     global_buffer
      - .offset:         64
        .size:           4
        .value_kind:     hidden_block_count_x
      - .offset:         68
        .size:           4
        .value_kind:     hidden_block_count_y
      - .offset:         72
        .size:           4
        .value_kind:     hidden_block_count_z
      - .offset:         76
        .size:           2
        .value_kind:     hidden_group_size_x
      - .offset:         78
        .size:           2
        .value_kind:     hidden_group_size_y
      - .offset:         80
        .size:           2
        .value_kind:     hidden_group_size_z
      - .offset:         82
        .size:           2
        .value_kind:     hidden_remainder_x
      - .offset:         84
        .size:           2
        .value_kind:     hidden_remainder_y
      - .offset:         86
        .size:           2
        .value_kind:     hidden_remainder_z
      - .offset:         104
        .size:           8
        .value_kind:     hidden_global_offset_x
      - .offset:         112
        .size:           8
        .value_kind:     hidden_global_offset_y
      - .offset:         120
        .size:           8
        .value_kind:     hidden_global_offset_z
      - .offset:         128
        .size:           2
        .value_kind:     hidden_grid_dims
    .group_segment_fixed_size: 0
    .kernarg_segment_align: 8
    .kernarg_segment_size: 320
    .language:       OpenCL C
    .language_version:
      - 2
      - 0
    .max_flat_workgroup_size: 32
    .name:           _ZN2at6native12_GLOBAL__N_135GammaBetaBackwardCUDAKernelTemplateIddLj32ELj1ELj8ELb1ELb0ELb1EEEvllPKT_S5_PKT0_S8_PS3_S9_
    .private_segment_fixed_size: 0
    .sgpr_count:     44
    .sgpr_spill_count: 0
    .symbol:         _ZN2at6native12_GLOBAL__N_135GammaBetaBackwardCUDAKernelTemplateIddLj32ELj1ELj8ELb1ELb0ELb1EEEvllPKT_S5_PKT0_S8_PS3_S9_.kd
    .uniform_work_group_size: 1
    .uses_dynamic_stack: false
    .vgpr_count:     120
    .vgpr_spill_count: 0
    .wavefront_size: 64
  - .agpr_count:     0
    .args:
      - .offset:         0
        .size:           8
        .value_kind:     by_value
      - .offset:         8
        .size:           8
        .value_kind:     by_value
      - .actual_access:  read_only
        .address_space:  global
        .offset:         16
        .size:           8
        .value_kind:     global_buffer
      - .actual_access:  read_only
        .address_space:  global
        .offset:         24
        .size:           8
        .value_kind:     global_buffer
      - .actual_access:  read_only
        .address_space:  global
        .offset:         32
        .size:           8
        .value_kind:     global_buffer
      - .actual_access:  read_only
        .address_space:  global
        .offset:         40
        .size:           8
        .value_kind:     global_buffer
      - .actual_access:  write_only
        .address_space:  global
        .offset:         48
        .size:           8
        .value_kind:     global_buffer
      - .actual_access:  read_only
        .address_space:  global
        .offset:         56
        .size:           8
        .value_kind:     global_buffer
      - .offset:         64
        .size:           4
        .value_kind:     hidden_block_count_x
      - .offset:         68
        .size:           4
        .value_kind:     hidden_block_count_y
      - .offset:         72
        .size:           4
        .value_kind:     hidden_block_count_z
      - .offset:         76
        .size:           2
        .value_kind:     hidden_group_size_x
      - .offset:         78
        .size:           2
        .value_kind:     hidden_group_size_y
      - .offset:         80
        .size:           2
        .value_kind:     hidden_group_size_z
      - .offset:         82
        .size:           2
        .value_kind:     hidden_remainder_x
      - .offset:         84
        .size:           2
        .value_kind:     hidden_remainder_y
      - .offset:         86
        .size:           2
        .value_kind:     hidden_remainder_z
      - .offset:         104
        .size:           8
        .value_kind:     hidden_global_offset_x
      - .offset:         112
        .size:           8
        .value_kind:     hidden_global_offset_y
      - .offset:         120
        .size:           8
        .value_kind:     hidden_global_offset_z
      - .offset:         128
        .size:           2
        .value_kind:     hidden_grid_dims
      - .offset:         184
        .size:           4
        .value_kind:     hidden_dynamic_lds_size
    .group_segment_fixed_size: 0
    .kernarg_segment_align: 8
    .kernarg_segment_size: 320
    .language:       OpenCL C
    .language_version:
      - 2
      - 0
    .max_flat_workgroup_size: 256
    .name:           _ZN2at6native12_GLOBAL__N_135GammaBetaBackwardCUDAKernelTemplateIddLj32ELj8ELj64ELb0ELb1ELb1EEEvllPKT_S5_PKT0_S8_PS3_S9_
    .private_segment_fixed_size: 0
    .sgpr_count:     32
    .sgpr_spill_count: 0
    .symbol:         _ZN2at6native12_GLOBAL__N_135GammaBetaBackwardCUDAKernelTemplateIddLj32ELj8ELj64ELb0ELb1ELb1EEEvllPKT_S5_PKT0_S8_PS3_S9_.kd
    .uniform_work_group_size: 1
    .uses_dynamic_stack: false
    .vgpr_count:     58
    .vgpr_spill_count: 0
    .wavefront_size: 64
  - .agpr_count:     0
    .args:
      - .offset:         0
        .size:           8
        .value_kind:     by_value
      - .offset:         8
        .size:           8
        .value_kind:     by_value
      - .actual_access:  read_only
        .address_space:  global
        .offset:         16
        .size:           8
        .value_kind:     global_buffer
      - .actual_access:  read_only
        .address_space:  global
        .offset:         24
        .size:           8
        .value_kind:     global_buffer
      - .actual_access:  read_only
        .address_space:  global
        .offset:         32
        .size:           8
        .value_kind:     global_buffer
      - .actual_access:  read_only
        .address_space:  global
        .offset:         40
        .size:           8
        .value_kind:     global_buffer
      - .actual_access:  write_only
        .address_space:  global
        .offset:         48
        .size:           8
        .value_kind:     global_buffer
      - .actual_access:  read_only
        .address_space:  global
        .offset:         56
        .size:           8
        .value_kind:     global_buffer
      - .offset:         64
        .size:           4
        .value_kind:     hidden_block_count_x
      - .offset:         68
        .size:           4
        .value_kind:     hidden_block_count_y
      - .offset:         72
        .size:           4
        .value_kind:     hidden_block_count_z
      - .offset:         76
        .size:           2
        .value_kind:     hidden_group_size_x
      - .offset:         78
        .size:           2
        .value_kind:     hidden_group_size_y
      - .offset:         80
        .size:           2
        .value_kind:     hidden_group_size_z
      - .offset:         82
        .size:           2
        .value_kind:     hidden_remainder_x
      - .offset:         84
        .size:           2
        .value_kind:     hidden_remainder_y
      - .offset:         86
        .size:           2
        .value_kind:     hidden_remainder_z
      - .offset:         104
        .size:           8
        .value_kind:     hidden_global_offset_x
      - .offset:         112
        .size:           8
        .value_kind:     hidden_global_offset_y
      - .offset:         120
        .size:           8
        .value_kind:     hidden_global_offset_z
      - .offset:         128
        .size:           2
        .value_kind:     hidden_grid_dims
      - .offset:         184
        .size:           4
        .value_kind:     hidden_dynamic_lds_size
    .group_segment_fixed_size: 0
    .kernarg_segment_align: 8
    .kernarg_segment_size: 320
    .language:       OpenCL C
    .language_version:
      - 2
      - 0
    .max_flat_workgroup_size: 256
    .name:           _ZN2at6native12_GLOBAL__N_135GammaBetaBackwardCUDAKernelTemplateIddLj32ELj8ELj64ELb0ELb0ELb1EEEvllPKT_S5_PKT0_S8_PS3_S9_
    .private_segment_fixed_size: 0
    .sgpr_count:     56
    .sgpr_spill_count: 0
    .symbol:         _ZN2at6native12_GLOBAL__N_135GammaBetaBackwardCUDAKernelTemplateIddLj32ELj8ELj64ELb0ELb0ELb1EEEvllPKT_S5_PKT0_S8_PS3_S9_.kd
    .uniform_work_group_size: 1
    .uses_dynamic_stack: false
    .vgpr_count:     120
    .vgpr_spill_count: 0
    .wavefront_size: 64
  - .agpr_count:     0
    .args:
      - .offset:         0
        .size:           8
        .value_kind:     by_value
      - .offset:         8
        .size:           8
        .value_kind:     by_value
      - .actual_access:  read_only
        .address_space:  global
        .offset:         16
        .size:           8
        .value_kind:     global_buffer
      - .actual_access:  read_only
        .address_space:  global
        .offset:         24
        .size:           8
        .value_kind:     global_buffer
      - .actual_access:  read_only
        .address_space:  global
        .offset:         32
        .size:           8
        .value_kind:     global_buffer
      - .actual_access:  read_only
        .address_space:  global
        .offset:         40
        .size:           8
        .value_kind:     global_buffer
      - .actual_access:  write_only
        .address_space:  global
        .offset:         48
        .size:           8
        .value_kind:     global_buffer
      - .actual_access:  read_only
        .address_space:  global
        .offset:         56
        .size:           8
        .value_kind:     global_buffer
      - .offset:         64
        .size:           4
        .value_kind:     hidden_block_count_x
      - .offset:         68
        .size:           4
        .value_kind:     hidden_block_count_y
      - .offset:         72
        .size:           4
        .value_kind:     hidden_block_count_z
      - .offset:         76
        .size:           2
        .value_kind:     hidden_group_size_x
      - .offset:         78
        .size:           2
        .value_kind:     hidden_group_size_y
      - .offset:         80
        .size:           2
        .value_kind:     hidden_group_size_z
      - .offset:         82
        .size:           2
        .value_kind:     hidden_remainder_x
      - .offset:         84
        .size:           2
        .value_kind:     hidden_remainder_y
      - .offset:         86
        .size:           2
        .value_kind:     hidden_remainder_z
      - .offset:         104
        .size:           8
        .value_kind:     hidden_global_offset_x
      - .offset:         112
        .size:           8
        .value_kind:     hidden_global_offset_y
      - .offset:         120
        .size:           8
        .value_kind:     hidden_global_offset_z
      - .offset:         128
        .size:           2
        .value_kind:     hidden_grid_dims
      - .offset:         184
        .size:           4
        .value_kind:     hidden_dynamic_lds_size
    .group_segment_fixed_size: 0
    .kernarg_segment_align: 8
    .kernarg_segment_size: 320
    .language:       OpenCL C
    .language_version:
      - 2
      - 0
    .max_flat_workgroup_size: 512
    .name:           _ZN2at6native12_GLOBAL__N_135GammaBetaBackwardCUDAKernelTemplateIddLj32ELj16ELj128ELb0ELb1ELb1EEEvllPKT_S5_PKT0_S8_PS3_S9_
    .private_segment_fixed_size: 0
    .sgpr_count:     32
    .sgpr_spill_count: 0
    .symbol:         _ZN2at6native12_GLOBAL__N_135GammaBetaBackwardCUDAKernelTemplateIddLj32ELj16ELj128ELb0ELb1ELb1EEEvllPKT_S5_PKT0_S8_PS3_S9_.kd
    .uniform_work_group_size: 1
    .uses_dynamic_stack: false
    .vgpr_count:     58
    .vgpr_spill_count: 0
    .wavefront_size: 64
  - .agpr_count:     0
    .args:
      - .offset:         0
        .size:           8
        .value_kind:     by_value
      - .offset:         8
        .size:           8
        .value_kind:     by_value
      - .actual_access:  read_only
        .address_space:  global
        .offset:         16
        .size:           8
        .value_kind:     global_buffer
      - .actual_access:  read_only
        .address_space:  global
        .offset:         24
        .size:           8
        .value_kind:     global_buffer
      - .actual_access:  read_only
        .address_space:  global
        .offset:         32
        .size:           8
        .value_kind:     global_buffer
      - .actual_access:  read_only
        .address_space:  global
        .offset:         40
        .size:           8
        .value_kind:     global_buffer
      - .actual_access:  write_only
        .address_space:  global
        .offset:         48
        .size:           8
        .value_kind:     global_buffer
      - .actual_access:  read_only
        .address_space:  global
        .offset:         56
        .size:           8
        .value_kind:     global_buffer
      - .offset:         64
        .size:           4
        .value_kind:     hidden_block_count_x
      - .offset:         68
        .size:           4
        .value_kind:     hidden_block_count_y
      - .offset:         72
        .size:           4
        .value_kind:     hidden_block_count_z
      - .offset:         76
        .size:           2
        .value_kind:     hidden_group_size_x
      - .offset:         78
        .size:           2
        .value_kind:     hidden_group_size_y
      - .offset:         80
        .size:           2
        .value_kind:     hidden_group_size_z
      - .offset:         82
        .size:           2
        .value_kind:     hidden_remainder_x
      - .offset:         84
        .size:           2
        .value_kind:     hidden_remainder_y
      - .offset:         86
        .size:           2
        .value_kind:     hidden_remainder_z
      - .offset:         104
        .size:           8
        .value_kind:     hidden_global_offset_x
      - .offset:         112
        .size:           8
        .value_kind:     hidden_global_offset_y
      - .offset:         120
        .size:           8
        .value_kind:     hidden_global_offset_z
      - .offset:         128
        .size:           2
        .value_kind:     hidden_grid_dims
      - .offset:         184
        .size:           4
        .value_kind:     hidden_dynamic_lds_size
    .group_segment_fixed_size: 0
    .kernarg_segment_align: 8
    .kernarg_segment_size: 320
    .language:       OpenCL C
    .language_version:
      - 2
      - 0
    .max_flat_workgroup_size: 512
    .name:           _ZN2at6native12_GLOBAL__N_135GammaBetaBackwardCUDAKernelTemplateIddLj32ELj16ELj128ELb0ELb0ELb1EEEvllPKT_S5_PKT0_S8_PS3_S9_
    .private_segment_fixed_size: 0
    .sgpr_count:     56
    .sgpr_spill_count: 0
    .symbol:         _ZN2at6native12_GLOBAL__N_135GammaBetaBackwardCUDAKernelTemplateIddLj32ELj16ELj128ELb0ELb0ELb1EEEvllPKT_S5_PKT0_S8_PS3_S9_.kd
    .uniform_work_group_size: 1
    .uses_dynamic_stack: false
    .vgpr_count:     120
    .vgpr_spill_count: 0
    .wavefront_size: 64
  - .agpr_count:     0
    .args:
      - .offset:         0
        .size:           8
        .value_kind:     by_value
      - .offset:         8
        .size:           8
        .value_kind:     by_value
      - .actual_access:  read_only
        .address_space:  global
        .offset:         16
        .size:           8
        .value_kind:     global_buffer
      - .actual_access:  read_only
        .address_space:  global
        .offset:         24
        .size:           8
        .value_kind:     global_buffer
      - .actual_access:  read_only
        .address_space:  global
        .offset:         32
        .size:           8
        .value_kind:     global_buffer
      - .actual_access:  read_only
        .address_space:  global
        .offset:         40
        .size:           8
        .value_kind:     global_buffer
      - .actual_access:  write_only
        .address_space:  global
        .offset:         48
        .size:           8
        .value_kind:     global_buffer
      - .actual_access:  read_only
        .address_space:  global
        .offset:         56
        .size:           8
        .value_kind:     global_buffer
      - .offset:         64
        .size:           4
        .value_kind:     hidden_block_count_x
      - .offset:         68
        .size:           4
        .value_kind:     hidden_block_count_y
      - .offset:         72
        .size:           4
        .value_kind:     hidden_block_count_z
      - .offset:         76
        .size:           2
        .value_kind:     hidden_group_size_x
      - .offset:         78
        .size:           2
        .value_kind:     hidden_group_size_y
      - .offset:         80
        .size:           2
        .value_kind:     hidden_group_size_z
      - .offset:         82
        .size:           2
        .value_kind:     hidden_remainder_x
      - .offset:         84
        .size:           2
        .value_kind:     hidden_remainder_y
      - .offset:         86
        .size:           2
        .value_kind:     hidden_remainder_z
      - .offset:         104
        .size:           8
        .value_kind:     hidden_global_offset_x
      - .offset:         112
        .size:           8
        .value_kind:     hidden_global_offset_y
      - .offset:         120
        .size:           8
        .value_kind:     hidden_global_offset_z
      - .offset:         128
        .size:           2
        .value_kind:     hidden_grid_dims
      - .offset:         184
        .size:           4
        .value_kind:     hidden_dynamic_lds_size
    .group_segment_fixed_size: 0
    .kernarg_segment_align: 8
    .kernarg_segment_size: 320
    .language:       OpenCL C
    .language_version:
      - 2
      - 0
    .max_flat_workgroup_size: 1024
    .name:           _ZN2at6native12_GLOBAL__N_135GammaBetaBackwardCUDAKernelTemplateIddLj32ELj32ELj256ELb0ELb1ELb1EEEvllPKT_S5_PKT0_S8_PS3_S9_
    .private_segment_fixed_size: 0
    .sgpr_count:     32
    .sgpr_spill_count: 0
    .symbol:         _ZN2at6native12_GLOBAL__N_135GammaBetaBackwardCUDAKernelTemplateIddLj32ELj32ELj256ELb0ELb1ELb1EEEvllPKT_S5_PKT0_S8_PS3_S9_.kd
    .uniform_work_group_size: 1
    .uses_dynamic_stack: false
    .vgpr_count:     58
    .vgpr_spill_count: 0
    .wavefront_size: 64
  - .agpr_count:     0
    .args:
      - .offset:         0
        .size:           8
        .value_kind:     by_value
      - .offset:         8
        .size:           8
        .value_kind:     by_value
      - .actual_access:  read_only
        .address_space:  global
        .offset:         16
        .size:           8
        .value_kind:     global_buffer
      - .actual_access:  read_only
        .address_space:  global
        .offset:         24
        .size:           8
        .value_kind:     global_buffer
      - .actual_access:  read_only
        .address_space:  global
        .offset:         32
        .size:           8
        .value_kind:     global_buffer
      - .actual_access:  read_only
        .address_space:  global
        .offset:         40
        .size:           8
        .value_kind:     global_buffer
      - .actual_access:  write_only
        .address_space:  global
        .offset:         48
        .size:           8
        .value_kind:     global_buffer
      - .actual_access:  read_only
        .address_space:  global
        .offset:         56
        .size:           8
        .value_kind:     global_buffer
      - .offset:         64
        .size:           4
        .value_kind:     hidden_block_count_x
      - .offset:         68
        .size:           4
        .value_kind:     hidden_block_count_y
      - .offset:         72
        .size:           4
        .value_kind:     hidden_block_count_z
      - .offset:         76
        .size:           2
        .value_kind:     hidden_group_size_x
      - .offset:         78
        .size:           2
        .value_kind:     hidden_group_size_y
      - .offset:         80
        .size:           2
        .value_kind:     hidden_group_size_z
      - .offset:         82
        .size:           2
        .value_kind:     hidden_remainder_x
      - .offset:         84
        .size:           2
        .value_kind:     hidden_remainder_y
      - .offset:         86
        .size:           2
        .value_kind:     hidden_remainder_z
      - .offset:         104
        .size:           8
        .value_kind:     hidden_global_offset_x
      - .offset:         112
        .size:           8
        .value_kind:     hidden_global_offset_y
      - .offset:         120
        .size:           8
        .value_kind:     hidden_global_offset_z
      - .offset:         128
        .size:           2
        .value_kind:     hidden_grid_dims
      - .offset:         184
        .size:           4
        .value_kind:     hidden_dynamic_lds_size
    .group_segment_fixed_size: 0
    .kernarg_segment_align: 8
    .kernarg_segment_size: 320
    .language:       OpenCL C
    .language_version:
      - 2
      - 0
    .max_flat_workgroup_size: 1024
    .name:           _ZN2at6native12_GLOBAL__N_135GammaBetaBackwardCUDAKernelTemplateIddLj32ELj32ELj256ELb0ELb0ELb1EEEvllPKT_S5_PKT0_S8_PS3_S9_
    .private_segment_fixed_size: 0
    .sgpr_count:     56
    .sgpr_spill_count: 0
    .symbol:         _ZN2at6native12_GLOBAL__N_135GammaBetaBackwardCUDAKernelTemplateIddLj32ELj32ELj256ELb0ELb0ELb1EEEvllPKT_S5_PKT0_S8_PS3_S9_.kd
    .uniform_work_group_size: 1
    .uses_dynamic_stack: false
    .vgpr_count:     120
    .vgpr_spill_count: 0
    .wavefront_size: 64
  - .agpr_count:     0
    .args:
      - .actual_access:  read_only
        .address_space:  global
        .offset:         0
        .size:           8
        .value_kind:     global_buffer
      - .actual_access:  read_only
        .address_space:  global
        .offset:         8
        .size:           8
        .value_kind:     global_buffer
      - .offset:         16
        .size:           8
        .value_kind:     by_value
      - .offset:         24
        .size:           8
        .value_kind:     by_value
      - .actual_access:  read_only
        .address_space:  global
        .offset:         32
        .size:           8
        .value_kind:     global_buffer
      - .actual_access:  read_only
        .address_space:  global
        .offset:         40
        .size:           8
        .value_kind:     global_buffer
      - .address_space:  global
        .offset:         48
        .size:           8
        .value_kind:     global_buffer
      - .address_space:  global
        .offset:         56
        .size:           8
        .value_kind:     global_buffer
      - .offset:         64
        .size:           4
        .value_kind:     hidden_block_count_x
      - .offset:         68
        .size:           4
        .value_kind:     hidden_block_count_y
      - .offset:         72
        .size:           4
        .value_kind:     hidden_block_count_z
      - .offset:         76
        .size:           2
        .value_kind:     hidden_group_size_x
      - .offset:         78
        .size:           2
        .value_kind:     hidden_group_size_y
      - .offset:         80
        .size:           2
        .value_kind:     hidden_group_size_z
      - .offset:         82
        .size:           2
        .value_kind:     hidden_remainder_x
      - .offset:         84
        .size:           2
        .value_kind:     hidden_remainder_y
      - .offset:         86
        .size:           2
        .value_kind:     hidden_remainder_z
      - .offset:         104
        .size:           8
        .value_kind:     hidden_global_offset_x
      - .offset:         112
        .size:           8
        .value_kind:     hidden_global_offset_y
      - .offset:         120
        .size:           8
        .value_kind:     hidden_global_offset_z
      - .offset:         128
        .size:           2
        .value_kind:     hidden_grid_dims
      - .offset:         184
        .size:           4
        .value_kind:     hidden_dynamic_lds_size
    .group_segment_fixed_size: 0
    .kernarg_segment_align: 8
    .kernarg_segment_size: 320
    .language:       OpenCL C
    .language_version:
      - 2
      - 0
    .max_flat_workgroup_size: 1024
    .name:           _ZN2at6native12_GLOBAL__N_118cuComputeGradInputIffLb1EEEvPKT_S5_llPKT0_S8_S5_PS3_
    .private_segment_fixed_size: 0
    .sgpr_count:     54
    .sgpr_spill_count: 0
    .symbol:         _ZN2at6native12_GLOBAL__N_118cuComputeGradInputIffLb1EEEvPKT_S5_llPKT0_S8_S5_PS3_.kd
    .uniform_work_group_size: 1
    .uses_dynamic_stack: false
    .vgpr_count:     28
    .vgpr_spill_count: 0
    .wavefront_size: 64
  - .agpr_count:     0
    .args:
      - .actual_access:  read_only
        .address_space:  global
        .offset:         0
        .size:           8
        .value_kind:     global_buffer
      - .actual_access:  read_only
        .address_space:  global
        .offset:         8
        .size:           8
        .value_kind:     global_buffer
      - .actual_access:  read_only
        .address_space:  global
        .offset:         16
        .size:           8
        .value_kind:     global_buffer
      - .actual_access:  read_only
        .address_space:  global
        .offset:         24
        .size:           8
        .value_kind:     global_buffer
      - .actual_access:  read_only
        .address_space:  global
        .offset:         32
        .size:           8
        .value_kind:     global_buffer
      - .address_space:  global
        .offset:         40
        .size:           8
        .value_kind:     global_buffer
      - .offset:         48
        .size:           4
        .value_kind:     by_value
      - .offset:         56
        .size:           4
        .value_kind:     hidden_block_count_x
      - .offset:         60
        .size:           4
        .value_kind:     hidden_block_count_y
      - .offset:         64
        .size:           4
        .value_kind:     hidden_block_count_z
      - .offset:         68
        .size:           2
        .value_kind:     hidden_group_size_x
      - .offset:         70
        .size:           2
        .value_kind:     hidden_group_size_y
      - .offset:         72
        .size:           2
        .value_kind:     hidden_group_size_z
      - .offset:         74
        .size:           2
        .value_kind:     hidden_remainder_x
      - .offset:         76
        .size:           2
        .value_kind:     hidden_remainder_y
      - .offset:         78
        .size:           2
        .value_kind:     hidden_remainder_z
      - .offset:         96
        .size:           8
        .value_kind:     hidden_global_offset_x
      - .offset:         104
        .size:           8
        .value_kind:     hidden_global_offset_y
      - .offset:         112
        .size:           8
        .value_kind:     hidden_global_offset_z
      - .offset:         120
        .size:           2
        .value_kind:     hidden_grid_dims
      - .offset:         176
        .size:           4
        .value_kind:     hidden_dynamic_lds_size
    .group_segment_fixed_size: 0
    .kernarg_segment_align: 8
    .kernarg_segment_size: 312
    .language:       OpenCL C
    .language_version:
      - 2
      - 0
    .max_flat_workgroup_size: 1024
    .name:           _ZN2at6native12_GLOBAL__N_128layer_norm_grad_input_kernelIffLb1EEEvPKT_S5_PKT0_S8_S5_PS3_i
    .private_segment_fixed_size: 0
    .sgpr_count:     33
    .sgpr_spill_count: 0
    .symbol:         _ZN2at6native12_GLOBAL__N_128layer_norm_grad_input_kernelIffLb1EEEvPKT_S5_PKT0_S8_S5_PS3_i.kd
    .uniform_work_group_size: 1
    .uses_dynamic_stack: false
    .vgpr_count:     20
    .vgpr_spill_count: 0
    .wavefront_size: 64
  - .agpr_count:     0
    .args:
      - .offset:         0
        .size:           8
        .value_kind:     by_value
      - .offset:         8
        .size:           8
        .value_kind:     by_value
      - .address_space:  global
        .offset:         16
        .size:           8
        .value_kind:     global_buffer
      - .address_space:  global
        .offset:         24
        .size:           8
        .value_kind:     global_buffer
      - .address_space:  global
        .offset:         32
        .size:           8
        .value_kind:     global_buffer
      - .address_space:  global
        .offset:         40
        .size:           8
        .value_kind:     global_buffer
      - .address_space:  global
        .offset:         48
        .size:           8
        .value_kind:     global_buffer
      - .address_space:  global
        .offset:         56
        .size:           8
        .value_kind:     global_buffer
      - .offset:         64
        .size:           4
        .value_kind:     hidden_block_count_x
      - .offset:         68
        .size:           4
        .value_kind:     hidden_block_count_y
      - .offset:         72
        .size:           4
        .value_kind:     hidden_block_count_z
      - .offset:         76
        .size:           2
        .value_kind:     hidden_group_size_x
      - .offset:         78
        .size:           2
        .value_kind:     hidden_group_size_y
      - .offset:         80
        .size:           2
        .value_kind:     hidden_group_size_z
      - .offset:         82
        .size:           2
        .value_kind:     hidden_remainder_x
      - .offset:         84
        .size:           2
        .value_kind:     hidden_remainder_y
      - .offset:         86
        .size:           2
        .value_kind:     hidden_remainder_z
      - .offset:         104
        .size:           8
        .value_kind:     hidden_global_offset_x
      - .offset:         112
        .size:           8
        .value_kind:     hidden_global_offset_y
      - .offset:         120
        .size:           8
        .value_kind:     hidden_global_offset_z
      - .offset:         128
        .size:           2
        .value_kind:     hidden_grid_dims
    .group_segment_fixed_size: 0
    .kernarg_segment_align: 8
    .kernarg_segment_size: 320
    .language:       OpenCL C
    .language_version:
      - 2
      - 0
    .max_flat_workgroup_size: 1024
    .name:           _ZN2at6native12_GLOBAL__N_133GammaBetaBackwardSimpleCUDAKernelIffLb1EEEvllPKT_S5_PKT0_S8_PS3_S9_
    .private_segment_fixed_size: 0
    .sgpr_count:     22
    .sgpr_spill_count: 0
    .symbol:         _ZN2at6native12_GLOBAL__N_133GammaBetaBackwardSimpleCUDAKernelIffLb1EEEvllPKT_S5_PKT0_S8_PS3_S9_.kd
    .uniform_work_group_size: 1
    .uses_dynamic_stack: false
    .vgpr_count:     8
    .vgpr_spill_count: 0
    .wavefront_size: 64
  - .agpr_count:     0
    .args:
      - .offset:         0
        .size:           8
        .value_kind:     by_value
      - .offset:         8
        .size:           8
        .value_kind:     by_value
      - .actual_access:  read_only
        .address_space:  global
        .offset:         16
        .size:           8
        .value_kind:     global_buffer
      - .actual_access:  read_only
        .address_space:  global
        .offset:         24
        .size:           8
        .value_kind:     global_buffer
      - .actual_access:  read_only
        .address_space:  global
        .offset:         32
        .size:           8
        .value_kind:     global_buffer
      - .actual_access:  read_only
        .address_space:  global
        .offset:         40
        .size:           8
        .value_kind:     global_buffer
      - .actual_access:  write_only
        .address_space:  global
        .offset:         48
        .size:           8
        .value_kind:     global_buffer
      - .actual_access:  read_only
        .address_space:  global
        .offset:         56
        .size:           8
        .value_kind:     global_buffer
      - .offset:         64
        .size:           4
        .value_kind:     hidden_block_count_x
      - .offset:         68
        .size:           4
        .value_kind:     hidden_block_count_y
      - .offset:         72
        .size:           4
        .value_kind:     hidden_block_count_z
      - .offset:         76
        .size:           2
        .value_kind:     hidden_group_size_x
      - .offset:         78
        .size:           2
        .value_kind:     hidden_group_size_y
      - .offset:         80
        .size:           2
        .value_kind:     hidden_group_size_z
      - .offset:         82
        .size:           2
        .value_kind:     hidden_remainder_x
      - .offset:         84
        .size:           2
        .value_kind:     hidden_remainder_y
      - .offset:         86
        .size:           2
        .value_kind:     hidden_remainder_z
      - .offset:         104
        .size:           8
        .value_kind:     hidden_global_offset_x
      - .offset:         112
        .size:           8
        .value_kind:     hidden_global_offset_y
      - .offset:         120
        .size:           8
        .value_kind:     hidden_global_offset_z
      - .offset:         128
        .size:           2
        .value_kind:     hidden_grid_dims
    .group_segment_fixed_size: 0
    .kernarg_segment_align: 8
    .kernarg_segment_size: 320
    .language:       OpenCL C
    .language_version:
      - 2
      - 0
    .max_flat_workgroup_size: 64
    .name:           _ZN2at6native12_GLOBAL__N_135GammaBetaBackwardCUDAKernelTemplateIffLj64ELj1ELj32ELb1ELb1ELb1EEEvllPKT_S5_PKT0_S8_PS3_S9_
    .private_segment_fixed_size: 0
    .sgpr_count:     38
    .sgpr_spill_count: 0
    .symbol:         _ZN2at6native12_GLOBAL__N_135GammaBetaBackwardCUDAKernelTemplateIffLj64ELj1ELj32ELb1ELb1ELb1EEEvllPKT_S5_PKT0_S8_PS3_S9_.kd
    .uniform_work_group_size: 1
    .uses_dynamic_stack: false
    .vgpr_count:     97
    .vgpr_spill_count: 0
    .wavefront_size: 64
  - .agpr_count:     75
    .args:
      - .offset:         0
        .size:           8
        .value_kind:     by_value
      - .offset:         8
        .size:           8
        .value_kind:     by_value
      - .actual_access:  read_only
        .address_space:  global
        .offset:         16
        .size:           8
        .value_kind:     global_buffer
      - .actual_access:  read_only
        .address_space:  global
        .offset:         24
        .size:           8
        .value_kind:     global_buffer
      - .actual_access:  read_only
        .address_space:  global
        .offset:         32
        .size:           8
        .value_kind:     global_buffer
      - .actual_access:  read_only
        .address_space:  global
        .offset:         40
        .size:           8
        .value_kind:     global_buffer
      - .actual_access:  write_only
        .address_space:  global
        .offset:         48
        .size:           8
        .value_kind:     global_buffer
      - .actual_access:  read_only
        .address_space:  global
        .offset:         56
        .size:           8
        .value_kind:     global_buffer
      - .offset:         64
        .size:           4
        .value_kind:     hidden_block_count_x
      - .offset:         68
        .size:           4
        .value_kind:     hidden_block_count_y
      - .offset:         72
        .size:           4
        .value_kind:     hidden_block_count_z
      - .offset:         76
        .size:           2
        .value_kind:     hidden_group_size_x
      - .offset:         78
        .size:           2
        .value_kind:     hidden_group_size_y
      - .offset:         80
        .size:           2
        .value_kind:     hidden_group_size_z
      - .offset:         82
        .size:           2
        .value_kind:     hidden_remainder_x
      - .offset:         84
        .size:           2
        .value_kind:     hidden_remainder_y
      - .offset:         86
        .size:           2
        .value_kind:     hidden_remainder_z
      - .offset:         104
        .size:           8
        .value_kind:     hidden_global_offset_x
      - .offset:         112
        .size:           8
        .value_kind:     hidden_global_offset_y
      - .offset:         120
        .size:           8
        .value_kind:     hidden_global_offset_z
      - .offset:         128
        .size:           2
        .value_kind:     hidden_grid_dims
    .group_segment_fixed_size: 0
    .kernarg_segment_align: 8
    .kernarg_segment_size: 320
    .language:       OpenCL C
    .language_version:
      - 2
      - 0
    .max_flat_workgroup_size: 64
    .name:           _ZN2at6native12_GLOBAL__N_135GammaBetaBackwardCUDAKernelTemplateIffLj64ELj1ELj32ELb1ELb0ELb1EEEvllPKT_S5_PKT0_S8_PS3_S9_
    .private_segment_fixed_size: 0
    .sgpr_count:     44
    .sgpr_spill_count: 0
    .symbol:         _ZN2at6native12_GLOBAL__N_135GammaBetaBackwardCUDAKernelTemplateIffLj64ELj1ELj32ELb1ELb0ELb1EEEvllPKT_S5_PKT0_S8_PS3_S9_.kd
    .uniform_work_group_size: 1
    .uses_dynamic_stack: false
    .vgpr_count:     331
    .vgpr_spill_count: 0
    .wavefront_size: 64
  - .agpr_count:     0
    .args:
      - .offset:         0
        .size:           8
        .value_kind:     by_value
      - .offset:         8
        .size:           8
        .value_kind:     by_value
      - .actual_access:  read_only
        .address_space:  global
        .offset:         16
        .size:           8
        .value_kind:     global_buffer
      - .actual_access:  read_only
        .address_space:  global
        .offset:         24
        .size:           8
        .value_kind:     global_buffer
      - .actual_access:  read_only
        .address_space:  global
        .offset:         32
        .size:           8
        .value_kind:     global_buffer
      - .actual_access:  read_only
        .address_space:  global
        .offset:         40
        .size:           8
        .value_kind:     global_buffer
      - .actual_access:  write_only
        .address_space:  global
        .offset:         48
        .size:           8
        .value_kind:     global_buffer
      - .actual_access:  read_only
        .address_space:  global
        .offset:         56
        .size:           8
        .value_kind:     global_buffer
      - .offset:         64
        .size:           4
        .value_kind:     hidden_block_count_x
      - .offset:         68
        .size:           4
        .value_kind:     hidden_block_count_y
      - .offset:         72
        .size:           4
        .value_kind:     hidden_block_count_z
      - .offset:         76
        .size:           2
        .value_kind:     hidden_group_size_x
      - .offset:         78
        .size:           2
        .value_kind:     hidden_group_size_y
      - .offset:         80
        .size:           2
        .value_kind:     hidden_group_size_z
      - .offset:         82
        .size:           2
        .value_kind:     hidden_remainder_x
      - .offset:         84
        .size:           2
        .value_kind:     hidden_remainder_y
      - .offset:         86
        .size:           2
        .value_kind:     hidden_remainder_z
      - .offset:         104
        .size:           8
        .value_kind:     hidden_global_offset_x
      - .offset:         112
        .size:           8
        .value_kind:     hidden_global_offset_y
      - .offset:         120
        .size:           8
        .value_kind:     hidden_global_offset_z
      - .offset:         128
        .size:           2
        .value_kind:     hidden_grid_dims
    .group_segment_fixed_size: 0
    .kernarg_segment_align: 8
    .kernarg_segment_size: 320
    .language:       OpenCL C
    .language_version:
      - 2
      - 0
    .max_flat_workgroup_size: 64
    .name:           _ZN2at6native12_GLOBAL__N_135GammaBetaBackwardCUDAKernelTemplateIffLj64ELj1ELj8ELb1ELb1ELb1EEEvllPKT_S5_PKT0_S8_PS3_S9_
    .private_segment_fixed_size: 0
    .sgpr_count:     38
    .sgpr_spill_count: 0
    .symbol:         _ZN2at6native12_GLOBAL__N_135GammaBetaBackwardCUDAKernelTemplateIffLj64ELj1ELj8ELb1ELb1ELb1EEEvllPKT_S5_PKT0_S8_PS3_S9_.kd
    .uniform_work_group_size: 1
    .uses_dynamic_stack: false
    .vgpr_count:     44
    .vgpr_spill_count: 0
    .wavefront_size: 64
  - .agpr_count:     0
    .args:
      - .offset:         0
        .size:           8
        .value_kind:     by_value
      - .offset:         8
        .size:           8
        .value_kind:     by_value
      - .actual_access:  read_only
        .address_space:  global
        .offset:         16
        .size:           8
        .value_kind:     global_buffer
      - .actual_access:  read_only
        .address_space:  global
        .offset:         24
        .size:           8
        .value_kind:     global_buffer
      - .actual_access:  read_only
        .address_space:  global
        .offset:         32
        .size:           8
        .value_kind:     global_buffer
      - .actual_access:  read_only
        .address_space:  global
        .offset:         40
        .size:           8
        .value_kind:     global_buffer
      - .actual_access:  write_only
        .address_space:  global
        .offset:         48
        .size:           8
        .value_kind:     global_buffer
      - .actual_access:  read_only
        .address_space:  global
        .offset:         56
        .size:           8
        .value_kind:     global_buffer
      - .offset:         64
        .size:           4
        .value_kind:     hidden_block_count_x
      - .offset:         68
        .size:           4
        .value_kind:     hidden_block_count_y
      - .offset:         72
        .size:           4
        .value_kind:     hidden_block_count_z
      - .offset:         76
        .size:           2
        .value_kind:     hidden_group_size_x
      - .offset:         78
        .size:           2
        .value_kind:     hidden_group_size_y
      - .offset:         80
        .size:           2
        .value_kind:     hidden_group_size_z
      - .offset:         82
        .size:           2
        .value_kind:     hidden_remainder_x
      - .offset:         84
        .size:           2
        .value_kind:     hidden_remainder_y
      - .offset:         86
        .size:           2
        .value_kind:     hidden_remainder_z
      - .offset:         104
        .size:           8
        .value_kind:     hidden_global_offset_x
      - .offset:         112
        .size:           8
        .value_kind:     hidden_global_offset_y
      - .offset:         120
        .size:           8
        .value_kind:     hidden_global_offset_z
      - .offset:         128
        .size:           2
        .value_kind:     hidden_grid_dims
    .group_segment_fixed_size: 0
    .kernarg_segment_align: 8
    .kernarg_segment_size: 320
    .language:       OpenCL C
    .language_version:
      - 2
      - 0
    .max_flat_workgroup_size: 64
    .name:           _ZN2at6native12_GLOBAL__N_135GammaBetaBackwardCUDAKernelTemplateIffLj64ELj1ELj8ELb1ELb0ELb1EEEvllPKT_S5_PKT0_S8_PS3_S9_
    .private_segment_fixed_size: 0
    .sgpr_count:     44
    .sgpr_spill_count: 0
    .symbol:         _ZN2at6native12_GLOBAL__N_135GammaBetaBackwardCUDAKernelTemplateIffLj64ELj1ELj8ELb1ELb0ELb1EEEvllPKT_S5_PKT0_S8_PS3_S9_.kd
    .uniform_work_group_size: 1
    .uses_dynamic_stack: false
    .vgpr_count:     96
    .vgpr_spill_count: 0
    .wavefront_size: 64
  - .agpr_count:     0
    .args:
      - .offset:         0
        .size:           8
        .value_kind:     by_value
      - .offset:         8
        .size:           8
        .value_kind:     by_value
      - .actual_access:  read_only
        .address_space:  global
        .offset:         16
        .size:           8
        .value_kind:     global_buffer
      - .actual_access:  read_only
        .address_space:  global
        .offset:         24
        .size:           8
        .value_kind:     global_buffer
      - .actual_access:  read_only
        .address_space:  global
        .offset:         32
        .size:           8
        .value_kind:     global_buffer
      - .actual_access:  read_only
        .address_space:  global
        .offset:         40
        .size:           8
        .value_kind:     global_buffer
      - .actual_access:  write_only
        .address_space:  global
        .offset:         48
        .size:           8
        .value_kind:     global_buffer
      - .actual_access:  read_only
        .address_space:  global
        .offset:         56
        .size:           8
        .value_kind:     global_buffer
      - .offset:         64
        .size:           4
        .value_kind:     hidden_block_count_x
      - .offset:         68
        .size:           4
        .value_kind:     hidden_block_count_y
      - .offset:         72
        .size:           4
        .value_kind:     hidden_block_count_z
      - .offset:         76
        .size:           2
        .value_kind:     hidden_group_size_x
      - .offset:         78
        .size:           2
        .value_kind:     hidden_group_size_y
      - .offset:         80
        .size:           2
        .value_kind:     hidden_group_size_z
      - .offset:         82
        .size:           2
        .value_kind:     hidden_remainder_x
      - .offset:         84
        .size:           2
        .value_kind:     hidden_remainder_y
      - .offset:         86
        .size:           2
        .value_kind:     hidden_remainder_z
      - .offset:         104
        .size:           8
        .value_kind:     hidden_global_offset_x
      - .offset:         112
        .size:           8
        .value_kind:     hidden_global_offset_y
      - .offset:         120
        .size:           8
        .value_kind:     hidden_global_offset_z
      - .offset:         128
        .size:           2
        .value_kind:     hidden_grid_dims
      - .offset:         184
        .size:           4
        .value_kind:     hidden_dynamic_lds_size
    .group_segment_fixed_size: 0
    .kernarg_segment_align: 8
    .kernarg_segment_size: 320
    .language:       OpenCL C
    .language_version:
      - 2
      - 0
    .max_flat_workgroup_size: 512
    .name:           _ZN2at6native12_GLOBAL__N_135GammaBetaBackwardCUDAKernelTemplateIffLj64ELj8ELj64ELb0ELb1ELb1EEEvllPKT_S5_PKT0_S8_PS3_S9_
    .private_segment_fixed_size: 0
    .sgpr_count:     32
    .sgpr_spill_count: 0
    .symbol:         _ZN2at6native12_GLOBAL__N_135GammaBetaBackwardCUDAKernelTemplateIffLj64ELj8ELj64ELb0ELb1ELb1EEEvllPKT_S5_PKT0_S8_PS3_S9_.kd
    .uniform_work_group_size: 1
    .uses_dynamic_stack: false
    .vgpr_count:     46
    .vgpr_spill_count: 0
    .wavefront_size: 64
  - .agpr_count:     0
    .args:
      - .offset:         0
        .size:           8
        .value_kind:     by_value
      - .offset:         8
        .size:           8
        .value_kind:     by_value
      - .actual_access:  read_only
        .address_space:  global
        .offset:         16
        .size:           8
        .value_kind:     global_buffer
      - .actual_access:  read_only
        .address_space:  global
        .offset:         24
        .size:           8
        .value_kind:     global_buffer
      - .actual_access:  read_only
        .address_space:  global
        .offset:         32
        .size:           8
        .value_kind:     global_buffer
      - .actual_access:  read_only
        .address_space:  global
        .offset:         40
        .size:           8
        .value_kind:     global_buffer
      - .actual_access:  write_only
        .address_space:  global
        .offset:         48
        .size:           8
        .value_kind:     global_buffer
      - .actual_access:  read_only
        .address_space:  global
        .offset:         56
        .size:           8
        .value_kind:     global_buffer
      - .offset:         64
        .size:           4
        .value_kind:     hidden_block_count_x
      - .offset:         68
        .size:           4
        .value_kind:     hidden_block_count_y
      - .offset:         72
        .size:           4
        .value_kind:     hidden_block_count_z
      - .offset:         76
        .size:           2
        .value_kind:     hidden_group_size_x
      - .offset:         78
        .size:           2
        .value_kind:     hidden_group_size_y
      - .offset:         80
        .size:           2
        .value_kind:     hidden_group_size_z
      - .offset:         82
        .size:           2
        .value_kind:     hidden_remainder_x
      - .offset:         84
        .size:           2
        .value_kind:     hidden_remainder_y
      - .offset:         86
        .size:           2
        .value_kind:     hidden_remainder_z
      - .offset:         104
        .size:           8
        .value_kind:     hidden_global_offset_x
      - .offset:         112
        .size:           8
        .value_kind:     hidden_global_offset_y
      - .offset:         120
        .size:           8
        .value_kind:     hidden_global_offset_z
      - .offset:         128
        .size:           2
        .value_kind:     hidden_grid_dims
      - .offset:         184
        .size:           4
        .value_kind:     hidden_dynamic_lds_size
    .group_segment_fixed_size: 0
    .kernarg_segment_align: 8
    .kernarg_segment_size: 320
    .language:       OpenCL C
    .language_version:
      - 2
      - 0
    .max_flat_workgroup_size: 512
    .name:           _ZN2at6native12_GLOBAL__N_135GammaBetaBackwardCUDAKernelTemplateIffLj64ELj8ELj64ELb0ELb0ELb1EEEvllPKT_S5_PKT0_S8_PS3_S9_
    .private_segment_fixed_size: 0
    .sgpr_count:     56
    .sgpr_spill_count: 0
    .symbol:         _ZN2at6native12_GLOBAL__N_135GammaBetaBackwardCUDAKernelTemplateIffLj64ELj8ELj64ELb0ELb0ELb1EEEvllPKT_S5_PKT0_S8_PS3_S9_.kd
    .uniform_work_group_size: 1
    .uses_dynamic_stack: false
    .vgpr_count:     96
    .vgpr_spill_count: 0
    .wavefront_size: 64
  - .agpr_count:     0
    .args:
      - .offset:         0
        .size:           8
        .value_kind:     by_value
      - .offset:         8
        .size:           8
        .value_kind:     by_value
      - .actual_access:  read_only
        .address_space:  global
        .offset:         16
        .size:           8
        .value_kind:     global_buffer
      - .actual_access:  read_only
        .address_space:  global
        .offset:         24
        .size:           8
        .value_kind:     global_buffer
      - .actual_access:  read_only
        .address_space:  global
        .offset:         32
        .size:           8
        .value_kind:     global_buffer
      - .actual_access:  read_only
        .address_space:  global
        .offset:         40
        .size:           8
        .value_kind:     global_buffer
      - .actual_access:  write_only
        .address_space:  global
        .offset:         48
        .size:           8
        .value_kind:     global_buffer
      - .actual_access:  read_only
        .address_space:  global
        .offset:         56
        .size:           8
        .value_kind:     global_buffer
      - .offset:         64
        .size:           4
        .value_kind:     hidden_block_count_x
      - .offset:         68
        .size:           4
        .value_kind:     hidden_block_count_y
      - .offset:         72
        .size:           4
        .value_kind:     hidden_block_count_z
      - .offset:         76
        .size:           2
        .value_kind:     hidden_group_size_x
      - .offset:         78
        .size:           2
        .value_kind:     hidden_group_size_y
      - .offset:         80
        .size:           2
        .value_kind:     hidden_group_size_z
      - .offset:         82
        .size:           2
        .value_kind:     hidden_remainder_x
      - .offset:         84
        .size:           2
        .value_kind:     hidden_remainder_y
      - .offset:         86
        .size:           2
        .value_kind:     hidden_remainder_z
      - .offset:         104
        .size:           8
        .value_kind:     hidden_global_offset_x
      - .offset:         112
        .size:           8
        .value_kind:     hidden_global_offset_y
      - .offset:         120
        .size:           8
        .value_kind:     hidden_global_offset_z
      - .offset:         128
        .size:           2
        .value_kind:     hidden_grid_dims
      - .offset:         184
        .size:           4
        .value_kind:     hidden_dynamic_lds_size
    .group_segment_fixed_size: 0
    .kernarg_segment_align: 8
    .kernarg_segment_size: 320
    .language:       OpenCL C
    .language_version:
      - 2
      - 0
    .max_flat_workgroup_size: 1024
    .name:           _ZN2at6native12_GLOBAL__N_135GammaBetaBackwardCUDAKernelTemplateIffLj64ELj16ELj128ELb0ELb1ELb1EEEvllPKT_S5_PKT0_S8_PS3_S9_
    .private_segment_fixed_size: 0
    .sgpr_count:     32
    .sgpr_spill_count: 0
    .symbol:         _ZN2at6native12_GLOBAL__N_135GammaBetaBackwardCUDAKernelTemplateIffLj64ELj16ELj128ELb0ELb1ELb1EEEvllPKT_S5_PKT0_S8_PS3_S9_.kd
    .uniform_work_group_size: 1
    .uses_dynamic_stack: false
    .vgpr_count:     46
    .vgpr_spill_count: 0
    .wavefront_size: 64
  - .agpr_count:     0
    .args:
      - .offset:         0
        .size:           8
        .value_kind:     by_value
      - .offset:         8
        .size:           8
        .value_kind:     by_value
      - .actual_access:  read_only
        .address_space:  global
        .offset:         16
        .size:           8
        .value_kind:     global_buffer
      - .actual_access:  read_only
        .address_space:  global
        .offset:         24
        .size:           8
        .value_kind:     global_buffer
      - .actual_access:  read_only
        .address_space:  global
        .offset:         32
        .size:           8
        .value_kind:     global_buffer
      - .actual_access:  read_only
        .address_space:  global
        .offset:         40
        .size:           8
        .value_kind:     global_buffer
      - .actual_access:  write_only
        .address_space:  global
        .offset:         48
        .size:           8
        .value_kind:     global_buffer
      - .actual_access:  read_only
        .address_space:  global
        .offset:         56
        .size:           8
        .value_kind:     global_buffer
      - .offset:         64
        .size:           4
        .value_kind:     hidden_block_count_x
      - .offset:         68
        .size:           4
        .value_kind:     hidden_block_count_y
      - .offset:         72
        .size:           4
        .value_kind:     hidden_block_count_z
      - .offset:         76
        .size:           2
        .value_kind:     hidden_group_size_x
      - .offset:         78
        .size:           2
        .value_kind:     hidden_group_size_y
      - .offset:         80
        .size:           2
        .value_kind:     hidden_group_size_z
      - .offset:         82
        .size:           2
        .value_kind:     hidden_remainder_x
      - .offset:         84
        .size:           2
        .value_kind:     hidden_remainder_y
      - .offset:         86
        .size:           2
        .value_kind:     hidden_remainder_z
      - .offset:         104
        .size:           8
        .value_kind:     hidden_global_offset_x
      - .offset:         112
        .size:           8
        .value_kind:     hidden_global_offset_y
      - .offset:         120
        .size:           8
        .value_kind:     hidden_global_offset_z
      - .offset:         128
        .size:           2
        .value_kind:     hidden_grid_dims
      - .offset:         184
        .size:           4
        .value_kind:     hidden_dynamic_lds_size
    .group_segment_fixed_size: 0
    .kernarg_segment_align: 8
    .kernarg_segment_size: 320
    .language:       OpenCL C
    .language_version:
      - 2
      - 0
    .max_flat_workgroup_size: 1024
    .name:           _ZN2at6native12_GLOBAL__N_135GammaBetaBackwardCUDAKernelTemplateIffLj64ELj16ELj128ELb0ELb0ELb1EEEvllPKT_S5_PKT0_S8_PS3_S9_
    .private_segment_fixed_size: 0
    .sgpr_count:     56
    .sgpr_spill_count: 0
    .symbol:         _ZN2at6native12_GLOBAL__N_135GammaBetaBackwardCUDAKernelTemplateIffLj64ELj16ELj128ELb0ELb0ELb1EEEvllPKT_S5_PKT0_S8_PS3_S9_.kd
    .uniform_work_group_size: 1
    .uses_dynamic_stack: false
    .vgpr_count:     96
    .vgpr_spill_count: 0
    .wavefront_size: 64
  - .agpr_count:     0
    .args:
      - .offset:         0
        .size:           8
        .value_kind:     by_value
      - .offset:         8
        .size:           8
        .value_kind:     by_value
      - .actual_access:  read_only
        .address_space:  global
        .offset:         16
        .size:           8
        .value_kind:     global_buffer
      - .actual_access:  read_only
        .address_space:  global
        .offset:         24
        .size:           8
        .value_kind:     global_buffer
      - .actual_access:  read_only
        .address_space:  global
        .offset:         32
        .size:           8
        .value_kind:     global_buffer
      - .actual_access:  read_only
        .address_space:  global
        .offset:         40
        .size:           8
        .value_kind:     global_buffer
      - .actual_access:  write_only
        .address_space:  global
        .offset:         48
        .size:           8
        .value_kind:     global_buffer
      - .actual_access:  read_only
        .address_space:  global
        .offset:         56
        .size:           8
        .value_kind:     global_buffer
      - .offset:         64
        .size:           4
        .value_kind:     hidden_block_count_x
      - .offset:         68
        .size:           4
        .value_kind:     hidden_block_count_y
      - .offset:         72
        .size:           4
        .value_kind:     hidden_block_count_z
      - .offset:         76
        .size:           2
        .value_kind:     hidden_group_size_x
      - .offset:         78
        .size:           2
        .value_kind:     hidden_group_size_y
      - .offset:         80
        .size:           2
        .value_kind:     hidden_group_size_z
      - .offset:         82
        .size:           2
        .value_kind:     hidden_remainder_x
      - .offset:         84
        .size:           2
        .value_kind:     hidden_remainder_y
      - .offset:         86
        .size:           2
        .value_kind:     hidden_remainder_z
      - .offset:         104
        .size:           8
        .value_kind:     hidden_global_offset_x
      - .offset:         112
        .size:           8
        .value_kind:     hidden_global_offset_y
      - .offset:         120
        .size:           8
        .value_kind:     hidden_global_offset_z
      - .offset:         128
        .size:           2
        .value_kind:     hidden_grid_dims
      - .offset:         184
        .size:           4
        .value_kind:     hidden_dynamic_lds_size
    .group_segment_fixed_size: 0
    .kernarg_segment_align: 8
    .kernarg_segment_size: 320
    .language:       OpenCL C
    .language_version:
      - 2
      - 0
    .max_flat_workgroup_size: 1024
    .name:           _ZN2at6native12_GLOBAL__N_135GammaBetaBackwardCUDAKernelTemplateIffLj64ELj16ELj256ELb0ELb1ELb1EEEvllPKT_S5_PKT0_S8_PS3_S9_
    .private_segment_fixed_size: 0
    .sgpr_count:     32
    .sgpr_spill_count: 0
    .symbol:         _ZN2at6native12_GLOBAL__N_135GammaBetaBackwardCUDAKernelTemplateIffLj64ELj16ELj256ELb0ELb1ELb1EEEvllPKT_S5_PKT0_S8_PS3_S9_.kd
    .uniform_work_group_size: 1
    .uses_dynamic_stack: false
    .vgpr_count:     63
    .vgpr_spill_count: 0
    .wavefront_size: 64
  - .agpr_count:     0
    .args:
      - .offset:         0
        .size:           8
        .value_kind:     by_value
      - .offset:         8
        .size:           8
        .value_kind:     by_value
      - .actual_access:  read_only
        .address_space:  global
        .offset:         16
        .size:           8
        .value_kind:     global_buffer
      - .actual_access:  read_only
        .address_space:  global
        .offset:         24
        .size:           8
        .value_kind:     global_buffer
      - .actual_access:  read_only
        .address_space:  global
        .offset:         32
        .size:           8
        .value_kind:     global_buffer
      - .actual_access:  read_only
        .address_space:  global
        .offset:         40
        .size:           8
        .value_kind:     global_buffer
      - .actual_access:  write_only
        .address_space:  global
        .offset:         48
        .size:           8
        .value_kind:     global_buffer
      - .actual_access:  read_only
        .address_space:  global
        .offset:         56
        .size:           8
        .value_kind:     global_buffer
      - .offset:         64
        .size:           4
        .value_kind:     hidden_block_count_x
      - .offset:         68
        .size:           4
        .value_kind:     hidden_block_count_y
      - .offset:         72
        .size:           4
        .value_kind:     hidden_block_count_z
      - .offset:         76
        .size:           2
        .value_kind:     hidden_group_size_x
      - .offset:         78
        .size:           2
        .value_kind:     hidden_group_size_y
      - .offset:         80
        .size:           2
        .value_kind:     hidden_group_size_z
      - .offset:         82
        .size:           2
        .value_kind:     hidden_remainder_x
      - .offset:         84
        .size:           2
        .value_kind:     hidden_remainder_y
      - .offset:         86
        .size:           2
        .value_kind:     hidden_remainder_z
      - .offset:         104
        .size:           8
        .value_kind:     hidden_global_offset_x
      - .offset:         112
        .size:           8
        .value_kind:     hidden_global_offset_y
      - .offset:         120
        .size:           8
        .value_kind:     hidden_global_offset_z
      - .offset:         128
        .size:           2
        .value_kind:     hidden_grid_dims
      - .offset:         184
        .size:           4
        .value_kind:     hidden_dynamic_lds_size
    .group_segment_fixed_size: 0
    .kernarg_segment_align: 8
    .kernarg_segment_size: 320
    .language:       OpenCL C
    .language_version:
      - 2
      - 0
    .max_flat_workgroup_size: 1024
    .name:           _ZN2at6native12_GLOBAL__N_135GammaBetaBackwardCUDAKernelTemplateIffLj64ELj16ELj256ELb0ELb0ELb1EEEvllPKT_S5_PKT0_S8_PS3_S9_
    .private_segment_fixed_size: 176
    .sgpr_count:     72
    .sgpr_spill_count: 0
    .symbol:         _ZN2at6native12_GLOBAL__N_135GammaBetaBackwardCUDAKernelTemplateIffLj64ELj16ELj256ELb0ELb0ELb1EEEvllPKT_S5_PKT0_S8_PS3_S9_.kd
    .uniform_work_group_size: 1
    .uses_dynamic_stack: false
    .vgpr_count:     128
    .vgpr_spill_count: 83
    .wavefront_size: 64
  - .agpr_count:     0
    .args:
      - .offset:         0
        .size:           8
        .value_kind:     by_value
      - .offset:         8
        .size:           8
        .value_kind:     by_value
      - .actual_access:  read_only
        .address_space:  global
        .offset:         16
        .size:           8
        .value_kind:     global_buffer
      - .actual_access:  read_only
        .address_space:  global
        .offset:         24
        .size:           8
        .value_kind:     global_buffer
      - .actual_access:  read_only
        .address_space:  global
        .offset:         32
        .size:           8
        .value_kind:     global_buffer
      - .actual_access:  read_only
        .address_space:  global
        .offset:         40
        .size:           8
        .value_kind:     global_buffer
      - .actual_access:  write_only
        .address_space:  global
        .offset:         48
        .size:           8
        .value_kind:     global_buffer
      - .actual_access:  read_only
        .address_space:  global
        .offset:         56
        .size:           8
        .value_kind:     global_buffer
      - .offset:         64
        .size:           4
        .value_kind:     hidden_block_count_x
      - .offset:         68
        .size:           4
        .value_kind:     hidden_block_count_y
      - .offset:         72
        .size:           4
        .value_kind:     hidden_block_count_z
      - .offset:         76
        .size:           2
        .value_kind:     hidden_group_size_x
      - .offset:         78
        .size:           2
        .value_kind:     hidden_group_size_y
      - .offset:         80
        .size:           2
        .value_kind:     hidden_group_size_z
      - .offset:         82
        .size:           2
        .value_kind:     hidden_remainder_x
      - .offset:         84
        .size:           2
        .value_kind:     hidden_remainder_y
      - .offset:         86
        .size:           2
        .value_kind:     hidden_remainder_z
      - .offset:         104
        .size:           8
        .value_kind:     hidden_global_offset_x
      - .offset:         112
        .size:           8
        .value_kind:     hidden_global_offset_y
      - .offset:         120
        .size:           8
        .value_kind:     hidden_global_offset_z
      - .offset:         128
        .size:           2
        .value_kind:     hidden_grid_dims
    .group_segment_fixed_size: 0
    .kernarg_segment_align: 8
    .kernarg_segment_size: 320
    .language:       OpenCL C
    .language_version:
      - 2
      - 0
    .max_flat_workgroup_size: 32
    .name:           _ZN2at6native12_GLOBAL__N_135GammaBetaBackwardCUDAKernelTemplateIffLj32ELj1ELj32ELb1ELb1ELb1EEEvllPKT_S5_PKT0_S8_PS3_S9_
    .private_segment_fixed_size: 0
    .sgpr_count:     38
    .sgpr_spill_count: 0
    .symbol:         _ZN2at6native12_GLOBAL__N_135GammaBetaBackwardCUDAKernelTemplateIffLj32ELj1ELj32ELb1ELb1ELb1EEEvllPKT_S5_PKT0_S8_PS3_S9_.kd
    .uniform_work_group_size: 1
    .uses_dynamic_stack: false
    .vgpr_count:     97
    .vgpr_spill_count: 0
    .wavefront_size: 64
  - .agpr_count:     75
    .args:
      - .offset:         0
        .size:           8
        .value_kind:     by_value
      - .offset:         8
        .size:           8
        .value_kind:     by_value
      - .actual_access:  read_only
        .address_space:  global
        .offset:         16
        .size:           8
        .value_kind:     global_buffer
      - .actual_access:  read_only
        .address_space:  global
        .offset:         24
        .size:           8
        .value_kind:     global_buffer
      - .actual_access:  read_only
        .address_space:  global
        .offset:         32
        .size:           8
        .value_kind:     global_buffer
      - .actual_access:  read_only
        .address_space:  global
        .offset:         40
        .size:           8
        .value_kind:     global_buffer
      - .actual_access:  write_only
        .address_space:  global
        .offset:         48
        .size:           8
        .value_kind:     global_buffer
      - .actual_access:  read_only
        .address_space:  global
        .offset:         56
        .size:           8
        .value_kind:     global_buffer
      - .offset:         64
        .size:           4
        .value_kind:     hidden_block_count_x
      - .offset:         68
        .size:           4
        .value_kind:     hidden_block_count_y
      - .offset:         72
        .size:           4
        .value_kind:     hidden_block_count_z
      - .offset:         76
        .size:           2
        .value_kind:     hidden_group_size_x
      - .offset:         78
        .size:           2
        .value_kind:     hidden_group_size_y
      - .offset:         80
        .size:           2
        .value_kind:     hidden_group_size_z
      - .offset:         82
        .size:           2
        .value_kind:     hidden_remainder_x
      - .offset:         84
        .size:           2
        .value_kind:     hidden_remainder_y
      - .offset:         86
        .size:           2
        .value_kind:     hidden_remainder_z
      - .offset:         104
        .size:           8
        .value_kind:     hidden_global_offset_x
      - .offset:         112
        .size:           8
        .value_kind:     hidden_global_offset_y
      - .offset:         120
        .size:           8
        .value_kind:     hidden_global_offset_z
      - .offset:         128
        .size:           2
        .value_kind:     hidden_grid_dims
    .group_segment_fixed_size: 0
    .kernarg_segment_align: 8
    .kernarg_segment_size: 320
    .language:       OpenCL C
    .language_version:
      - 2
      - 0
    .max_flat_workgroup_size: 32
    .name:           _ZN2at6native12_GLOBAL__N_135GammaBetaBackwardCUDAKernelTemplateIffLj32ELj1ELj32ELb1ELb0ELb1EEEvllPKT_S5_PKT0_S8_PS3_S9_
    .private_segment_fixed_size: 0
    .sgpr_count:     44
    .sgpr_spill_count: 0
    .symbol:         _ZN2at6native12_GLOBAL__N_135GammaBetaBackwardCUDAKernelTemplateIffLj32ELj1ELj32ELb1ELb0ELb1EEEvllPKT_S5_PKT0_S8_PS3_S9_.kd
    .uniform_work_group_size: 1
    .uses_dynamic_stack: false
    .vgpr_count:     331
    .vgpr_spill_count: 0
    .wavefront_size: 64
  - .agpr_count:     0
    .args:
      - .offset:         0
        .size:           8
        .value_kind:     by_value
      - .offset:         8
        .size:           8
        .value_kind:     by_value
      - .actual_access:  read_only
        .address_space:  global
        .offset:         16
        .size:           8
        .value_kind:     global_buffer
      - .actual_access:  read_only
        .address_space:  global
        .offset:         24
        .size:           8
        .value_kind:     global_buffer
      - .actual_access:  read_only
        .address_space:  global
        .offset:         32
        .size:           8
        .value_kind:     global_buffer
      - .actual_access:  read_only
        .address_space:  global
        .offset:         40
        .size:           8
        .value_kind:     global_buffer
      - .actual_access:  write_only
        .address_space:  global
        .offset:         48
        .size:           8
        .value_kind:     global_buffer
      - .actual_access:  read_only
        .address_space:  global
        .offset:         56
        .size:           8
        .value_kind:     global_buffer
      - .offset:         64
        .size:           4
        .value_kind:     hidden_block_count_x
      - .offset:         68
        .size:           4
        .value_kind:     hidden_block_count_y
      - .offset:         72
        .size:           4
        .value_kind:     hidden_block_count_z
      - .offset:         76
        .size:           2
        .value_kind:     hidden_group_size_x
      - .offset:         78
        .size:           2
        .value_kind:     hidden_group_size_y
      - .offset:         80
        .size:           2
        .value_kind:     hidden_group_size_z
      - .offset:         82
        .size:           2
        .value_kind:     hidden_remainder_x
      - .offset:         84
        .size:           2
        .value_kind:     hidden_remainder_y
      - .offset:         86
        .size:           2
        .value_kind:     hidden_remainder_z
      - .offset:         104
        .size:           8
        .value_kind:     hidden_global_offset_x
      - .offset:         112
        .size:           8
        .value_kind:     hidden_global_offset_y
      - .offset:         120
        .size:           8
        .value_kind:     hidden_global_offset_z
      - .offset:         128
        .size:           2
        .value_kind:     hidden_grid_dims
    .group_segment_fixed_size: 0
    .kernarg_segment_align: 8
    .kernarg_segment_size: 320
    .language:       OpenCL C
    .language_version:
      - 2
      - 0
    .max_flat_workgroup_size: 32
    .name:           _ZN2at6native12_GLOBAL__N_135GammaBetaBackwardCUDAKernelTemplateIffLj32ELj1ELj8ELb1ELb1ELb1EEEvllPKT_S5_PKT0_S8_PS3_S9_
    .private_segment_fixed_size: 0
    .sgpr_count:     38
    .sgpr_spill_count: 0
    .symbol:         _ZN2at6native12_GLOBAL__N_135GammaBetaBackwardCUDAKernelTemplateIffLj32ELj1ELj8ELb1ELb1ELb1EEEvllPKT_S5_PKT0_S8_PS3_S9_.kd
    .uniform_work_group_size: 1
    .uses_dynamic_stack: false
    .vgpr_count:     44
    .vgpr_spill_count: 0
    .wavefront_size: 64
  - .agpr_count:     0
    .args:
      - .offset:         0
        .size:           8
        .value_kind:     by_value
      - .offset:         8
        .size:           8
        .value_kind:     by_value
      - .actual_access:  read_only
        .address_space:  global
        .offset:         16
        .size:           8
        .value_kind:     global_buffer
      - .actual_access:  read_only
        .address_space:  global
        .offset:         24
        .size:           8
        .value_kind:     global_buffer
      - .actual_access:  read_only
        .address_space:  global
        .offset:         32
        .size:           8
        .value_kind:     global_buffer
      - .actual_access:  read_only
        .address_space:  global
        .offset:         40
        .size:           8
        .value_kind:     global_buffer
      - .actual_access:  write_only
        .address_space:  global
        .offset:         48
        .size:           8
        .value_kind:     global_buffer
      - .actual_access:  read_only
        .address_space:  global
        .offset:         56
        .size:           8
        .value_kind:     global_buffer
      - .offset:         64
        .size:           4
        .value_kind:     hidden_block_count_x
      - .offset:         68
        .size:           4
        .value_kind:     hidden_block_count_y
      - .offset:         72
        .size:           4
        .value_kind:     hidden_block_count_z
      - .offset:         76
        .size:           2
        .value_kind:     hidden_group_size_x
      - .offset:         78
        .size:           2
        .value_kind:     hidden_group_size_y
      - .offset:         80
        .size:           2
        .value_kind:     hidden_group_size_z
      - .offset:         82
        .size:           2
        .value_kind:     hidden_remainder_x
      - .offset:         84
        .size:           2
        .value_kind:     hidden_remainder_y
      - .offset:         86
        .size:           2
        .value_kind:     hidden_remainder_z
      - .offset:         104
        .size:           8
        .value_kind:     hidden_global_offset_x
      - .offset:         112
        .size:           8
        .value_kind:     hidden_global_offset_y
      - .offset:         120
        .size:           8
        .value_kind:     hidden_global_offset_z
      - .offset:         128
        .size:           2
        .value_kind:     hidden_grid_dims
    .group_segment_fixed_size: 0
    .kernarg_segment_align: 8
    .kernarg_segment_size: 320
    .language:       OpenCL C
    .language_version:
      - 2
      - 0
    .max_flat_workgroup_size: 32
    .name:           _ZN2at6native12_GLOBAL__N_135GammaBetaBackwardCUDAKernelTemplateIffLj32ELj1ELj8ELb1ELb0ELb1EEEvllPKT_S5_PKT0_S8_PS3_S9_
    .private_segment_fixed_size: 0
    .sgpr_count:     44
    .sgpr_spill_count: 0
    .symbol:         _ZN2at6native12_GLOBAL__N_135GammaBetaBackwardCUDAKernelTemplateIffLj32ELj1ELj8ELb1ELb0ELb1EEEvllPKT_S5_PKT0_S8_PS3_S9_.kd
    .uniform_work_group_size: 1
    .uses_dynamic_stack: false
    .vgpr_count:     96
    .vgpr_spill_count: 0
    .wavefront_size: 64
  - .agpr_count:     0
    .args:
      - .offset:         0
        .size:           8
        .value_kind:     by_value
      - .offset:         8
        .size:           8
        .value_kind:     by_value
      - .actual_access:  read_only
        .address_space:  global
        .offset:         16
        .size:           8
        .value_kind:     global_buffer
      - .actual_access:  read_only
        .address_space:  global
        .offset:         24
        .size:           8
        .value_kind:     global_buffer
      - .actual_access:  read_only
        .address_space:  global
        .offset:         32
        .size:           8
        .value_kind:     global_buffer
      - .actual_access:  read_only
        .address_space:  global
        .offset:         40
        .size:           8
        .value_kind:     global_buffer
      - .actual_access:  write_only
        .address_space:  global
        .offset:         48
        .size:           8
        .value_kind:     global_buffer
      - .actual_access:  read_only
        .address_space:  global
        .offset:         56
        .size:           8
        .value_kind:     global_buffer
      - .offset:         64
        .size:           4
        .value_kind:     hidden_block_count_x
      - .offset:         68
        .size:           4
        .value_kind:     hidden_block_count_y
      - .offset:         72
        .size:           4
        .value_kind:     hidden_block_count_z
      - .offset:         76
        .size:           2
        .value_kind:     hidden_group_size_x
      - .offset:         78
        .size:           2
        .value_kind:     hidden_group_size_y
      - .offset:         80
        .size:           2
        .value_kind:     hidden_group_size_z
      - .offset:         82
        .size:           2
        .value_kind:     hidden_remainder_x
      - .offset:         84
        .size:           2
        .value_kind:     hidden_remainder_y
      - .offset:         86
        .size:           2
        .value_kind:     hidden_remainder_z
      - .offset:         104
        .size:           8
        .value_kind:     hidden_global_offset_x
      - .offset:         112
        .size:           8
        .value_kind:     hidden_global_offset_y
      - .offset:         120
        .size:           8
        .value_kind:     hidden_global_offset_z
      - .offset:         128
        .size:           2
        .value_kind:     hidden_grid_dims
      - .offset:         184
        .size:           4
        .value_kind:     hidden_dynamic_lds_size
    .group_segment_fixed_size: 0
    .kernarg_segment_align: 8
    .kernarg_segment_size: 320
    .language:       OpenCL C
    .language_version:
      - 2
      - 0
    .max_flat_workgroup_size: 256
    .name:           _ZN2at6native12_GLOBAL__N_135GammaBetaBackwardCUDAKernelTemplateIffLj32ELj8ELj64ELb0ELb1ELb1EEEvllPKT_S5_PKT0_S8_PS3_S9_
    .private_segment_fixed_size: 0
    .sgpr_count:     32
    .sgpr_spill_count: 0
    .symbol:         _ZN2at6native12_GLOBAL__N_135GammaBetaBackwardCUDAKernelTemplateIffLj32ELj8ELj64ELb0ELb1ELb1EEEvllPKT_S5_PKT0_S8_PS3_S9_.kd
    .uniform_work_group_size: 1
    .uses_dynamic_stack: false
    .vgpr_count:     46
    .vgpr_spill_count: 0
    .wavefront_size: 64
  - .agpr_count:     0
    .args:
      - .offset:         0
        .size:           8
        .value_kind:     by_value
      - .offset:         8
        .size:           8
        .value_kind:     by_value
      - .actual_access:  read_only
        .address_space:  global
        .offset:         16
        .size:           8
        .value_kind:     global_buffer
      - .actual_access:  read_only
        .address_space:  global
        .offset:         24
        .size:           8
        .value_kind:     global_buffer
      - .actual_access:  read_only
        .address_space:  global
        .offset:         32
        .size:           8
        .value_kind:     global_buffer
      - .actual_access:  read_only
        .address_space:  global
        .offset:         40
        .size:           8
        .value_kind:     global_buffer
      - .actual_access:  write_only
        .address_space:  global
        .offset:         48
        .size:           8
        .value_kind:     global_buffer
      - .actual_access:  read_only
        .address_space:  global
        .offset:         56
        .size:           8
        .value_kind:     global_buffer
      - .offset:         64
        .size:           4
        .value_kind:     hidden_block_count_x
      - .offset:         68
        .size:           4
        .value_kind:     hidden_block_count_y
      - .offset:         72
        .size:           4
        .value_kind:     hidden_block_count_z
      - .offset:         76
        .size:           2
        .value_kind:     hidden_group_size_x
      - .offset:         78
        .size:           2
        .value_kind:     hidden_group_size_y
      - .offset:         80
        .size:           2
        .value_kind:     hidden_group_size_z
      - .offset:         82
        .size:           2
        .value_kind:     hidden_remainder_x
      - .offset:         84
        .size:           2
        .value_kind:     hidden_remainder_y
      - .offset:         86
        .size:           2
        .value_kind:     hidden_remainder_z
      - .offset:         104
        .size:           8
        .value_kind:     hidden_global_offset_x
      - .offset:         112
        .size:           8
        .value_kind:     hidden_global_offset_y
      - .offset:         120
        .size:           8
        .value_kind:     hidden_global_offset_z
      - .offset:         128
        .size:           2
        .value_kind:     hidden_grid_dims
      - .offset:         184
        .size:           4
        .value_kind:     hidden_dynamic_lds_size
    .group_segment_fixed_size: 0
    .kernarg_segment_align: 8
    .kernarg_segment_size: 320
    .language:       OpenCL C
    .language_version:
      - 2
      - 0
    .max_flat_workgroup_size: 256
    .name:           _ZN2at6native12_GLOBAL__N_135GammaBetaBackwardCUDAKernelTemplateIffLj32ELj8ELj64ELb0ELb0ELb1EEEvllPKT_S5_PKT0_S8_PS3_S9_
    .private_segment_fixed_size: 0
    .sgpr_count:     56
    .sgpr_spill_count: 0
    .symbol:         _ZN2at6native12_GLOBAL__N_135GammaBetaBackwardCUDAKernelTemplateIffLj32ELj8ELj64ELb0ELb0ELb1EEEvllPKT_S5_PKT0_S8_PS3_S9_.kd
    .uniform_work_group_size: 1
    .uses_dynamic_stack: false
    .vgpr_count:     96
    .vgpr_spill_count: 0
    .wavefront_size: 64
  - .agpr_count:     0
    .args:
      - .offset:         0
        .size:           8
        .value_kind:     by_value
      - .offset:         8
        .size:           8
        .value_kind:     by_value
      - .actual_access:  read_only
        .address_space:  global
        .offset:         16
        .size:           8
        .value_kind:     global_buffer
      - .actual_access:  read_only
        .address_space:  global
        .offset:         24
        .size:           8
        .value_kind:     global_buffer
      - .actual_access:  read_only
        .address_space:  global
        .offset:         32
        .size:           8
        .value_kind:     global_buffer
      - .actual_access:  read_only
        .address_space:  global
        .offset:         40
        .size:           8
        .value_kind:     global_buffer
      - .actual_access:  write_only
        .address_space:  global
        .offset:         48
        .size:           8
        .value_kind:     global_buffer
      - .actual_access:  read_only
        .address_space:  global
        .offset:         56
        .size:           8
        .value_kind:     global_buffer
      - .offset:         64
        .size:           4
        .value_kind:     hidden_block_count_x
      - .offset:         68
        .size:           4
        .value_kind:     hidden_block_count_y
      - .offset:         72
        .size:           4
        .value_kind:     hidden_block_count_z
      - .offset:         76
        .size:           2
        .value_kind:     hidden_group_size_x
      - .offset:         78
        .size:           2
        .value_kind:     hidden_group_size_y
      - .offset:         80
        .size:           2
        .value_kind:     hidden_group_size_z
      - .offset:         82
        .size:           2
        .value_kind:     hidden_remainder_x
      - .offset:         84
        .size:           2
        .value_kind:     hidden_remainder_y
      - .offset:         86
        .size:           2
        .value_kind:     hidden_remainder_z
      - .offset:         104
        .size:           8
        .value_kind:     hidden_global_offset_x
      - .offset:         112
        .size:           8
        .value_kind:     hidden_global_offset_y
      - .offset:         120
        .size:           8
        .value_kind:     hidden_global_offset_z
      - .offset:         128
        .size:           2
        .value_kind:     hidden_grid_dims
      - .offset:         184
        .size:           4
        .value_kind:     hidden_dynamic_lds_size
    .group_segment_fixed_size: 0
    .kernarg_segment_align: 8
    .kernarg_segment_size: 320
    .language:       OpenCL C
    .language_version:
      - 2
      - 0
    .max_flat_workgroup_size: 512
    .name:           _ZN2at6native12_GLOBAL__N_135GammaBetaBackwardCUDAKernelTemplateIffLj32ELj16ELj128ELb0ELb1ELb1EEEvllPKT_S5_PKT0_S8_PS3_S9_
    .private_segment_fixed_size: 0
    .sgpr_count:     32
    .sgpr_spill_count: 0
    .symbol:         _ZN2at6native12_GLOBAL__N_135GammaBetaBackwardCUDAKernelTemplateIffLj32ELj16ELj128ELb0ELb1ELb1EEEvllPKT_S5_PKT0_S8_PS3_S9_.kd
    .uniform_work_group_size: 1
    .uses_dynamic_stack: false
    .vgpr_count:     46
    .vgpr_spill_count: 0
    .wavefront_size: 64
  - .agpr_count:     0
    .args:
      - .offset:         0
        .size:           8
        .value_kind:     by_value
      - .offset:         8
        .size:           8
        .value_kind:     by_value
      - .actual_access:  read_only
        .address_space:  global
        .offset:         16
        .size:           8
        .value_kind:     global_buffer
      - .actual_access:  read_only
        .address_space:  global
        .offset:         24
        .size:           8
        .value_kind:     global_buffer
      - .actual_access:  read_only
        .address_space:  global
        .offset:         32
        .size:           8
        .value_kind:     global_buffer
      - .actual_access:  read_only
        .address_space:  global
        .offset:         40
        .size:           8
        .value_kind:     global_buffer
      - .actual_access:  write_only
        .address_space:  global
        .offset:         48
        .size:           8
        .value_kind:     global_buffer
      - .actual_access:  read_only
        .address_space:  global
        .offset:         56
        .size:           8
        .value_kind:     global_buffer
      - .offset:         64
        .size:           4
        .value_kind:     hidden_block_count_x
      - .offset:         68
        .size:           4
        .value_kind:     hidden_block_count_y
      - .offset:         72
        .size:           4
        .value_kind:     hidden_block_count_z
      - .offset:         76
        .size:           2
        .value_kind:     hidden_group_size_x
      - .offset:         78
        .size:           2
        .value_kind:     hidden_group_size_y
      - .offset:         80
        .size:           2
        .value_kind:     hidden_group_size_z
      - .offset:         82
        .size:           2
        .value_kind:     hidden_remainder_x
      - .offset:         84
        .size:           2
        .value_kind:     hidden_remainder_y
      - .offset:         86
        .size:           2
        .value_kind:     hidden_remainder_z
      - .offset:         104
        .size:           8
        .value_kind:     hidden_global_offset_x
      - .offset:         112
        .size:           8
        .value_kind:     hidden_global_offset_y
      - .offset:         120
        .size:           8
        .value_kind:     hidden_global_offset_z
      - .offset:         128
        .size:           2
        .value_kind:     hidden_grid_dims
      - .offset:         184
        .size:           4
        .value_kind:     hidden_dynamic_lds_size
    .group_segment_fixed_size: 0
    .kernarg_segment_align: 8
    .kernarg_segment_size: 320
    .language:       OpenCL C
    .language_version:
      - 2
      - 0
    .max_flat_workgroup_size: 512
    .name:           _ZN2at6native12_GLOBAL__N_135GammaBetaBackwardCUDAKernelTemplateIffLj32ELj16ELj128ELb0ELb0ELb1EEEvllPKT_S5_PKT0_S8_PS3_S9_
    .private_segment_fixed_size: 0
    .sgpr_count:     56
    .sgpr_spill_count: 0
    .symbol:         _ZN2at6native12_GLOBAL__N_135GammaBetaBackwardCUDAKernelTemplateIffLj32ELj16ELj128ELb0ELb0ELb1EEEvllPKT_S5_PKT0_S8_PS3_S9_.kd
    .uniform_work_group_size: 1
    .uses_dynamic_stack: false
    .vgpr_count:     96
    .vgpr_spill_count: 0
    .wavefront_size: 64
  - .agpr_count:     0
    .args:
      - .offset:         0
        .size:           8
        .value_kind:     by_value
      - .offset:         8
        .size:           8
        .value_kind:     by_value
      - .actual_access:  read_only
        .address_space:  global
        .offset:         16
        .size:           8
        .value_kind:     global_buffer
      - .actual_access:  read_only
        .address_space:  global
        .offset:         24
        .size:           8
        .value_kind:     global_buffer
      - .actual_access:  read_only
        .address_space:  global
        .offset:         32
        .size:           8
        .value_kind:     global_buffer
      - .actual_access:  read_only
        .address_space:  global
        .offset:         40
        .size:           8
        .value_kind:     global_buffer
      - .actual_access:  write_only
        .address_space:  global
        .offset:         48
        .size:           8
        .value_kind:     global_buffer
      - .actual_access:  read_only
        .address_space:  global
        .offset:         56
        .size:           8
        .value_kind:     global_buffer
      - .offset:         64
        .size:           4
        .value_kind:     hidden_block_count_x
      - .offset:         68
        .size:           4
        .value_kind:     hidden_block_count_y
      - .offset:         72
        .size:           4
        .value_kind:     hidden_block_count_z
      - .offset:         76
        .size:           2
        .value_kind:     hidden_group_size_x
      - .offset:         78
        .size:           2
        .value_kind:     hidden_group_size_y
      - .offset:         80
        .size:           2
        .value_kind:     hidden_group_size_z
      - .offset:         82
        .size:           2
        .value_kind:     hidden_remainder_x
      - .offset:         84
        .size:           2
        .value_kind:     hidden_remainder_y
      - .offset:         86
        .size:           2
        .value_kind:     hidden_remainder_z
      - .offset:         104
        .size:           8
        .value_kind:     hidden_global_offset_x
      - .offset:         112
        .size:           8
        .value_kind:     hidden_global_offset_y
      - .offset:         120
        .size:           8
        .value_kind:     hidden_global_offset_z
      - .offset:         128
        .size:           2
        .value_kind:     hidden_grid_dims
      - .offset:         184
        .size:           4
        .value_kind:     hidden_dynamic_lds_size
    .group_segment_fixed_size: 0
    .kernarg_segment_align: 8
    .kernarg_segment_size: 320
    .language:       OpenCL C
    .language_version:
      - 2
      - 0
    .max_flat_workgroup_size: 1024
    .name:           _ZN2at6native12_GLOBAL__N_135GammaBetaBackwardCUDAKernelTemplateIffLj32ELj32ELj256ELb0ELb1ELb1EEEvllPKT_S5_PKT0_S8_PS3_S9_
    .private_segment_fixed_size: 0
    .sgpr_count:     32
    .sgpr_spill_count: 0
    .symbol:         _ZN2at6native12_GLOBAL__N_135GammaBetaBackwardCUDAKernelTemplateIffLj32ELj32ELj256ELb0ELb1ELb1EEEvllPKT_S5_PKT0_S8_PS3_S9_.kd
    .uniform_work_group_size: 1
    .uses_dynamic_stack: false
    .vgpr_count:     46
    .vgpr_spill_count: 0
    .wavefront_size: 64
  - .agpr_count:     0
    .args:
      - .offset:         0
        .size:           8
        .value_kind:     by_value
      - .offset:         8
        .size:           8
        .value_kind:     by_value
      - .actual_access:  read_only
        .address_space:  global
        .offset:         16
        .size:           8
        .value_kind:     global_buffer
      - .actual_access:  read_only
        .address_space:  global
        .offset:         24
        .size:           8
        .value_kind:     global_buffer
      - .actual_access:  read_only
        .address_space:  global
        .offset:         32
        .size:           8
        .value_kind:     global_buffer
      - .actual_access:  read_only
        .address_space:  global
        .offset:         40
        .size:           8
        .value_kind:     global_buffer
      - .actual_access:  write_only
        .address_space:  global
        .offset:         48
        .size:           8
        .value_kind:     global_buffer
      - .actual_access:  read_only
        .address_space:  global
        .offset:         56
        .size:           8
        .value_kind:     global_buffer
      - .offset:         64
        .size:           4
        .value_kind:     hidden_block_count_x
      - .offset:         68
        .size:           4
        .value_kind:     hidden_block_count_y
      - .offset:         72
        .size:           4
        .value_kind:     hidden_block_count_z
      - .offset:         76
        .size:           2
        .value_kind:     hidden_group_size_x
      - .offset:         78
        .size:           2
        .value_kind:     hidden_group_size_y
      - .offset:         80
        .size:           2
        .value_kind:     hidden_group_size_z
      - .offset:         82
        .size:           2
        .value_kind:     hidden_remainder_x
      - .offset:         84
        .size:           2
        .value_kind:     hidden_remainder_y
      - .offset:         86
        .size:           2
        .value_kind:     hidden_remainder_z
      - .offset:         104
        .size:           8
        .value_kind:     hidden_global_offset_x
      - .offset:         112
        .size:           8
        .value_kind:     hidden_global_offset_y
      - .offset:         120
        .size:           8
        .value_kind:     hidden_global_offset_z
      - .offset:         128
        .size:           2
        .value_kind:     hidden_grid_dims
      - .offset:         184
        .size:           4
        .value_kind:     hidden_dynamic_lds_size
    .group_segment_fixed_size: 0
    .kernarg_segment_align: 8
    .kernarg_segment_size: 320
    .language:       OpenCL C
    .language_version:
      - 2
      - 0
    .max_flat_workgroup_size: 1024
    .name:           _ZN2at6native12_GLOBAL__N_135GammaBetaBackwardCUDAKernelTemplateIffLj32ELj32ELj256ELb0ELb0ELb1EEEvllPKT_S5_PKT0_S8_PS3_S9_
    .private_segment_fixed_size: 0
    .sgpr_count:     56
    .sgpr_spill_count: 0
    .symbol:         _ZN2at6native12_GLOBAL__N_135GammaBetaBackwardCUDAKernelTemplateIffLj32ELj32ELj256ELb0ELb0ELb1EEEvllPKT_S5_PKT0_S8_PS3_S9_.kd
    .uniform_work_group_size: 1
    .uses_dynamic_stack: false
    .vgpr_count:     96
    .vgpr_spill_count: 0
    .wavefront_size: 64
  - .agpr_count:     0
    .args:
      - .actual_access:  read_only
        .address_space:  global
        .offset:         0
        .size:           8
        .value_kind:     global_buffer
      - .actual_access:  read_only
        .address_space:  global
        .offset:         8
        .size:           8
        .value_kind:     global_buffer
      - .offset:         16
        .size:           8
        .value_kind:     by_value
      - .offset:         24
        .size:           8
        .value_kind:     by_value
      - .actual_access:  read_only
        .address_space:  global
        .offset:         32
        .size:           8
        .value_kind:     global_buffer
      - .actual_access:  read_only
        .address_space:  global
        .offset:         40
        .size:           8
        .value_kind:     global_buffer
      - .address_space:  global
        .offset:         48
        .size:           8
        .value_kind:     global_buffer
      - .address_space:  global
        .offset:         56
        .size:           8
        .value_kind:     global_buffer
      - .offset:         64
        .size:           4
        .value_kind:     hidden_block_count_x
      - .offset:         68
        .size:           4
        .value_kind:     hidden_block_count_y
      - .offset:         72
        .size:           4
        .value_kind:     hidden_block_count_z
      - .offset:         76
        .size:           2
        .value_kind:     hidden_group_size_x
      - .offset:         78
        .size:           2
        .value_kind:     hidden_group_size_y
      - .offset:         80
        .size:           2
        .value_kind:     hidden_group_size_z
      - .offset:         82
        .size:           2
        .value_kind:     hidden_remainder_x
      - .offset:         84
        .size:           2
        .value_kind:     hidden_remainder_y
      - .offset:         86
        .size:           2
        .value_kind:     hidden_remainder_z
      - .offset:         104
        .size:           8
        .value_kind:     hidden_global_offset_x
      - .offset:         112
        .size:           8
        .value_kind:     hidden_global_offset_y
      - .offset:         120
        .size:           8
        .value_kind:     hidden_global_offset_z
      - .offset:         128
        .size:           2
        .value_kind:     hidden_grid_dims
      - .offset:         184
        .size:           4
        .value_kind:     hidden_dynamic_lds_size
    .group_segment_fixed_size: 0
    .kernarg_segment_align: 8
    .kernarg_segment_size: 320
    .language:       OpenCL C
    .language_version:
      - 2
      - 0
    .max_flat_workgroup_size: 1024
    .name:           _ZN2at6native12_GLOBAL__N_118cuComputeGradInputIN3c104HalfEfLb1EEEvPKT_S7_llPKT0_SA_S7_PS5_
    .private_segment_fixed_size: 0
    .sgpr_count:     54
    .sgpr_spill_count: 0
    .symbol:         _ZN2at6native12_GLOBAL__N_118cuComputeGradInputIN3c104HalfEfLb1EEEvPKT_S7_llPKT0_SA_S7_PS5_.kd
    .uniform_work_group_size: 1
    .uses_dynamic_stack: false
    .vgpr_count:     28
    .vgpr_spill_count: 0
    .wavefront_size: 64
  - .agpr_count:     0
    .args:
      - .actual_access:  read_only
        .address_space:  global
        .offset:         0
        .size:           8
        .value_kind:     global_buffer
      - .actual_access:  read_only
        .address_space:  global
        .offset:         8
        .size:           8
        .value_kind:     global_buffer
      - .actual_access:  read_only
        .address_space:  global
        .offset:         16
        .size:           8
        .value_kind:     global_buffer
      - .actual_access:  read_only
        .address_space:  global
        .offset:         24
        .size:           8
        .value_kind:     global_buffer
      - .actual_access:  read_only
        .address_space:  global
        .offset:         32
        .size:           8
        .value_kind:     global_buffer
      - .address_space:  global
        .offset:         40
        .size:           8
        .value_kind:     global_buffer
      - .offset:         48
        .size:           4
        .value_kind:     by_value
      - .offset:         56
        .size:           4
        .value_kind:     hidden_block_count_x
      - .offset:         60
        .size:           4
        .value_kind:     hidden_block_count_y
      - .offset:         64
        .size:           4
        .value_kind:     hidden_block_count_z
      - .offset:         68
        .size:           2
        .value_kind:     hidden_group_size_x
      - .offset:         70
        .size:           2
        .value_kind:     hidden_group_size_y
      - .offset:         72
        .size:           2
        .value_kind:     hidden_group_size_z
      - .offset:         74
        .size:           2
        .value_kind:     hidden_remainder_x
      - .offset:         76
        .size:           2
        .value_kind:     hidden_remainder_y
      - .offset:         78
        .size:           2
        .value_kind:     hidden_remainder_z
      - .offset:         96
        .size:           8
        .value_kind:     hidden_global_offset_x
      - .offset:         104
        .size:           8
        .value_kind:     hidden_global_offset_y
      - .offset:         112
        .size:           8
        .value_kind:     hidden_global_offset_z
      - .offset:         120
        .size:           2
        .value_kind:     hidden_grid_dims
      - .offset:         176
        .size:           4
        .value_kind:     hidden_dynamic_lds_size
    .group_segment_fixed_size: 0
    .kernarg_segment_align: 8
    .kernarg_segment_size: 312
    .language:       OpenCL C
    .language_version:
      - 2
      - 0
    .max_flat_workgroup_size: 1024
    .name:           _ZN2at6native12_GLOBAL__N_128layer_norm_grad_input_kernelIN3c104HalfEfLb1EEEvPKT_S7_PKT0_SA_S7_PS5_i
    .private_segment_fixed_size: 0
    .sgpr_count:     33
    .sgpr_spill_count: 0
    .symbol:         _ZN2at6native12_GLOBAL__N_128layer_norm_grad_input_kernelIN3c104HalfEfLb1EEEvPKT_S7_PKT0_SA_S7_PS5_i.kd
    .uniform_work_group_size: 1
    .uses_dynamic_stack: false
    .vgpr_count:     20
    .vgpr_spill_count: 0
    .wavefront_size: 64
  - .agpr_count:     0
    .args:
      - .offset:         0
        .size:           8
        .value_kind:     by_value
      - .offset:         8
        .size:           8
        .value_kind:     by_value
      - .address_space:  global
        .offset:         16
        .size:           8
        .value_kind:     global_buffer
      - .address_space:  global
        .offset:         24
        .size:           8
        .value_kind:     global_buffer
      - .address_space:  global
        .offset:         32
        .size:           8
        .value_kind:     global_buffer
      - .address_space:  global
        .offset:         40
        .size:           8
        .value_kind:     global_buffer
      - .address_space:  global
        .offset:         48
        .size:           8
        .value_kind:     global_buffer
      - .address_space:  global
        .offset:         56
        .size:           8
        .value_kind:     global_buffer
      - .offset:         64
        .size:           4
        .value_kind:     hidden_block_count_x
      - .offset:         68
        .size:           4
        .value_kind:     hidden_block_count_y
      - .offset:         72
        .size:           4
        .value_kind:     hidden_block_count_z
      - .offset:         76
        .size:           2
        .value_kind:     hidden_group_size_x
      - .offset:         78
        .size:           2
        .value_kind:     hidden_group_size_y
      - .offset:         80
        .size:           2
        .value_kind:     hidden_group_size_z
      - .offset:         82
        .size:           2
        .value_kind:     hidden_remainder_x
      - .offset:         84
        .size:           2
        .value_kind:     hidden_remainder_y
      - .offset:         86
        .size:           2
        .value_kind:     hidden_remainder_z
      - .offset:         104
        .size:           8
        .value_kind:     hidden_global_offset_x
      - .offset:         112
        .size:           8
        .value_kind:     hidden_global_offset_y
      - .offset:         120
        .size:           8
        .value_kind:     hidden_global_offset_z
      - .offset:         128
        .size:           2
        .value_kind:     hidden_grid_dims
    .group_segment_fixed_size: 0
    .kernarg_segment_align: 8
    .kernarg_segment_size: 320
    .language:       OpenCL C
    .language_version:
      - 2
      - 0
    .max_flat_workgroup_size: 1024
    .name:           _ZN2at6native12_GLOBAL__N_133GammaBetaBackwardSimpleCUDAKernelIN3c104HalfEfLb1EEEvllPKT_S7_PKT0_SA_PS5_SB_
    .private_segment_fixed_size: 0
    .sgpr_count:     22
    .sgpr_spill_count: 0
    .symbol:         _ZN2at6native12_GLOBAL__N_133GammaBetaBackwardSimpleCUDAKernelIN3c104HalfEfLb1EEEvllPKT_S7_PKT0_SA_PS5_SB_.kd
    .uniform_work_group_size: 1
    .uses_dynamic_stack: false
    .vgpr_count:     8
    .vgpr_spill_count: 0
    .wavefront_size: 64
  - .agpr_count:     0
    .args:
      - .offset:         0
        .size:           8
        .value_kind:     by_value
      - .offset:         8
        .size:           8
        .value_kind:     by_value
      - .actual_access:  read_only
        .address_space:  global
        .offset:         16
        .size:           8
        .value_kind:     global_buffer
      - .actual_access:  read_only
        .address_space:  global
        .offset:         24
        .size:           8
        .value_kind:     global_buffer
      - .actual_access:  read_only
        .address_space:  global
        .offset:         32
        .size:           8
        .value_kind:     global_buffer
      - .actual_access:  read_only
        .address_space:  global
        .offset:         40
        .size:           8
        .value_kind:     global_buffer
      - .actual_access:  write_only
        .address_space:  global
        .offset:         48
        .size:           8
        .value_kind:     global_buffer
      - .actual_access:  read_only
        .address_space:  global
        .offset:         56
        .size:           8
        .value_kind:     global_buffer
      - .offset:         64
        .size:           4
        .value_kind:     hidden_block_count_x
      - .offset:         68
        .size:           4
        .value_kind:     hidden_block_count_y
      - .offset:         72
        .size:           4
        .value_kind:     hidden_block_count_z
      - .offset:         76
        .size:           2
        .value_kind:     hidden_group_size_x
      - .offset:         78
        .size:           2
        .value_kind:     hidden_group_size_y
      - .offset:         80
        .size:           2
        .value_kind:     hidden_group_size_z
      - .offset:         82
        .size:           2
        .value_kind:     hidden_remainder_x
      - .offset:         84
        .size:           2
        .value_kind:     hidden_remainder_y
      - .offset:         86
        .size:           2
        .value_kind:     hidden_remainder_z
      - .offset:         104
        .size:           8
        .value_kind:     hidden_global_offset_x
      - .offset:         112
        .size:           8
        .value_kind:     hidden_global_offset_y
      - .offset:         120
        .size:           8
        .value_kind:     hidden_global_offset_z
      - .offset:         128
        .size:           2
        .value_kind:     hidden_grid_dims
    .group_segment_fixed_size: 0
    .kernarg_segment_align: 8
    .kernarg_segment_size: 320
    .language:       OpenCL C
    .language_version:
      - 2
      - 0
    .max_flat_workgroup_size: 64
    .name:           _ZN2at6native12_GLOBAL__N_135GammaBetaBackwardCUDAKernelTemplateIN3c104HalfEfLj64ELj1ELj32ELb1ELb1ELb1EEEvllPKT_S7_PKT0_SA_PS5_SB_
    .private_segment_fixed_size: 0
    .sgpr_count:     38
    .sgpr_spill_count: 0
    .symbol:         _ZN2at6native12_GLOBAL__N_135GammaBetaBackwardCUDAKernelTemplateIN3c104HalfEfLj64ELj1ELj32ELb1ELb1ELb1EEEvllPKT_S7_PKT0_SA_PS5_SB_.kd
    .uniform_work_group_size: 1
    .uses_dynamic_stack: false
    .vgpr_count:     70
    .vgpr_spill_count: 0
    .wavefront_size: 64
  - .agpr_count:     75
    .args:
      - .offset:         0
        .size:           8
        .value_kind:     by_value
      - .offset:         8
        .size:           8
        .value_kind:     by_value
      - .actual_access:  read_only
        .address_space:  global
        .offset:         16
        .size:           8
        .value_kind:     global_buffer
      - .actual_access:  read_only
        .address_space:  global
        .offset:         24
        .size:           8
        .value_kind:     global_buffer
      - .actual_access:  read_only
        .address_space:  global
        .offset:         32
        .size:           8
        .value_kind:     global_buffer
      - .actual_access:  read_only
        .address_space:  global
        .offset:         40
        .size:           8
        .value_kind:     global_buffer
      - .actual_access:  write_only
        .address_space:  global
        .offset:         48
        .size:           8
        .value_kind:     global_buffer
      - .actual_access:  read_only
        .address_space:  global
        .offset:         56
        .size:           8
        .value_kind:     global_buffer
      - .offset:         64
        .size:           4
        .value_kind:     hidden_block_count_x
      - .offset:         68
        .size:           4
        .value_kind:     hidden_block_count_y
      - .offset:         72
        .size:           4
        .value_kind:     hidden_block_count_z
      - .offset:         76
        .size:           2
        .value_kind:     hidden_group_size_x
      - .offset:         78
        .size:           2
        .value_kind:     hidden_group_size_y
      - .offset:         80
        .size:           2
        .value_kind:     hidden_group_size_z
      - .offset:         82
        .size:           2
        .value_kind:     hidden_remainder_x
      - .offset:         84
        .size:           2
        .value_kind:     hidden_remainder_y
      - .offset:         86
        .size:           2
        .value_kind:     hidden_remainder_z
      - .offset:         104
        .size:           8
        .value_kind:     hidden_global_offset_x
      - .offset:         112
        .size:           8
        .value_kind:     hidden_global_offset_y
      - .offset:         120
        .size:           8
        .value_kind:     hidden_global_offset_z
      - .offset:         128
        .size:           2
        .value_kind:     hidden_grid_dims
    .group_segment_fixed_size: 0
    .kernarg_segment_align: 8
    .kernarg_segment_size: 320
    .language:       OpenCL C
    .language_version:
      - 2
      - 0
    .max_flat_workgroup_size: 64
    .name:           _ZN2at6native12_GLOBAL__N_135GammaBetaBackwardCUDAKernelTemplateIN3c104HalfEfLj64ELj1ELj32ELb1ELb0ELb1EEEvllPKT_S7_PKT0_SA_PS5_SB_
    .private_segment_fixed_size: 0
    .sgpr_count:     44
    .sgpr_spill_count: 0
    .symbol:         _ZN2at6native12_GLOBAL__N_135GammaBetaBackwardCUDAKernelTemplateIN3c104HalfEfLj64ELj1ELj32ELb1ELb0ELb1EEEvllPKT_S7_PKT0_SA_PS5_SB_.kd
    .uniform_work_group_size: 1
    .uses_dynamic_stack: false
    .vgpr_count:     331
    .vgpr_spill_count: 0
    .wavefront_size: 64
  - .agpr_count:     0
    .args:
      - .offset:         0
        .size:           8
        .value_kind:     by_value
      - .offset:         8
        .size:           8
        .value_kind:     by_value
      - .actual_access:  read_only
        .address_space:  global
        .offset:         16
        .size:           8
        .value_kind:     global_buffer
      - .actual_access:  read_only
        .address_space:  global
        .offset:         24
        .size:           8
        .value_kind:     global_buffer
      - .actual_access:  read_only
        .address_space:  global
        .offset:         32
        .size:           8
        .value_kind:     global_buffer
      - .actual_access:  read_only
        .address_space:  global
        .offset:         40
        .size:           8
        .value_kind:     global_buffer
      - .actual_access:  write_only
        .address_space:  global
        .offset:         48
        .size:           8
        .value_kind:     global_buffer
      - .actual_access:  read_only
        .address_space:  global
        .offset:         56
        .size:           8
        .value_kind:     global_buffer
      - .offset:         64
        .size:           4
        .value_kind:     hidden_block_count_x
      - .offset:         68
        .size:           4
        .value_kind:     hidden_block_count_y
      - .offset:         72
        .size:           4
        .value_kind:     hidden_block_count_z
      - .offset:         76
        .size:           2
        .value_kind:     hidden_group_size_x
      - .offset:         78
        .size:           2
        .value_kind:     hidden_group_size_y
      - .offset:         80
        .size:           2
        .value_kind:     hidden_group_size_z
      - .offset:         82
        .size:           2
        .value_kind:     hidden_remainder_x
      - .offset:         84
        .size:           2
        .value_kind:     hidden_remainder_y
      - .offset:         86
        .size:           2
        .value_kind:     hidden_remainder_z
      - .offset:         104
        .size:           8
        .value_kind:     hidden_global_offset_x
      - .offset:         112
        .size:           8
        .value_kind:     hidden_global_offset_y
      - .offset:         120
        .size:           8
        .value_kind:     hidden_global_offset_z
      - .offset:         128
        .size:           2
        .value_kind:     hidden_grid_dims
    .group_segment_fixed_size: 0
    .kernarg_segment_align: 8
    .kernarg_segment_size: 320
    .language:       OpenCL C
    .language_version:
      - 2
      - 0
    .max_flat_workgroup_size: 64
    .name:           _ZN2at6native12_GLOBAL__N_135GammaBetaBackwardCUDAKernelTemplateIN3c104HalfEfLj64ELj1ELj8ELb1ELb1ELb1EEEvllPKT_S7_PKT0_SA_PS5_SB_
    .private_segment_fixed_size: 0
    .sgpr_count:     38
    .sgpr_spill_count: 0
    .symbol:         _ZN2at6native12_GLOBAL__N_135GammaBetaBackwardCUDAKernelTemplateIN3c104HalfEfLj64ELj1ELj8ELb1ELb1ELb1EEEvllPKT_S7_PKT0_SA_PS5_SB_.kd
    .uniform_work_group_size: 1
    .uses_dynamic_stack: false
    .vgpr_count:     45
    .vgpr_spill_count: 0
    .wavefront_size: 64
  - .agpr_count:     0
    .args:
      - .offset:         0
        .size:           8
        .value_kind:     by_value
      - .offset:         8
        .size:           8
        .value_kind:     by_value
      - .actual_access:  read_only
        .address_space:  global
        .offset:         16
        .size:           8
        .value_kind:     global_buffer
      - .actual_access:  read_only
        .address_space:  global
        .offset:         24
        .size:           8
        .value_kind:     global_buffer
      - .actual_access:  read_only
        .address_space:  global
        .offset:         32
        .size:           8
        .value_kind:     global_buffer
      - .actual_access:  read_only
        .address_space:  global
        .offset:         40
        .size:           8
        .value_kind:     global_buffer
      - .actual_access:  write_only
        .address_space:  global
        .offset:         48
        .size:           8
        .value_kind:     global_buffer
      - .actual_access:  read_only
        .address_space:  global
        .offset:         56
        .size:           8
        .value_kind:     global_buffer
      - .offset:         64
        .size:           4
        .value_kind:     hidden_block_count_x
      - .offset:         68
        .size:           4
        .value_kind:     hidden_block_count_y
      - .offset:         72
        .size:           4
        .value_kind:     hidden_block_count_z
      - .offset:         76
        .size:           2
        .value_kind:     hidden_group_size_x
      - .offset:         78
        .size:           2
        .value_kind:     hidden_group_size_y
      - .offset:         80
        .size:           2
        .value_kind:     hidden_group_size_z
      - .offset:         82
        .size:           2
        .value_kind:     hidden_remainder_x
      - .offset:         84
        .size:           2
        .value_kind:     hidden_remainder_y
      - .offset:         86
        .size:           2
        .value_kind:     hidden_remainder_z
      - .offset:         104
        .size:           8
        .value_kind:     hidden_global_offset_x
      - .offset:         112
        .size:           8
        .value_kind:     hidden_global_offset_y
      - .offset:         120
        .size:           8
        .value_kind:     hidden_global_offset_z
      - .offset:         128
        .size:           2
        .value_kind:     hidden_grid_dims
    .group_segment_fixed_size: 0
    .kernarg_segment_align: 8
    .kernarg_segment_size: 320
    .language:       OpenCL C
    .language_version:
      - 2
      - 0
    .max_flat_workgroup_size: 64
    .name:           _ZN2at6native12_GLOBAL__N_135GammaBetaBackwardCUDAKernelTemplateIN3c104HalfEfLj64ELj1ELj8ELb1ELb0ELb1EEEvllPKT_S7_PKT0_SA_PS5_SB_
    .private_segment_fixed_size: 0
    .sgpr_count:     44
    .sgpr_spill_count: 0
    .symbol:         _ZN2at6native12_GLOBAL__N_135GammaBetaBackwardCUDAKernelTemplateIN3c104HalfEfLj64ELj1ELj8ELb1ELb0ELb1EEEvllPKT_S7_PKT0_SA_PS5_SB_.kd
    .uniform_work_group_size: 1
    .uses_dynamic_stack: false
    .vgpr_count:     97
    .vgpr_spill_count: 0
    .wavefront_size: 64
  - .agpr_count:     0
    .args:
      - .offset:         0
        .size:           8
        .value_kind:     by_value
      - .offset:         8
        .size:           8
        .value_kind:     by_value
      - .actual_access:  read_only
        .address_space:  global
        .offset:         16
        .size:           8
        .value_kind:     global_buffer
      - .actual_access:  read_only
        .address_space:  global
        .offset:         24
        .size:           8
        .value_kind:     global_buffer
      - .actual_access:  read_only
        .address_space:  global
        .offset:         32
        .size:           8
        .value_kind:     global_buffer
      - .actual_access:  read_only
        .address_space:  global
        .offset:         40
        .size:           8
        .value_kind:     global_buffer
      - .actual_access:  write_only
        .address_space:  global
        .offset:         48
        .size:           8
        .value_kind:     global_buffer
      - .actual_access:  read_only
        .address_space:  global
        .offset:         56
        .size:           8
        .value_kind:     global_buffer
      - .offset:         64
        .size:           4
        .value_kind:     hidden_block_count_x
      - .offset:         68
        .size:           4
        .value_kind:     hidden_block_count_y
      - .offset:         72
        .size:           4
        .value_kind:     hidden_block_count_z
      - .offset:         76
        .size:           2
        .value_kind:     hidden_group_size_x
      - .offset:         78
        .size:           2
        .value_kind:     hidden_group_size_y
      - .offset:         80
        .size:           2
        .value_kind:     hidden_group_size_z
      - .offset:         82
        .size:           2
        .value_kind:     hidden_remainder_x
      - .offset:         84
        .size:           2
        .value_kind:     hidden_remainder_y
      - .offset:         86
        .size:           2
        .value_kind:     hidden_remainder_z
      - .offset:         104
        .size:           8
        .value_kind:     hidden_global_offset_x
      - .offset:         112
        .size:           8
        .value_kind:     hidden_global_offset_y
      - .offset:         120
        .size:           8
        .value_kind:     hidden_global_offset_z
      - .offset:         128
        .size:           2
        .value_kind:     hidden_grid_dims
      - .offset:         184
        .size:           4
        .value_kind:     hidden_dynamic_lds_size
    .group_segment_fixed_size: 0
    .kernarg_segment_align: 8
    .kernarg_segment_size: 320
    .language:       OpenCL C
    .language_version:
      - 2
      - 0
    .max_flat_workgroup_size: 512
    .name:           _ZN2at6native12_GLOBAL__N_135GammaBetaBackwardCUDAKernelTemplateIN3c104HalfEfLj64ELj8ELj64ELb0ELb1ELb1EEEvllPKT_S7_PKT0_SA_PS5_SB_
    .private_segment_fixed_size: 0
    .sgpr_count:     32
    .sgpr_spill_count: 0
    .symbol:         _ZN2at6native12_GLOBAL__N_135GammaBetaBackwardCUDAKernelTemplateIN3c104HalfEfLj64ELj8ELj64ELb0ELb1ELb1EEEvllPKT_S7_PKT0_SA_PS5_SB_.kd
    .uniform_work_group_size: 1
    .uses_dynamic_stack: false
    .vgpr_count:     47
    .vgpr_spill_count: 0
    .wavefront_size: 64
  - .agpr_count:     0
    .args:
      - .offset:         0
        .size:           8
        .value_kind:     by_value
      - .offset:         8
        .size:           8
        .value_kind:     by_value
      - .actual_access:  read_only
        .address_space:  global
        .offset:         16
        .size:           8
        .value_kind:     global_buffer
      - .actual_access:  read_only
        .address_space:  global
        .offset:         24
        .size:           8
        .value_kind:     global_buffer
      - .actual_access:  read_only
        .address_space:  global
        .offset:         32
        .size:           8
        .value_kind:     global_buffer
      - .actual_access:  read_only
        .address_space:  global
        .offset:         40
        .size:           8
        .value_kind:     global_buffer
      - .actual_access:  write_only
        .address_space:  global
        .offset:         48
        .size:           8
        .value_kind:     global_buffer
      - .actual_access:  read_only
        .address_space:  global
        .offset:         56
        .size:           8
        .value_kind:     global_buffer
      - .offset:         64
        .size:           4
        .value_kind:     hidden_block_count_x
      - .offset:         68
        .size:           4
        .value_kind:     hidden_block_count_y
      - .offset:         72
        .size:           4
        .value_kind:     hidden_block_count_z
      - .offset:         76
        .size:           2
        .value_kind:     hidden_group_size_x
      - .offset:         78
        .size:           2
        .value_kind:     hidden_group_size_y
      - .offset:         80
        .size:           2
        .value_kind:     hidden_group_size_z
      - .offset:         82
        .size:           2
        .value_kind:     hidden_remainder_x
      - .offset:         84
        .size:           2
        .value_kind:     hidden_remainder_y
      - .offset:         86
        .size:           2
        .value_kind:     hidden_remainder_z
      - .offset:         104
        .size:           8
        .value_kind:     hidden_global_offset_x
      - .offset:         112
        .size:           8
        .value_kind:     hidden_global_offset_y
      - .offset:         120
        .size:           8
        .value_kind:     hidden_global_offset_z
      - .offset:         128
        .size:           2
        .value_kind:     hidden_grid_dims
      - .offset:         184
        .size:           4
        .value_kind:     hidden_dynamic_lds_size
    .group_segment_fixed_size: 0
    .kernarg_segment_align: 8
    .kernarg_segment_size: 320
    .language:       OpenCL C
    .language_version:
      - 2
      - 0
    .max_flat_workgroup_size: 512
    .name:           _ZN2at6native12_GLOBAL__N_135GammaBetaBackwardCUDAKernelTemplateIN3c104HalfEfLj64ELj8ELj64ELb0ELb0ELb1EEEvllPKT_S7_PKT0_SA_PS5_SB_
    .private_segment_fixed_size: 0
    .sgpr_count:     56
    .sgpr_spill_count: 0
    .symbol:         _ZN2at6native12_GLOBAL__N_135GammaBetaBackwardCUDAKernelTemplateIN3c104HalfEfLj64ELj8ELj64ELb0ELb0ELb1EEEvllPKT_S7_PKT0_SA_PS5_SB_.kd
    .uniform_work_group_size: 1
    .uses_dynamic_stack: false
    .vgpr_count:     97
    .vgpr_spill_count: 0
    .wavefront_size: 64
  - .agpr_count:     0
    .args:
      - .offset:         0
        .size:           8
        .value_kind:     by_value
      - .offset:         8
        .size:           8
        .value_kind:     by_value
      - .actual_access:  read_only
        .address_space:  global
        .offset:         16
        .size:           8
        .value_kind:     global_buffer
      - .actual_access:  read_only
        .address_space:  global
        .offset:         24
        .size:           8
        .value_kind:     global_buffer
      - .actual_access:  read_only
        .address_space:  global
        .offset:         32
        .size:           8
        .value_kind:     global_buffer
      - .actual_access:  read_only
        .address_space:  global
        .offset:         40
        .size:           8
        .value_kind:     global_buffer
      - .actual_access:  write_only
        .address_space:  global
        .offset:         48
        .size:           8
        .value_kind:     global_buffer
      - .actual_access:  read_only
        .address_space:  global
        .offset:         56
        .size:           8
        .value_kind:     global_buffer
      - .offset:         64
        .size:           4
        .value_kind:     hidden_block_count_x
      - .offset:         68
        .size:           4
        .value_kind:     hidden_block_count_y
      - .offset:         72
        .size:           4
        .value_kind:     hidden_block_count_z
      - .offset:         76
        .size:           2
        .value_kind:     hidden_group_size_x
      - .offset:         78
        .size:           2
        .value_kind:     hidden_group_size_y
      - .offset:         80
        .size:           2
        .value_kind:     hidden_group_size_z
      - .offset:         82
        .size:           2
        .value_kind:     hidden_remainder_x
      - .offset:         84
        .size:           2
        .value_kind:     hidden_remainder_y
      - .offset:         86
        .size:           2
        .value_kind:     hidden_remainder_z
      - .offset:         104
        .size:           8
        .value_kind:     hidden_global_offset_x
      - .offset:         112
        .size:           8
        .value_kind:     hidden_global_offset_y
      - .offset:         120
        .size:           8
        .value_kind:     hidden_global_offset_z
      - .offset:         128
        .size:           2
        .value_kind:     hidden_grid_dims
      - .offset:         184
        .size:           4
        .value_kind:     hidden_dynamic_lds_size
    .group_segment_fixed_size: 0
    .kernarg_segment_align: 8
    .kernarg_segment_size: 320
    .language:       OpenCL C
    .language_version:
      - 2
      - 0
    .max_flat_workgroup_size: 1024
    .name:           _ZN2at6native12_GLOBAL__N_135GammaBetaBackwardCUDAKernelTemplateIN3c104HalfEfLj64ELj16ELj128ELb0ELb1ELb1EEEvllPKT_S7_PKT0_SA_PS5_SB_
    .private_segment_fixed_size: 0
    .sgpr_count:     32
    .sgpr_spill_count: 0
    .symbol:         _ZN2at6native12_GLOBAL__N_135GammaBetaBackwardCUDAKernelTemplateIN3c104HalfEfLj64ELj16ELj128ELb0ELb1ELb1EEEvllPKT_S7_PKT0_SA_PS5_SB_.kd
    .uniform_work_group_size: 1
    .uses_dynamic_stack: false
    .vgpr_count:     47
    .vgpr_spill_count: 0
    .wavefront_size: 64
  - .agpr_count:     0
    .args:
      - .offset:         0
        .size:           8
        .value_kind:     by_value
      - .offset:         8
        .size:           8
        .value_kind:     by_value
      - .actual_access:  read_only
        .address_space:  global
        .offset:         16
        .size:           8
        .value_kind:     global_buffer
      - .actual_access:  read_only
        .address_space:  global
        .offset:         24
        .size:           8
        .value_kind:     global_buffer
      - .actual_access:  read_only
        .address_space:  global
        .offset:         32
        .size:           8
        .value_kind:     global_buffer
      - .actual_access:  read_only
        .address_space:  global
        .offset:         40
        .size:           8
        .value_kind:     global_buffer
      - .actual_access:  write_only
        .address_space:  global
        .offset:         48
        .size:           8
        .value_kind:     global_buffer
      - .actual_access:  read_only
        .address_space:  global
        .offset:         56
        .size:           8
        .value_kind:     global_buffer
      - .offset:         64
        .size:           4
        .value_kind:     hidden_block_count_x
      - .offset:         68
        .size:           4
        .value_kind:     hidden_block_count_y
      - .offset:         72
        .size:           4
        .value_kind:     hidden_block_count_z
      - .offset:         76
        .size:           2
        .value_kind:     hidden_group_size_x
      - .offset:         78
        .size:           2
        .value_kind:     hidden_group_size_y
      - .offset:         80
        .size:           2
        .value_kind:     hidden_group_size_z
      - .offset:         82
        .size:           2
        .value_kind:     hidden_remainder_x
      - .offset:         84
        .size:           2
        .value_kind:     hidden_remainder_y
      - .offset:         86
        .size:           2
        .value_kind:     hidden_remainder_z
      - .offset:         104
        .size:           8
        .value_kind:     hidden_global_offset_x
      - .offset:         112
        .size:           8
        .value_kind:     hidden_global_offset_y
      - .offset:         120
        .size:           8
        .value_kind:     hidden_global_offset_z
      - .offset:         128
        .size:           2
        .value_kind:     hidden_grid_dims
      - .offset:         184
        .size:           4
        .value_kind:     hidden_dynamic_lds_size
    .group_segment_fixed_size: 0
    .kernarg_segment_align: 8
    .kernarg_segment_size: 320
    .language:       OpenCL C
    .language_version:
      - 2
      - 0
    .max_flat_workgroup_size: 1024
    .name:           _ZN2at6native12_GLOBAL__N_135GammaBetaBackwardCUDAKernelTemplateIN3c104HalfEfLj64ELj16ELj128ELb0ELb0ELb1EEEvllPKT_S7_PKT0_SA_PS5_SB_
    .private_segment_fixed_size: 0
    .sgpr_count:     56
    .sgpr_spill_count: 0
    .symbol:         _ZN2at6native12_GLOBAL__N_135GammaBetaBackwardCUDAKernelTemplateIN3c104HalfEfLj64ELj16ELj128ELb0ELb0ELb1EEEvllPKT_S7_PKT0_SA_PS5_SB_.kd
    .uniform_work_group_size: 1
    .uses_dynamic_stack: false
    .vgpr_count:     97
    .vgpr_spill_count: 0
    .wavefront_size: 64
  - .agpr_count:     0
    .args:
      - .offset:         0
        .size:           8
        .value_kind:     by_value
      - .offset:         8
        .size:           8
        .value_kind:     by_value
      - .actual_access:  read_only
        .address_space:  global
        .offset:         16
        .size:           8
        .value_kind:     global_buffer
      - .actual_access:  read_only
        .address_space:  global
        .offset:         24
        .size:           8
        .value_kind:     global_buffer
      - .actual_access:  read_only
        .address_space:  global
        .offset:         32
        .size:           8
        .value_kind:     global_buffer
      - .actual_access:  read_only
        .address_space:  global
        .offset:         40
        .size:           8
        .value_kind:     global_buffer
      - .actual_access:  write_only
        .address_space:  global
        .offset:         48
        .size:           8
        .value_kind:     global_buffer
      - .actual_access:  read_only
        .address_space:  global
        .offset:         56
        .size:           8
        .value_kind:     global_buffer
      - .offset:         64
        .size:           4
        .value_kind:     hidden_block_count_x
      - .offset:         68
        .size:           4
        .value_kind:     hidden_block_count_y
      - .offset:         72
        .size:           4
        .value_kind:     hidden_block_count_z
      - .offset:         76
        .size:           2
        .value_kind:     hidden_group_size_x
      - .offset:         78
        .size:           2
        .value_kind:     hidden_group_size_y
      - .offset:         80
        .size:           2
        .value_kind:     hidden_group_size_z
      - .offset:         82
        .size:           2
        .value_kind:     hidden_remainder_x
      - .offset:         84
        .size:           2
        .value_kind:     hidden_remainder_y
      - .offset:         86
        .size:           2
        .value_kind:     hidden_remainder_z
      - .offset:         104
        .size:           8
        .value_kind:     hidden_global_offset_x
      - .offset:         112
        .size:           8
        .value_kind:     hidden_global_offset_y
      - .offset:         120
        .size:           8
        .value_kind:     hidden_global_offset_z
      - .offset:         128
        .size:           2
        .value_kind:     hidden_grid_dims
      - .offset:         184
        .size:           4
        .value_kind:     hidden_dynamic_lds_size
    .group_segment_fixed_size: 0
    .kernarg_segment_align: 8
    .kernarg_segment_size: 320
    .language:       OpenCL C
    .language_version:
      - 2
      - 0
    .max_flat_workgroup_size: 1024
    .name:           _ZN2at6native12_GLOBAL__N_135GammaBetaBackwardCUDAKernelTemplateIN3c104HalfEfLj64ELj16ELj256ELb0ELb1ELb1EEEvllPKT_S7_PKT0_SA_PS5_SB_
    .private_segment_fixed_size: 0
    .sgpr_count:     32
    .sgpr_spill_count: 0
    .symbol:         _ZN2at6native12_GLOBAL__N_135GammaBetaBackwardCUDAKernelTemplateIN3c104HalfEfLj64ELj16ELj256ELb0ELb1ELb1EEEvllPKT_S7_PKT0_SA_PS5_SB_.kd
    .uniform_work_group_size: 1
    .uses_dynamic_stack: false
    .vgpr_count:     65
    .vgpr_spill_count: 0
    .wavefront_size: 64
  - .agpr_count:     0
    .args:
      - .offset:         0
        .size:           8
        .value_kind:     by_value
      - .offset:         8
        .size:           8
        .value_kind:     by_value
      - .actual_access:  read_only
        .address_space:  global
        .offset:         16
        .size:           8
        .value_kind:     global_buffer
      - .actual_access:  read_only
        .address_space:  global
        .offset:         24
        .size:           8
        .value_kind:     global_buffer
      - .actual_access:  read_only
        .address_space:  global
        .offset:         32
        .size:           8
        .value_kind:     global_buffer
      - .actual_access:  read_only
        .address_space:  global
        .offset:         40
        .size:           8
        .value_kind:     global_buffer
      - .actual_access:  write_only
        .address_space:  global
        .offset:         48
        .size:           8
        .value_kind:     global_buffer
      - .actual_access:  read_only
        .address_space:  global
        .offset:         56
        .size:           8
        .value_kind:     global_buffer
      - .offset:         64
        .size:           4
        .value_kind:     hidden_block_count_x
      - .offset:         68
        .size:           4
        .value_kind:     hidden_block_count_y
      - .offset:         72
        .size:           4
        .value_kind:     hidden_block_count_z
      - .offset:         76
        .size:           2
        .value_kind:     hidden_group_size_x
      - .offset:         78
        .size:           2
        .value_kind:     hidden_group_size_y
      - .offset:         80
        .size:           2
        .value_kind:     hidden_group_size_z
      - .offset:         82
        .size:           2
        .value_kind:     hidden_remainder_x
      - .offset:         84
        .size:           2
        .value_kind:     hidden_remainder_y
      - .offset:         86
        .size:           2
        .value_kind:     hidden_remainder_z
      - .offset:         104
        .size:           8
        .value_kind:     hidden_global_offset_x
      - .offset:         112
        .size:           8
        .value_kind:     hidden_global_offset_y
      - .offset:         120
        .size:           8
        .value_kind:     hidden_global_offset_z
      - .offset:         128
        .size:           2
        .value_kind:     hidden_grid_dims
      - .offset:         184
        .size:           4
        .value_kind:     hidden_dynamic_lds_size
    .group_segment_fixed_size: 0
    .kernarg_segment_align: 8
    .kernarg_segment_size: 320
    .language:       OpenCL C
    .language_version:
      - 2
      - 0
    .max_flat_workgroup_size: 1024
    .name:           _ZN2at6native12_GLOBAL__N_135GammaBetaBackwardCUDAKernelTemplateIN3c104HalfEfLj64ELj16ELj256ELb0ELb0ELb1EEEvllPKT_S7_PKT0_SA_PS5_SB_
    .private_segment_fixed_size: 172
    .sgpr_count:     72
    .sgpr_spill_count: 0
    .symbol:         _ZN2at6native12_GLOBAL__N_135GammaBetaBackwardCUDAKernelTemplateIN3c104HalfEfLj64ELj16ELj256ELb0ELb0ELb1EEEvllPKT_S7_PKT0_SA_PS5_SB_.kd
    .uniform_work_group_size: 1
    .uses_dynamic_stack: false
    .vgpr_count:     128
    .vgpr_spill_count: 82
    .wavefront_size: 64
  - .agpr_count:     0
    .args:
      - .offset:         0
        .size:           8
        .value_kind:     by_value
      - .offset:         8
        .size:           8
        .value_kind:     by_value
      - .actual_access:  read_only
        .address_space:  global
        .offset:         16
        .size:           8
        .value_kind:     global_buffer
      - .actual_access:  read_only
        .address_space:  global
        .offset:         24
        .size:           8
        .value_kind:     global_buffer
      - .actual_access:  read_only
        .address_space:  global
        .offset:         32
        .size:           8
        .value_kind:     global_buffer
      - .actual_access:  read_only
        .address_space:  global
        .offset:         40
        .size:           8
        .value_kind:     global_buffer
      - .actual_access:  write_only
        .address_space:  global
        .offset:         48
        .size:           8
        .value_kind:     global_buffer
      - .actual_access:  read_only
        .address_space:  global
        .offset:         56
        .size:           8
        .value_kind:     global_buffer
      - .offset:         64
        .size:           4
        .value_kind:     hidden_block_count_x
      - .offset:         68
        .size:           4
        .value_kind:     hidden_block_count_y
      - .offset:         72
        .size:           4
        .value_kind:     hidden_block_count_z
      - .offset:         76
        .size:           2
        .value_kind:     hidden_group_size_x
      - .offset:         78
        .size:           2
        .value_kind:     hidden_group_size_y
      - .offset:         80
        .size:           2
        .value_kind:     hidden_group_size_z
      - .offset:         82
        .size:           2
        .value_kind:     hidden_remainder_x
      - .offset:         84
        .size:           2
        .value_kind:     hidden_remainder_y
      - .offset:         86
        .size:           2
        .value_kind:     hidden_remainder_z
      - .offset:         104
        .size:           8
        .value_kind:     hidden_global_offset_x
      - .offset:         112
        .size:           8
        .value_kind:     hidden_global_offset_y
      - .offset:         120
        .size:           8
        .value_kind:     hidden_global_offset_z
      - .offset:         128
        .size:           2
        .value_kind:     hidden_grid_dims
    .group_segment_fixed_size: 0
    .kernarg_segment_align: 8
    .kernarg_segment_size: 320
    .language:       OpenCL C
    .language_version:
      - 2
      - 0
    .max_flat_workgroup_size: 32
    .name:           _ZN2at6native12_GLOBAL__N_135GammaBetaBackwardCUDAKernelTemplateIN3c104HalfEfLj32ELj1ELj32ELb1ELb1ELb1EEEvllPKT_S7_PKT0_SA_PS5_SB_
    .private_segment_fixed_size: 0
    .sgpr_count:     38
    .sgpr_spill_count: 0
    .symbol:         _ZN2at6native12_GLOBAL__N_135GammaBetaBackwardCUDAKernelTemplateIN3c104HalfEfLj32ELj1ELj32ELb1ELb1ELb1EEEvllPKT_S7_PKT0_SA_PS5_SB_.kd
    .uniform_work_group_size: 1
    .uses_dynamic_stack: false
    .vgpr_count:     70
    .vgpr_spill_count: 0
    .wavefront_size: 64
  - .agpr_count:     75
    .args:
      - .offset:         0
        .size:           8
        .value_kind:     by_value
      - .offset:         8
        .size:           8
        .value_kind:     by_value
      - .actual_access:  read_only
        .address_space:  global
        .offset:         16
        .size:           8
        .value_kind:     global_buffer
      - .actual_access:  read_only
        .address_space:  global
        .offset:         24
        .size:           8
        .value_kind:     global_buffer
      - .actual_access:  read_only
        .address_space:  global
        .offset:         32
        .size:           8
        .value_kind:     global_buffer
      - .actual_access:  read_only
        .address_space:  global
        .offset:         40
        .size:           8
        .value_kind:     global_buffer
      - .actual_access:  write_only
        .address_space:  global
        .offset:         48
        .size:           8
        .value_kind:     global_buffer
      - .actual_access:  read_only
        .address_space:  global
        .offset:         56
        .size:           8
        .value_kind:     global_buffer
      - .offset:         64
        .size:           4
        .value_kind:     hidden_block_count_x
      - .offset:         68
        .size:           4
        .value_kind:     hidden_block_count_y
      - .offset:         72
        .size:           4
        .value_kind:     hidden_block_count_z
      - .offset:         76
        .size:           2
        .value_kind:     hidden_group_size_x
      - .offset:         78
        .size:           2
        .value_kind:     hidden_group_size_y
      - .offset:         80
        .size:           2
        .value_kind:     hidden_group_size_z
      - .offset:         82
        .size:           2
        .value_kind:     hidden_remainder_x
      - .offset:         84
        .size:           2
        .value_kind:     hidden_remainder_y
      - .offset:         86
        .size:           2
        .value_kind:     hidden_remainder_z
      - .offset:         104
        .size:           8
        .value_kind:     hidden_global_offset_x
      - .offset:         112
        .size:           8
        .value_kind:     hidden_global_offset_y
      - .offset:         120
        .size:           8
        .value_kind:     hidden_global_offset_z
      - .offset:         128
        .size:           2
        .value_kind:     hidden_grid_dims
    .group_segment_fixed_size: 0
    .kernarg_segment_align: 8
    .kernarg_segment_size: 320
    .language:       OpenCL C
    .language_version:
      - 2
      - 0
    .max_flat_workgroup_size: 32
    .name:           _ZN2at6native12_GLOBAL__N_135GammaBetaBackwardCUDAKernelTemplateIN3c104HalfEfLj32ELj1ELj32ELb1ELb0ELb1EEEvllPKT_S7_PKT0_SA_PS5_SB_
    .private_segment_fixed_size: 0
    .sgpr_count:     44
    .sgpr_spill_count: 0
    .symbol:         _ZN2at6native12_GLOBAL__N_135GammaBetaBackwardCUDAKernelTemplateIN3c104HalfEfLj32ELj1ELj32ELb1ELb0ELb1EEEvllPKT_S7_PKT0_SA_PS5_SB_.kd
    .uniform_work_group_size: 1
    .uses_dynamic_stack: false
    .vgpr_count:     331
    .vgpr_spill_count: 0
    .wavefront_size: 64
  - .agpr_count:     0
    .args:
      - .offset:         0
        .size:           8
        .value_kind:     by_value
      - .offset:         8
        .size:           8
        .value_kind:     by_value
      - .actual_access:  read_only
        .address_space:  global
        .offset:         16
        .size:           8
        .value_kind:     global_buffer
      - .actual_access:  read_only
        .address_space:  global
        .offset:         24
        .size:           8
        .value_kind:     global_buffer
      - .actual_access:  read_only
        .address_space:  global
        .offset:         32
        .size:           8
        .value_kind:     global_buffer
      - .actual_access:  read_only
        .address_space:  global
        .offset:         40
        .size:           8
        .value_kind:     global_buffer
      - .actual_access:  write_only
        .address_space:  global
        .offset:         48
        .size:           8
        .value_kind:     global_buffer
      - .actual_access:  read_only
        .address_space:  global
        .offset:         56
        .size:           8
        .value_kind:     global_buffer
      - .offset:         64
        .size:           4
        .value_kind:     hidden_block_count_x
      - .offset:         68
        .size:           4
        .value_kind:     hidden_block_count_y
      - .offset:         72
        .size:           4
        .value_kind:     hidden_block_count_z
      - .offset:         76
        .size:           2
        .value_kind:     hidden_group_size_x
      - .offset:         78
        .size:           2
        .value_kind:     hidden_group_size_y
      - .offset:         80
        .size:           2
        .value_kind:     hidden_group_size_z
      - .offset:         82
        .size:           2
        .value_kind:     hidden_remainder_x
      - .offset:         84
        .size:           2
        .value_kind:     hidden_remainder_y
      - .offset:         86
        .size:           2
        .value_kind:     hidden_remainder_z
      - .offset:         104
        .size:           8
        .value_kind:     hidden_global_offset_x
      - .offset:         112
        .size:           8
        .value_kind:     hidden_global_offset_y
      - .offset:         120
        .size:           8
        .value_kind:     hidden_global_offset_z
      - .offset:         128
        .size:           2
        .value_kind:     hidden_grid_dims
    .group_segment_fixed_size: 0
    .kernarg_segment_align: 8
    .kernarg_segment_size: 320
    .language:       OpenCL C
    .language_version:
      - 2
      - 0
    .max_flat_workgroup_size: 32
    .name:           _ZN2at6native12_GLOBAL__N_135GammaBetaBackwardCUDAKernelTemplateIN3c104HalfEfLj32ELj1ELj8ELb1ELb1ELb1EEEvllPKT_S7_PKT0_SA_PS5_SB_
    .private_segment_fixed_size: 0
    .sgpr_count:     38
    .sgpr_spill_count: 0
    .symbol:         _ZN2at6native12_GLOBAL__N_135GammaBetaBackwardCUDAKernelTemplateIN3c104HalfEfLj32ELj1ELj8ELb1ELb1ELb1EEEvllPKT_S7_PKT0_SA_PS5_SB_.kd
    .uniform_work_group_size: 1
    .uses_dynamic_stack: false
    .vgpr_count:     45
    .vgpr_spill_count: 0
    .wavefront_size: 64
  - .agpr_count:     0
    .args:
      - .offset:         0
        .size:           8
        .value_kind:     by_value
      - .offset:         8
        .size:           8
        .value_kind:     by_value
      - .actual_access:  read_only
        .address_space:  global
        .offset:         16
        .size:           8
        .value_kind:     global_buffer
      - .actual_access:  read_only
        .address_space:  global
        .offset:         24
        .size:           8
        .value_kind:     global_buffer
      - .actual_access:  read_only
        .address_space:  global
        .offset:         32
        .size:           8
        .value_kind:     global_buffer
      - .actual_access:  read_only
        .address_space:  global
        .offset:         40
        .size:           8
        .value_kind:     global_buffer
      - .actual_access:  write_only
        .address_space:  global
        .offset:         48
        .size:           8
        .value_kind:     global_buffer
      - .actual_access:  read_only
        .address_space:  global
        .offset:         56
        .size:           8
        .value_kind:     global_buffer
      - .offset:         64
        .size:           4
        .value_kind:     hidden_block_count_x
      - .offset:         68
        .size:           4
        .value_kind:     hidden_block_count_y
      - .offset:         72
        .size:           4
        .value_kind:     hidden_block_count_z
      - .offset:         76
        .size:           2
        .value_kind:     hidden_group_size_x
      - .offset:         78
        .size:           2
        .value_kind:     hidden_group_size_y
      - .offset:         80
        .size:           2
        .value_kind:     hidden_group_size_z
      - .offset:         82
        .size:           2
        .value_kind:     hidden_remainder_x
      - .offset:         84
        .size:           2
        .value_kind:     hidden_remainder_y
      - .offset:         86
        .size:           2
        .value_kind:     hidden_remainder_z
      - .offset:         104
        .size:           8
        .value_kind:     hidden_global_offset_x
      - .offset:         112
        .size:           8
        .value_kind:     hidden_global_offset_y
      - .offset:         120
        .size:           8
        .value_kind:     hidden_global_offset_z
      - .offset:         128
        .size:           2
        .value_kind:     hidden_grid_dims
    .group_segment_fixed_size: 0
    .kernarg_segment_align: 8
    .kernarg_segment_size: 320
    .language:       OpenCL C
    .language_version:
      - 2
      - 0
    .max_flat_workgroup_size: 32
    .name:           _ZN2at6native12_GLOBAL__N_135GammaBetaBackwardCUDAKernelTemplateIN3c104HalfEfLj32ELj1ELj8ELb1ELb0ELb1EEEvllPKT_S7_PKT0_SA_PS5_SB_
    .private_segment_fixed_size: 0
    .sgpr_count:     44
    .sgpr_spill_count: 0
    .symbol:         _ZN2at6native12_GLOBAL__N_135GammaBetaBackwardCUDAKernelTemplateIN3c104HalfEfLj32ELj1ELj8ELb1ELb0ELb1EEEvllPKT_S7_PKT0_SA_PS5_SB_.kd
    .uniform_work_group_size: 1
    .uses_dynamic_stack: false
    .vgpr_count:     97
    .vgpr_spill_count: 0
    .wavefront_size: 64
  - .agpr_count:     0
    .args:
      - .offset:         0
        .size:           8
        .value_kind:     by_value
      - .offset:         8
        .size:           8
        .value_kind:     by_value
      - .actual_access:  read_only
        .address_space:  global
        .offset:         16
        .size:           8
        .value_kind:     global_buffer
      - .actual_access:  read_only
        .address_space:  global
        .offset:         24
        .size:           8
        .value_kind:     global_buffer
      - .actual_access:  read_only
        .address_space:  global
        .offset:         32
        .size:           8
        .value_kind:     global_buffer
      - .actual_access:  read_only
        .address_space:  global
        .offset:         40
        .size:           8
        .value_kind:     global_buffer
      - .actual_access:  write_only
        .address_space:  global
        .offset:         48
        .size:           8
        .value_kind:     global_buffer
      - .actual_access:  read_only
        .address_space:  global
        .offset:         56
        .size:           8
        .value_kind:     global_buffer
      - .offset:         64
        .size:           4
        .value_kind:     hidden_block_count_x
      - .offset:         68
        .size:           4
        .value_kind:     hidden_block_count_y
      - .offset:         72
        .size:           4
        .value_kind:     hidden_block_count_z
      - .offset:         76
        .size:           2
        .value_kind:     hidden_group_size_x
      - .offset:         78
        .size:           2
        .value_kind:     hidden_group_size_y
      - .offset:         80
        .size:           2
        .value_kind:     hidden_group_size_z
      - .offset:         82
        .size:           2
        .value_kind:     hidden_remainder_x
      - .offset:         84
        .size:           2
        .value_kind:     hidden_remainder_y
      - .offset:         86
        .size:           2
        .value_kind:     hidden_remainder_z
      - .offset:         104
        .size:           8
        .value_kind:     hidden_global_offset_x
      - .offset:         112
        .size:           8
        .value_kind:     hidden_global_offset_y
      - .offset:         120
        .size:           8
        .value_kind:     hidden_global_offset_z
      - .offset:         128
        .size:           2
        .value_kind:     hidden_grid_dims
      - .offset:         184
        .size:           4
        .value_kind:     hidden_dynamic_lds_size
    .group_segment_fixed_size: 0
    .kernarg_segment_align: 8
    .kernarg_segment_size: 320
    .language:       OpenCL C
    .language_version:
      - 2
      - 0
    .max_flat_workgroup_size: 256
    .name:           _ZN2at6native12_GLOBAL__N_135GammaBetaBackwardCUDAKernelTemplateIN3c104HalfEfLj32ELj8ELj64ELb0ELb1ELb1EEEvllPKT_S7_PKT0_SA_PS5_SB_
    .private_segment_fixed_size: 0
    .sgpr_count:     32
    .sgpr_spill_count: 0
    .symbol:         _ZN2at6native12_GLOBAL__N_135GammaBetaBackwardCUDAKernelTemplateIN3c104HalfEfLj32ELj8ELj64ELb0ELb1ELb1EEEvllPKT_S7_PKT0_SA_PS5_SB_.kd
    .uniform_work_group_size: 1
    .uses_dynamic_stack: false
    .vgpr_count:     47
    .vgpr_spill_count: 0
    .wavefront_size: 64
  - .agpr_count:     0
    .args:
      - .offset:         0
        .size:           8
        .value_kind:     by_value
      - .offset:         8
        .size:           8
        .value_kind:     by_value
      - .actual_access:  read_only
        .address_space:  global
        .offset:         16
        .size:           8
        .value_kind:     global_buffer
      - .actual_access:  read_only
        .address_space:  global
        .offset:         24
        .size:           8
        .value_kind:     global_buffer
      - .actual_access:  read_only
        .address_space:  global
        .offset:         32
        .size:           8
        .value_kind:     global_buffer
      - .actual_access:  read_only
        .address_space:  global
        .offset:         40
        .size:           8
        .value_kind:     global_buffer
      - .actual_access:  write_only
        .address_space:  global
        .offset:         48
        .size:           8
        .value_kind:     global_buffer
      - .actual_access:  read_only
        .address_space:  global
        .offset:         56
        .size:           8
        .value_kind:     global_buffer
      - .offset:         64
        .size:           4
        .value_kind:     hidden_block_count_x
      - .offset:         68
        .size:           4
        .value_kind:     hidden_block_count_y
      - .offset:         72
        .size:           4
        .value_kind:     hidden_block_count_z
      - .offset:         76
        .size:           2
        .value_kind:     hidden_group_size_x
      - .offset:         78
        .size:           2
        .value_kind:     hidden_group_size_y
      - .offset:         80
        .size:           2
        .value_kind:     hidden_group_size_z
      - .offset:         82
        .size:           2
        .value_kind:     hidden_remainder_x
      - .offset:         84
        .size:           2
        .value_kind:     hidden_remainder_y
      - .offset:         86
        .size:           2
        .value_kind:     hidden_remainder_z
      - .offset:         104
        .size:           8
        .value_kind:     hidden_global_offset_x
      - .offset:         112
        .size:           8
        .value_kind:     hidden_global_offset_y
      - .offset:         120
        .size:           8
        .value_kind:     hidden_global_offset_z
      - .offset:         128
        .size:           2
        .value_kind:     hidden_grid_dims
      - .offset:         184
        .size:           4
        .value_kind:     hidden_dynamic_lds_size
    .group_segment_fixed_size: 0
    .kernarg_segment_align: 8
    .kernarg_segment_size: 320
    .language:       OpenCL C
    .language_version:
      - 2
      - 0
    .max_flat_workgroup_size: 256
    .name:           _ZN2at6native12_GLOBAL__N_135GammaBetaBackwardCUDAKernelTemplateIN3c104HalfEfLj32ELj8ELj64ELb0ELb0ELb1EEEvllPKT_S7_PKT0_SA_PS5_SB_
    .private_segment_fixed_size: 0
    .sgpr_count:     56
    .sgpr_spill_count: 0
    .symbol:         _ZN2at6native12_GLOBAL__N_135GammaBetaBackwardCUDAKernelTemplateIN3c104HalfEfLj32ELj8ELj64ELb0ELb0ELb1EEEvllPKT_S7_PKT0_SA_PS5_SB_.kd
    .uniform_work_group_size: 1
    .uses_dynamic_stack: false
    .vgpr_count:     97
    .vgpr_spill_count: 0
    .wavefront_size: 64
  - .agpr_count:     0
    .args:
      - .offset:         0
        .size:           8
        .value_kind:     by_value
      - .offset:         8
        .size:           8
        .value_kind:     by_value
      - .actual_access:  read_only
        .address_space:  global
        .offset:         16
        .size:           8
        .value_kind:     global_buffer
      - .actual_access:  read_only
        .address_space:  global
        .offset:         24
        .size:           8
        .value_kind:     global_buffer
      - .actual_access:  read_only
        .address_space:  global
        .offset:         32
        .size:           8
        .value_kind:     global_buffer
      - .actual_access:  read_only
        .address_space:  global
        .offset:         40
        .size:           8
        .value_kind:     global_buffer
      - .actual_access:  write_only
        .address_space:  global
        .offset:         48
        .size:           8
        .value_kind:     global_buffer
      - .actual_access:  read_only
        .address_space:  global
        .offset:         56
        .size:           8
        .value_kind:     global_buffer
      - .offset:         64
        .size:           4
        .value_kind:     hidden_block_count_x
      - .offset:         68
        .size:           4
        .value_kind:     hidden_block_count_y
      - .offset:         72
        .size:           4
        .value_kind:     hidden_block_count_z
      - .offset:         76
        .size:           2
        .value_kind:     hidden_group_size_x
      - .offset:         78
        .size:           2
        .value_kind:     hidden_group_size_y
      - .offset:         80
        .size:           2
        .value_kind:     hidden_group_size_z
      - .offset:         82
        .size:           2
        .value_kind:     hidden_remainder_x
      - .offset:         84
        .size:           2
        .value_kind:     hidden_remainder_y
      - .offset:         86
        .size:           2
        .value_kind:     hidden_remainder_z
      - .offset:         104
        .size:           8
        .value_kind:     hidden_global_offset_x
      - .offset:         112
        .size:           8
        .value_kind:     hidden_global_offset_y
      - .offset:         120
        .size:           8
        .value_kind:     hidden_global_offset_z
      - .offset:         128
        .size:           2
        .value_kind:     hidden_grid_dims
      - .offset:         184
        .size:           4
        .value_kind:     hidden_dynamic_lds_size
    .group_segment_fixed_size: 0
    .kernarg_segment_align: 8
    .kernarg_segment_size: 320
    .language:       OpenCL C
    .language_version:
      - 2
      - 0
    .max_flat_workgroup_size: 512
    .name:           _ZN2at6native12_GLOBAL__N_135GammaBetaBackwardCUDAKernelTemplateIN3c104HalfEfLj32ELj16ELj128ELb0ELb1ELb1EEEvllPKT_S7_PKT0_SA_PS5_SB_
    .private_segment_fixed_size: 0
    .sgpr_count:     32
    .sgpr_spill_count: 0
    .symbol:         _ZN2at6native12_GLOBAL__N_135GammaBetaBackwardCUDAKernelTemplateIN3c104HalfEfLj32ELj16ELj128ELb0ELb1ELb1EEEvllPKT_S7_PKT0_SA_PS5_SB_.kd
    .uniform_work_group_size: 1
    .uses_dynamic_stack: false
    .vgpr_count:     47
    .vgpr_spill_count: 0
    .wavefront_size: 64
  - .agpr_count:     0
    .args:
      - .offset:         0
        .size:           8
        .value_kind:     by_value
      - .offset:         8
        .size:           8
        .value_kind:     by_value
      - .actual_access:  read_only
        .address_space:  global
        .offset:         16
        .size:           8
        .value_kind:     global_buffer
      - .actual_access:  read_only
        .address_space:  global
        .offset:         24
        .size:           8
        .value_kind:     global_buffer
      - .actual_access:  read_only
        .address_space:  global
        .offset:         32
        .size:           8
        .value_kind:     global_buffer
      - .actual_access:  read_only
        .address_space:  global
        .offset:         40
        .size:           8
        .value_kind:     global_buffer
      - .actual_access:  write_only
        .address_space:  global
        .offset:         48
        .size:           8
        .value_kind:     global_buffer
      - .actual_access:  read_only
        .address_space:  global
        .offset:         56
        .size:           8
        .value_kind:     global_buffer
      - .offset:         64
        .size:           4
        .value_kind:     hidden_block_count_x
      - .offset:         68
        .size:           4
        .value_kind:     hidden_block_count_y
      - .offset:         72
        .size:           4
        .value_kind:     hidden_block_count_z
      - .offset:         76
        .size:           2
        .value_kind:     hidden_group_size_x
      - .offset:         78
        .size:           2
        .value_kind:     hidden_group_size_y
      - .offset:         80
        .size:           2
        .value_kind:     hidden_group_size_z
      - .offset:         82
        .size:           2
        .value_kind:     hidden_remainder_x
      - .offset:         84
        .size:           2
        .value_kind:     hidden_remainder_y
      - .offset:         86
        .size:           2
        .value_kind:     hidden_remainder_z
      - .offset:         104
        .size:           8
        .value_kind:     hidden_global_offset_x
      - .offset:         112
        .size:           8
        .value_kind:     hidden_global_offset_y
      - .offset:         120
        .size:           8
        .value_kind:     hidden_global_offset_z
      - .offset:         128
        .size:           2
        .value_kind:     hidden_grid_dims
      - .offset:         184
        .size:           4
        .value_kind:     hidden_dynamic_lds_size
    .group_segment_fixed_size: 0
    .kernarg_segment_align: 8
    .kernarg_segment_size: 320
    .language:       OpenCL C
    .language_version:
      - 2
      - 0
    .max_flat_workgroup_size: 512
    .name:           _ZN2at6native12_GLOBAL__N_135GammaBetaBackwardCUDAKernelTemplateIN3c104HalfEfLj32ELj16ELj128ELb0ELb0ELb1EEEvllPKT_S7_PKT0_SA_PS5_SB_
    .private_segment_fixed_size: 0
    .sgpr_count:     56
    .sgpr_spill_count: 0
    .symbol:         _ZN2at6native12_GLOBAL__N_135GammaBetaBackwardCUDAKernelTemplateIN3c104HalfEfLj32ELj16ELj128ELb0ELb0ELb1EEEvllPKT_S7_PKT0_SA_PS5_SB_.kd
    .uniform_work_group_size: 1
    .uses_dynamic_stack: false
    .vgpr_count:     97
    .vgpr_spill_count: 0
    .wavefront_size: 64
  - .agpr_count:     0
    .args:
      - .offset:         0
        .size:           8
        .value_kind:     by_value
      - .offset:         8
        .size:           8
        .value_kind:     by_value
      - .actual_access:  read_only
        .address_space:  global
        .offset:         16
        .size:           8
        .value_kind:     global_buffer
      - .actual_access:  read_only
        .address_space:  global
        .offset:         24
        .size:           8
        .value_kind:     global_buffer
      - .actual_access:  read_only
        .address_space:  global
        .offset:         32
        .size:           8
        .value_kind:     global_buffer
      - .actual_access:  read_only
        .address_space:  global
        .offset:         40
        .size:           8
        .value_kind:     global_buffer
      - .actual_access:  write_only
        .address_space:  global
        .offset:         48
        .size:           8
        .value_kind:     global_buffer
      - .actual_access:  read_only
        .address_space:  global
        .offset:         56
        .size:           8
        .value_kind:     global_buffer
      - .offset:         64
        .size:           4
        .value_kind:     hidden_block_count_x
      - .offset:         68
        .size:           4
        .value_kind:     hidden_block_count_y
      - .offset:         72
        .size:           4
        .value_kind:     hidden_block_count_z
      - .offset:         76
        .size:           2
        .value_kind:     hidden_group_size_x
      - .offset:         78
        .size:           2
        .value_kind:     hidden_group_size_y
      - .offset:         80
        .size:           2
        .value_kind:     hidden_group_size_z
      - .offset:         82
        .size:           2
        .value_kind:     hidden_remainder_x
      - .offset:         84
        .size:           2
        .value_kind:     hidden_remainder_y
      - .offset:         86
        .size:           2
        .value_kind:     hidden_remainder_z
      - .offset:         104
        .size:           8
        .value_kind:     hidden_global_offset_x
      - .offset:         112
        .size:           8
        .value_kind:     hidden_global_offset_y
      - .offset:         120
        .size:           8
        .value_kind:     hidden_global_offset_z
      - .offset:         128
        .size:           2
        .value_kind:     hidden_grid_dims
      - .offset:         184
        .size:           4
        .value_kind:     hidden_dynamic_lds_size
    .group_segment_fixed_size: 0
    .kernarg_segment_align: 8
    .kernarg_segment_size: 320
    .language:       OpenCL C
    .language_version:
      - 2
      - 0
    .max_flat_workgroup_size: 1024
    .name:           _ZN2at6native12_GLOBAL__N_135GammaBetaBackwardCUDAKernelTemplateIN3c104HalfEfLj32ELj32ELj256ELb0ELb1ELb1EEEvllPKT_S7_PKT0_SA_PS5_SB_
    .private_segment_fixed_size: 0
    .sgpr_count:     32
    .sgpr_spill_count: 0
    .symbol:         _ZN2at6native12_GLOBAL__N_135GammaBetaBackwardCUDAKernelTemplateIN3c104HalfEfLj32ELj32ELj256ELb0ELb1ELb1EEEvllPKT_S7_PKT0_SA_PS5_SB_.kd
    .uniform_work_group_size: 1
    .uses_dynamic_stack: false
    .vgpr_count:     47
    .vgpr_spill_count: 0
    .wavefront_size: 64
  - .agpr_count:     0
    .args:
      - .offset:         0
        .size:           8
        .value_kind:     by_value
      - .offset:         8
        .size:           8
        .value_kind:     by_value
      - .actual_access:  read_only
        .address_space:  global
        .offset:         16
        .size:           8
        .value_kind:     global_buffer
      - .actual_access:  read_only
        .address_space:  global
        .offset:         24
        .size:           8
        .value_kind:     global_buffer
      - .actual_access:  read_only
        .address_space:  global
        .offset:         32
        .size:           8
        .value_kind:     global_buffer
      - .actual_access:  read_only
        .address_space:  global
        .offset:         40
        .size:           8
        .value_kind:     global_buffer
      - .actual_access:  write_only
        .address_space:  global
        .offset:         48
        .size:           8
        .value_kind:     global_buffer
      - .actual_access:  read_only
        .address_space:  global
        .offset:         56
        .size:           8
        .value_kind:     global_buffer
      - .offset:         64
        .size:           4
        .value_kind:     hidden_block_count_x
      - .offset:         68
        .size:           4
        .value_kind:     hidden_block_count_y
      - .offset:         72
        .size:           4
        .value_kind:     hidden_block_count_z
      - .offset:         76
        .size:           2
        .value_kind:     hidden_group_size_x
      - .offset:         78
        .size:           2
        .value_kind:     hidden_group_size_y
      - .offset:         80
        .size:           2
        .value_kind:     hidden_group_size_z
      - .offset:         82
        .size:           2
        .value_kind:     hidden_remainder_x
      - .offset:         84
        .size:           2
        .value_kind:     hidden_remainder_y
      - .offset:         86
        .size:           2
        .value_kind:     hidden_remainder_z
      - .offset:         104
        .size:           8
        .value_kind:     hidden_global_offset_x
      - .offset:         112
        .size:           8
        .value_kind:     hidden_global_offset_y
      - .offset:         120
        .size:           8
        .value_kind:     hidden_global_offset_z
      - .offset:         128
        .size:           2
        .value_kind:     hidden_grid_dims
      - .offset:         184
        .size:           4
        .value_kind:     hidden_dynamic_lds_size
    .group_segment_fixed_size: 0
    .kernarg_segment_align: 8
    .kernarg_segment_size: 320
    .language:       OpenCL C
    .language_version:
      - 2
      - 0
    .max_flat_workgroup_size: 1024
    .name:           _ZN2at6native12_GLOBAL__N_135GammaBetaBackwardCUDAKernelTemplateIN3c104HalfEfLj32ELj32ELj256ELb0ELb0ELb1EEEvllPKT_S7_PKT0_SA_PS5_SB_
    .private_segment_fixed_size: 0
    .sgpr_count:     56
    .sgpr_spill_count: 0
    .symbol:         _ZN2at6native12_GLOBAL__N_135GammaBetaBackwardCUDAKernelTemplateIN3c104HalfEfLj32ELj32ELj256ELb0ELb0ELb1EEEvllPKT_S7_PKT0_SA_PS5_SB_.kd
    .uniform_work_group_size: 1
    .uses_dynamic_stack: false
    .vgpr_count:     97
    .vgpr_spill_count: 0
    .wavefront_size: 64
  - .agpr_count:     0
    .args:
      - .actual_access:  read_only
        .address_space:  global
        .offset:         0
        .size:           8
        .value_kind:     global_buffer
      - .actual_access:  read_only
        .address_space:  global
        .offset:         8
        .size:           8
        .value_kind:     global_buffer
      - .offset:         16
        .size:           8
        .value_kind:     by_value
      - .offset:         24
        .size:           8
        .value_kind:     by_value
      - .actual_access:  read_only
        .address_space:  global
        .offset:         32
        .size:           8
        .value_kind:     global_buffer
      - .actual_access:  read_only
        .address_space:  global
        .offset:         40
        .size:           8
        .value_kind:     global_buffer
      - .address_space:  global
        .offset:         48
        .size:           8
        .value_kind:     global_buffer
      - .address_space:  global
        .offset:         56
        .size:           8
        .value_kind:     global_buffer
      - .offset:         64
        .size:           4
        .value_kind:     hidden_block_count_x
      - .offset:         68
        .size:           4
        .value_kind:     hidden_block_count_y
      - .offset:         72
        .size:           4
        .value_kind:     hidden_block_count_z
      - .offset:         76
        .size:           2
        .value_kind:     hidden_group_size_x
      - .offset:         78
        .size:           2
        .value_kind:     hidden_group_size_y
      - .offset:         80
        .size:           2
        .value_kind:     hidden_group_size_z
      - .offset:         82
        .size:           2
        .value_kind:     hidden_remainder_x
      - .offset:         84
        .size:           2
        .value_kind:     hidden_remainder_y
      - .offset:         86
        .size:           2
        .value_kind:     hidden_remainder_z
      - .offset:         104
        .size:           8
        .value_kind:     hidden_global_offset_x
      - .offset:         112
        .size:           8
        .value_kind:     hidden_global_offset_y
      - .offset:         120
        .size:           8
        .value_kind:     hidden_global_offset_z
      - .offset:         128
        .size:           2
        .value_kind:     hidden_grid_dims
      - .offset:         184
        .size:           4
        .value_kind:     hidden_dynamic_lds_size
    .group_segment_fixed_size: 0
    .kernarg_segment_align: 8
    .kernarg_segment_size: 320
    .language:       OpenCL C
    .language_version:
      - 2
      - 0
    .max_flat_workgroup_size: 1024
    .name:           _ZN2at6native12_GLOBAL__N_118cuComputeGradInputIN3c108BFloat16EfLb1EEEvPKT_S7_llPKT0_SA_S7_PS5_
    .private_segment_fixed_size: 0
    .sgpr_count:     55
    .sgpr_spill_count: 0
    .symbol:         _ZN2at6native12_GLOBAL__N_118cuComputeGradInputIN3c108BFloat16EfLb1EEEvPKT_S7_llPKT0_SA_S7_PS5_.kd
    .uniform_work_group_size: 1
    .uses_dynamic_stack: false
    .vgpr_count:     30
    .vgpr_spill_count: 0
    .wavefront_size: 64
  - .agpr_count:     0
    .args:
      - .actual_access:  read_only
        .address_space:  global
        .offset:         0
        .size:           8
        .value_kind:     global_buffer
      - .actual_access:  read_only
        .address_space:  global
        .offset:         8
        .size:           8
        .value_kind:     global_buffer
      - .actual_access:  read_only
        .address_space:  global
        .offset:         16
        .size:           8
        .value_kind:     global_buffer
      - .actual_access:  read_only
        .address_space:  global
        .offset:         24
        .size:           8
        .value_kind:     global_buffer
      - .actual_access:  read_only
        .address_space:  global
        .offset:         32
        .size:           8
        .value_kind:     global_buffer
      - .address_space:  global
        .offset:         40
        .size:           8
        .value_kind:     global_buffer
      - .offset:         48
        .size:           4
        .value_kind:     by_value
      - .offset:         56
        .size:           4
        .value_kind:     hidden_block_count_x
      - .offset:         60
        .size:           4
        .value_kind:     hidden_block_count_y
      - .offset:         64
        .size:           4
        .value_kind:     hidden_block_count_z
      - .offset:         68
        .size:           2
        .value_kind:     hidden_group_size_x
      - .offset:         70
        .size:           2
        .value_kind:     hidden_group_size_y
      - .offset:         72
        .size:           2
        .value_kind:     hidden_group_size_z
      - .offset:         74
        .size:           2
        .value_kind:     hidden_remainder_x
      - .offset:         76
        .size:           2
        .value_kind:     hidden_remainder_y
      - .offset:         78
        .size:           2
        .value_kind:     hidden_remainder_z
      - .offset:         96
        .size:           8
        .value_kind:     hidden_global_offset_x
      - .offset:         104
        .size:           8
        .value_kind:     hidden_global_offset_y
      - .offset:         112
        .size:           8
        .value_kind:     hidden_global_offset_z
      - .offset:         120
        .size:           2
        .value_kind:     hidden_grid_dims
      - .offset:         176
        .size:           4
        .value_kind:     hidden_dynamic_lds_size
    .group_segment_fixed_size: 0
    .kernarg_segment_align: 8
    .kernarg_segment_size: 312
    .language:       OpenCL C
    .language_version:
      - 2
      - 0
    .max_flat_workgroup_size: 1024
    .name:           _ZN2at6native12_GLOBAL__N_128layer_norm_grad_input_kernelIN3c108BFloat16EfLb1EEEvPKT_S7_PKT0_SA_S7_PS5_i
    .private_segment_fixed_size: 0
    .sgpr_count:     33
    .sgpr_spill_count: 0
    .symbol:         _ZN2at6native12_GLOBAL__N_128layer_norm_grad_input_kernelIN3c108BFloat16EfLb1EEEvPKT_S7_PKT0_SA_S7_PS5_i.kd
    .uniform_work_group_size: 1
    .uses_dynamic_stack: false
    .vgpr_count:     20
    .vgpr_spill_count: 0
    .wavefront_size: 64
  - .agpr_count:     0
    .args:
      - .offset:         0
        .size:           8
        .value_kind:     by_value
      - .offset:         8
        .size:           8
        .value_kind:     by_value
      - .address_space:  global
        .offset:         16
        .size:           8
        .value_kind:     global_buffer
      - .address_space:  global
        .offset:         24
        .size:           8
        .value_kind:     global_buffer
      - .address_space:  global
        .offset:         32
        .size:           8
        .value_kind:     global_buffer
      - .address_space:  global
        .offset:         40
        .size:           8
        .value_kind:     global_buffer
      - .address_space:  global
        .offset:         48
        .size:           8
        .value_kind:     global_buffer
      - .address_space:  global
        .offset:         56
        .size:           8
        .value_kind:     global_buffer
      - .offset:         64
        .size:           4
        .value_kind:     hidden_block_count_x
      - .offset:         68
        .size:           4
        .value_kind:     hidden_block_count_y
      - .offset:         72
        .size:           4
        .value_kind:     hidden_block_count_z
      - .offset:         76
        .size:           2
        .value_kind:     hidden_group_size_x
      - .offset:         78
        .size:           2
        .value_kind:     hidden_group_size_y
      - .offset:         80
        .size:           2
        .value_kind:     hidden_group_size_z
      - .offset:         82
        .size:           2
        .value_kind:     hidden_remainder_x
      - .offset:         84
        .size:           2
        .value_kind:     hidden_remainder_y
      - .offset:         86
        .size:           2
        .value_kind:     hidden_remainder_z
      - .offset:         104
        .size:           8
        .value_kind:     hidden_global_offset_x
      - .offset:         112
        .size:           8
        .value_kind:     hidden_global_offset_y
      - .offset:         120
        .size:           8
        .value_kind:     hidden_global_offset_z
      - .offset:         128
        .size:           2
        .value_kind:     hidden_grid_dims
    .group_segment_fixed_size: 0
    .kernarg_segment_align: 8
    .kernarg_segment_size: 320
    .language:       OpenCL C
    .language_version:
      - 2
      - 0
    .max_flat_workgroup_size: 1024
    .name:           _ZN2at6native12_GLOBAL__N_133GammaBetaBackwardSimpleCUDAKernelIN3c108BFloat16EfLb1EEEvllPKT_S7_PKT0_SA_PS5_SB_
    .private_segment_fixed_size: 0
    .sgpr_count:     22
    .sgpr_spill_count: 0
    .symbol:         _ZN2at6native12_GLOBAL__N_133GammaBetaBackwardSimpleCUDAKernelIN3c108BFloat16EfLb1EEEvllPKT_S7_PKT0_SA_PS5_SB_.kd
    .uniform_work_group_size: 1
    .uses_dynamic_stack: false
    .vgpr_count:     11
    .vgpr_spill_count: 0
    .wavefront_size: 64
  - .agpr_count:     0
    .args:
      - .offset:         0
        .size:           8
        .value_kind:     by_value
      - .offset:         8
        .size:           8
        .value_kind:     by_value
      - .actual_access:  read_only
        .address_space:  global
        .offset:         16
        .size:           8
        .value_kind:     global_buffer
      - .actual_access:  read_only
        .address_space:  global
        .offset:         24
        .size:           8
        .value_kind:     global_buffer
      - .actual_access:  read_only
        .address_space:  global
        .offset:         32
        .size:           8
        .value_kind:     global_buffer
      - .actual_access:  read_only
        .address_space:  global
        .offset:         40
        .size:           8
        .value_kind:     global_buffer
      - .actual_access:  write_only
        .address_space:  global
        .offset:         48
        .size:           8
        .value_kind:     global_buffer
      - .actual_access:  read_only
        .address_space:  global
        .offset:         56
        .size:           8
        .value_kind:     global_buffer
      - .offset:         64
        .size:           4
        .value_kind:     hidden_block_count_x
      - .offset:         68
        .size:           4
        .value_kind:     hidden_block_count_y
      - .offset:         72
        .size:           4
        .value_kind:     hidden_block_count_z
      - .offset:         76
        .size:           2
        .value_kind:     hidden_group_size_x
      - .offset:         78
        .size:           2
        .value_kind:     hidden_group_size_y
      - .offset:         80
        .size:           2
        .value_kind:     hidden_group_size_z
      - .offset:         82
        .size:           2
        .value_kind:     hidden_remainder_x
      - .offset:         84
        .size:           2
        .value_kind:     hidden_remainder_y
      - .offset:         86
        .size:           2
        .value_kind:     hidden_remainder_z
      - .offset:         104
        .size:           8
        .value_kind:     hidden_global_offset_x
      - .offset:         112
        .size:           8
        .value_kind:     hidden_global_offset_y
      - .offset:         120
        .size:           8
        .value_kind:     hidden_global_offset_z
      - .offset:         128
        .size:           2
        .value_kind:     hidden_grid_dims
    .group_segment_fixed_size: 0
    .kernarg_segment_align: 8
    .kernarg_segment_size: 320
    .language:       OpenCL C
    .language_version:
      - 2
      - 0
    .max_flat_workgroup_size: 64
    .name:           _ZN2at6native12_GLOBAL__N_135GammaBetaBackwardCUDAKernelTemplateIN3c108BFloat16EfLj64ELj1ELj32ELb1ELb1ELb1EEEvllPKT_S7_PKT0_SA_PS5_SB_
    .private_segment_fixed_size: 0
    .sgpr_count:     38
    .sgpr_spill_count: 0
    .symbol:         _ZN2at6native12_GLOBAL__N_135GammaBetaBackwardCUDAKernelTemplateIN3c108BFloat16EfLj64ELj1ELj32ELb1ELb1ELb1EEEvllPKT_S7_PKT0_SA_PS5_SB_.kd
    .uniform_work_group_size: 1
    .uses_dynamic_stack: false
    .vgpr_count:     66
    .vgpr_spill_count: 0
    .wavefront_size: 64
  - .agpr_count:     96
    .args:
      - .offset:         0
        .size:           8
        .value_kind:     by_value
      - .offset:         8
        .size:           8
        .value_kind:     by_value
      - .actual_access:  read_only
        .address_space:  global
        .offset:         16
        .size:           8
        .value_kind:     global_buffer
      - .actual_access:  read_only
        .address_space:  global
        .offset:         24
        .size:           8
        .value_kind:     global_buffer
      - .actual_access:  read_only
        .address_space:  global
        .offset:         32
        .size:           8
        .value_kind:     global_buffer
      - .actual_access:  read_only
        .address_space:  global
        .offset:         40
        .size:           8
        .value_kind:     global_buffer
      - .actual_access:  write_only
        .address_space:  global
        .offset:         48
        .size:           8
        .value_kind:     global_buffer
      - .actual_access:  read_only
        .address_space:  global
        .offset:         56
        .size:           8
        .value_kind:     global_buffer
      - .offset:         64
        .size:           4
        .value_kind:     hidden_block_count_x
      - .offset:         68
        .size:           4
        .value_kind:     hidden_block_count_y
      - .offset:         72
        .size:           4
        .value_kind:     hidden_block_count_z
      - .offset:         76
        .size:           2
        .value_kind:     hidden_group_size_x
      - .offset:         78
        .size:           2
        .value_kind:     hidden_group_size_y
      - .offset:         80
        .size:           2
        .value_kind:     hidden_group_size_z
      - .offset:         82
        .size:           2
        .value_kind:     hidden_remainder_x
      - .offset:         84
        .size:           2
        .value_kind:     hidden_remainder_y
      - .offset:         86
        .size:           2
        .value_kind:     hidden_remainder_z
      - .offset:         104
        .size:           8
        .value_kind:     hidden_global_offset_x
      - .offset:         112
        .size:           8
        .value_kind:     hidden_global_offset_y
      - .offset:         120
        .size:           8
        .value_kind:     hidden_global_offset_z
      - .offset:         128
        .size:           2
        .value_kind:     hidden_grid_dims
    .group_segment_fixed_size: 0
    .kernarg_segment_align: 8
    .kernarg_segment_size: 320
    .language:       OpenCL C
    .language_version:
      - 2
      - 0
    .max_flat_workgroup_size: 64
    .name:           _ZN2at6native12_GLOBAL__N_135GammaBetaBackwardCUDAKernelTemplateIN3c108BFloat16EfLj64ELj1ELj32ELb1ELb0ELb1EEEvllPKT_S7_PKT0_SA_PS5_SB_
    .private_segment_fixed_size: 0
    .sgpr_count:     44
    .sgpr_spill_count: 0
    .symbol:         _ZN2at6native12_GLOBAL__N_135GammaBetaBackwardCUDAKernelTemplateIN3c108BFloat16EfLj64ELj1ELj32ELb1ELb0ELb1EEEvllPKT_S7_PKT0_SA_PS5_SB_.kd
    .uniform_work_group_size: 1
    .uses_dynamic_stack: false
    .vgpr_count:     352
    .vgpr_spill_count: 0
    .wavefront_size: 64
  - .agpr_count:     0
    .args:
      - .offset:         0
        .size:           8
        .value_kind:     by_value
      - .offset:         8
        .size:           8
        .value_kind:     by_value
      - .actual_access:  read_only
        .address_space:  global
        .offset:         16
        .size:           8
        .value_kind:     global_buffer
      - .actual_access:  read_only
        .address_space:  global
        .offset:         24
        .size:           8
        .value_kind:     global_buffer
      - .actual_access:  read_only
        .address_space:  global
        .offset:         32
        .size:           8
        .value_kind:     global_buffer
      - .actual_access:  read_only
        .address_space:  global
        .offset:         40
        .size:           8
        .value_kind:     global_buffer
      - .actual_access:  write_only
        .address_space:  global
        .offset:         48
        .size:           8
        .value_kind:     global_buffer
      - .actual_access:  read_only
        .address_space:  global
        .offset:         56
        .size:           8
        .value_kind:     global_buffer
      - .offset:         64
        .size:           4
        .value_kind:     hidden_block_count_x
      - .offset:         68
        .size:           4
        .value_kind:     hidden_block_count_y
      - .offset:         72
        .size:           4
        .value_kind:     hidden_block_count_z
      - .offset:         76
        .size:           2
        .value_kind:     hidden_group_size_x
      - .offset:         78
        .size:           2
        .value_kind:     hidden_group_size_y
      - .offset:         80
        .size:           2
        .value_kind:     hidden_group_size_z
      - .offset:         82
        .size:           2
        .value_kind:     hidden_remainder_x
      - .offset:         84
        .size:           2
        .value_kind:     hidden_remainder_y
      - .offset:         86
        .size:           2
        .value_kind:     hidden_remainder_z
      - .offset:         104
        .size:           8
        .value_kind:     hidden_global_offset_x
      - .offset:         112
        .size:           8
        .value_kind:     hidden_global_offset_y
      - .offset:         120
        .size:           8
        .value_kind:     hidden_global_offset_z
      - .offset:         128
        .size:           2
        .value_kind:     hidden_grid_dims
    .group_segment_fixed_size: 0
    .kernarg_segment_align: 8
    .kernarg_segment_size: 320
    .language:       OpenCL C
    .language_version:
      - 2
      - 0
    .max_flat_workgroup_size: 64
    .name:           _ZN2at6native12_GLOBAL__N_135GammaBetaBackwardCUDAKernelTemplateIN3c108BFloat16EfLj64ELj1ELj8ELb1ELb1ELb1EEEvllPKT_S7_PKT0_SA_PS5_SB_
    .private_segment_fixed_size: 0
    .sgpr_count:     38
    .sgpr_spill_count: 0
    .symbol:         _ZN2at6native12_GLOBAL__N_135GammaBetaBackwardCUDAKernelTemplateIN3c108BFloat16EfLj64ELj1ELj8ELb1ELb1ELb1EEEvllPKT_S7_PKT0_SA_PS5_SB_.kd
    .uniform_work_group_size: 1
    .uses_dynamic_stack: false
    .vgpr_count:     48
    .vgpr_spill_count: 0
    .wavefront_size: 64
  - .agpr_count:     0
    .args:
      - .offset:         0
        .size:           8
        .value_kind:     by_value
      - .offset:         8
        .size:           8
        .value_kind:     by_value
      - .actual_access:  read_only
        .address_space:  global
        .offset:         16
        .size:           8
        .value_kind:     global_buffer
      - .actual_access:  read_only
        .address_space:  global
        .offset:         24
        .size:           8
        .value_kind:     global_buffer
      - .actual_access:  read_only
        .address_space:  global
        .offset:         32
        .size:           8
        .value_kind:     global_buffer
      - .actual_access:  read_only
        .address_space:  global
        .offset:         40
        .size:           8
        .value_kind:     global_buffer
      - .actual_access:  write_only
        .address_space:  global
        .offset:         48
        .size:           8
        .value_kind:     global_buffer
      - .actual_access:  read_only
        .address_space:  global
        .offset:         56
        .size:           8
        .value_kind:     global_buffer
      - .offset:         64
        .size:           4
        .value_kind:     hidden_block_count_x
      - .offset:         68
        .size:           4
        .value_kind:     hidden_block_count_y
      - .offset:         72
        .size:           4
        .value_kind:     hidden_block_count_z
      - .offset:         76
        .size:           2
        .value_kind:     hidden_group_size_x
      - .offset:         78
        .size:           2
        .value_kind:     hidden_group_size_y
      - .offset:         80
        .size:           2
        .value_kind:     hidden_group_size_z
      - .offset:         82
        .size:           2
        .value_kind:     hidden_remainder_x
      - .offset:         84
        .size:           2
        .value_kind:     hidden_remainder_y
      - .offset:         86
        .size:           2
        .value_kind:     hidden_remainder_z
      - .offset:         104
        .size:           8
        .value_kind:     hidden_global_offset_x
      - .offset:         112
        .size:           8
        .value_kind:     hidden_global_offset_y
      - .offset:         120
        .size:           8
        .value_kind:     hidden_global_offset_z
      - .offset:         128
        .size:           2
        .value_kind:     hidden_grid_dims
    .group_segment_fixed_size: 0
    .kernarg_segment_align: 8
    .kernarg_segment_size: 320
    .language:       OpenCL C
    .language_version:
      - 2
      - 0
    .max_flat_workgroup_size: 64
    .name:           _ZN2at6native12_GLOBAL__N_135GammaBetaBackwardCUDAKernelTemplateIN3c108BFloat16EfLj64ELj1ELj8ELb1ELb0ELb1EEEvllPKT_S7_PKT0_SA_PS5_SB_
    .private_segment_fixed_size: 0
    .sgpr_count:     44
    .sgpr_spill_count: 0
    .symbol:         _ZN2at6native12_GLOBAL__N_135GammaBetaBackwardCUDAKernelTemplateIN3c108BFloat16EfLj64ELj1ELj8ELb1ELb0ELb1EEEvllPKT_S7_PKT0_SA_PS5_SB_.kd
    .uniform_work_group_size: 1
    .uses_dynamic_stack: false
    .vgpr_count:     118
    .vgpr_spill_count: 0
    .wavefront_size: 64
  - .agpr_count:     0
    .args:
      - .offset:         0
        .size:           8
        .value_kind:     by_value
      - .offset:         8
        .size:           8
        .value_kind:     by_value
      - .actual_access:  read_only
        .address_space:  global
        .offset:         16
        .size:           8
        .value_kind:     global_buffer
      - .actual_access:  read_only
        .address_space:  global
        .offset:         24
        .size:           8
        .value_kind:     global_buffer
      - .actual_access:  read_only
        .address_space:  global
        .offset:         32
        .size:           8
        .value_kind:     global_buffer
      - .actual_access:  read_only
        .address_space:  global
        .offset:         40
        .size:           8
        .value_kind:     global_buffer
      - .actual_access:  write_only
        .address_space:  global
        .offset:         48
        .size:           8
        .value_kind:     global_buffer
      - .actual_access:  read_only
        .address_space:  global
        .offset:         56
        .size:           8
        .value_kind:     global_buffer
      - .offset:         64
        .size:           4
        .value_kind:     hidden_block_count_x
      - .offset:         68
        .size:           4
        .value_kind:     hidden_block_count_y
      - .offset:         72
        .size:           4
        .value_kind:     hidden_block_count_z
      - .offset:         76
        .size:           2
        .value_kind:     hidden_group_size_x
      - .offset:         78
        .size:           2
        .value_kind:     hidden_group_size_y
      - .offset:         80
        .size:           2
        .value_kind:     hidden_group_size_z
      - .offset:         82
        .size:           2
        .value_kind:     hidden_remainder_x
      - .offset:         84
        .size:           2
        .value_kind:     hidden_remainder_y
      - .offset:         86
        .size:           2
        .value_kind:     hidden_remainder_z
      - .offset:         104
        .size:           8
        .value_kind:     hidden_global_offset_x
      - .offset:         112
        .size:           8
        .value_kind:     hidden_global_offset_y
      - .offset:         120
        .size:           8
        .value_kind:     hidden_global_offset_z
      - .offset:         128
        .size:           2
        .value_kind:     hidden_grid_dims
      - .offset:         184
        .size:           4
        .value_kind:     hidden_dynamic_lds_size
    .group_segment_fixed_size: 0
    .kernarg_segment_align: 8
    .kernarg_segment_size: 320
    .language:       OpenCL C
    .language_version:
      - 2
      - 0
    .max_flat_workgroup_size: 512
    .name:           _ZN2at6native12_GLOBAL__N_135GammaBetaBackwardCUDAKernelTemplateIN3c108BFloat16EfLj64ELj8ELj64ELb0ELb1ELb1EEEvllPKT_S7_PKT0_SA_PS5_SB_
    .private_segment_fixed_size: 0
    .sgpr_count:     32
    .sgpr_spill_count: 0
    .symbol:         _ZN2at6native12_GLOBAL__N_135GammaBetaBackwardCUDAKernelTemplateIN3c108BFloat16EfLj64ELj8ELj64ELb0ELb1ELb1EEEvllPKT_S7_PKT0_SA_PS5_SB_.kd
    .uniform_work_group_size: 1
    .uses_dynamic_stack: false
    .vgpr_count:     49
    .vgpr_spill_count: 0
    .wavefront_size: 64
  - .agpr_count:     0
    .args:
      - .offset:         0
        .size:           8
        .value_kind:     by_value
      - .offset:         8
        .size:           8
        .value_kind:     by_value
      - .actual_access:  read_only
        .address_space:  global
        .offset:         16
        .size:           8
        .value_kind:     global_buffer
      - .actual_access:  read_only
        .address_space:  global
        .offset:         24
        .size:           8
        .value_kind:     global_buffer
      - .actual_access:  read_only
        .address_space:  global
        .offset:         32
        .size:           8
        .value_kind:     global_buffer
      - .actual_access:  read_only
        .address_space:  global
        .offset:         40
        .size:           8
        .value_kind:     global_buffer
      - .actual_access:  write_only
        .address_space:  global
        .offset:         48
        .size:           8
        .value_kind:     global_buffer
      - .actual_access:  read_only
        .address_space:  global
        .offset:         56
        .size:           8
        .value_kind:     global_buffer
      - .offset:         64
        .size:           4
        .value_kind:     hidden_block_count_x
      - .offset:         68
        .size:           4
        .value_kind:     hidden_block_count_y
      - .offset:         72
        .size:           4
        .value_kind:     hidden_block_count_z
      - .offset:         76
        .size:           2
        .value_kind:     hidden_group_size_x
      - .offset:         78
        .size:           2
        .value_kind:     hidden_group_size_y
      - .offset:         80
        .size:           2
        .value_kind:     hidden_group_size_z
      - .offset:         82
        .size:           2
        .value_kind:     hidden_remainder_x
      - .offset:         84
        .size:           2
        .value_kind:     hidden_remainder_y
      - .offset:         86
        .size:           2
        .value_kind:     hidden_remainder_z
      - .offset:         104
        .size:           8
        .value_kind:     hidden_global_offset_x
      - .offset:         112
        .size:           8
        .value_kind:     hidden_global_offset_y
      - .offset:         120
        .size:           8
        .value_kind:     hidden_global_offset_z
      - .offset:         128
        .size:           2
        .value_kind:     hidden_grid_dims
      - .offset:         184
        .size:           4
        .value_kind:     hidden_dynamic_lds_size
    .group_segment_fixed_size: 0
    .kernarg_segment_align: 8
    .kernarg_segment_size: 320
    .language:       OpenCL C
    .language_version:
      - 2
      - 0
    .max_flat_workgroup_size: 512
    .name:           _ZN2at6native12_GLOBAL__N_135GammaBetaBackwardCUDAKernelTemplateIN3c108BFloat16EfLj64ELj8ELj64ELb0ELb0ELb1EEEvllPKT_S7_PKT0_SA_PS5_SB_
    .private_segment_fixed_size: 0
    .sgpr_count:     56
    .sgpr_spill_count: 0
    .symbol:         _ZN2at6native12_GLOBAL__N_135GammaBetaBackwardCUDAKernelTemplateIN3c108BFloat16EfLj64ELj8ELj64ELb0ELb0ELb1EEEvllPKT_S7_PKT0_SA_PS5_SB_.kd
    .uniform_work_group_size: 1
    .uses_dynamic_stack: false
    .vgpr_count:     118
    .vgpr_spill_count: 0
    .wavefront_size: 64
  - .agpr_count:     0
    .args:
      - .offset:         0
        .size:           8
        .value_kind:     by_value
      - .offset:         8
        .size:           8
        .value_kind:     by_value
      - .actual_access:  read_only
        .address_space:  global
        .offset:         16
        .size:           8
        .value_kind:     global_buffer
      - .actual_access:  read_only
        .address_space:  global
        .offset:         24
        .size:           8
        .value_kind:     global_buffer
      - .actual_access:  read_only
        .address_space:  global
        .offset:         32
        .size:           8
        .value_kind:     global_buffer
      - .actual_access:  read_only
        .address_space:  global
        .offset:         40
        .size:           8
        .value_kind:     global_buffer
      - .actual_access:  write_only
        .address_space:  global
        .offset:         48
        .size:           8
        .value_kind:     global_buffer
      - .actual_access:  read_only
        .address_space:  global
        .offset:         56
        .size:           8
        .value_kind:     global_buffer
      - .offset:         64
        .size:           4
        .value_kind:     hidden_block_count_x
      - .offset:         68
        .size:           4
        .value_kind:     hidden_block_count_y
      - .offset:         72
        .size:           4
        .value_kind:     hidden_block_count_z
      - .offset:         76
        .size:           2
        .value_kind:     hidden_group_size_x
      - .offset:         78
        .size:           2
        .value_kind:     hidden_group_size_y
      - .offset:         80
        .size:           2
        .value_kind:     hidden_group_size_z
      - .offset:         82
        .size:           2
        .value_kind:     hidden_remainder_x
      - .offset:         84
        .size:           2
        .value_kind:     hidden_remainder_y
      - .offset:         86
        .size:           2
        .value_kind:     hidden_remainder_z
      - .offset:         104
        .size:           8
        .value_kind:     hidden_global_offset_x
      - .offset:         112
        .size:           8
        .value_kind:     hidden_global_offset_y
      - .offset:         120
        .size:           8
        .value_kind:     hidden_global_offset_z
      - .offset:         128
        .size:           2
        .value_kind:     hidden_grid_dims
      - .offset:         184
        .size:           4
        .value_kind:     hidden_dynamic_lds_size
    .group_segment_fixed_size: 0
    .kernarg_segment_align: 8
    .kernarg_segment_size: 320
    .language:       OpenCL C
    .language_version:
      - 2
      - 0
    .max_flat_workgroup_size: 1024
    .name:           _ZN2at6native12_GLOBAL__N_135GammaBetaBackwardCUDAKernelTemplateIN3c108BFloat16EfLj64ELj16ELj128ELb0ELb1ELb1EEEvllPKT_S7_PKT0_SA_PS5_SB_
    .private_segment_fixed_size: 0
    .sgpr_count:     32
    .sgpr_spill_count: 0
    .symbol:         _ZN2at6native12_GLOBAL__N_135GammaBetaBackwardCUDAKernelTemplateIN3c108BFloat16EfLj64ELj16ELj128ELb0ELb1ELb1EEEvllPKT_S7_PKT0_SA_PS5_SB_.kd
    .uniform_work_group_size: 1
    .uses_dynamic_stack: false
    .vgpr_count:     49
    .vgpr_spill_count: 0
    .wavefront_size: 64
  - .agpr_count:     0
    .args:
      - .offset:         0
        .size:           8
        .value_kind:     by_value
      - .offset:         8
        .size:           8
        .value_kind:     by_value
      - .actual_access:  read_only
        .address_space:  global
        .offset:         16
        .size:           8
        .value_kind:     global_buffer
      - .actual_access:  read_only
        .address_space:  global
        .offset:         24
        .size:           8
        .value_kind:     global_buffer
      - .actual_access:  read_only
        .address_space:  global
        .offset:         32
        .size:           8
        .value_kind:     global_buffer
      - .actual_access:  read_only
        .address_space:  global
        .offset:         40
        .size:           8
        .value_kind:     global_buffer
      - .actual_access:  write_only
        .address_space:  global
        .offset:         48
        .size:           8
        .value_kind:     global_buffer
      - .actual_access:  read_only
        .address_space:  global
        .offset:         56
        .size:           8
        .value_kind:     global_buffer
      - .offset:         64
        .size:           4
        .value_kind:     hidden_block_count_x
      - .offset:         68
        .size:           4
        .value_kind:     hidden_block_count_y
      - .offset:         72
        .size:           4
        .value_kind:     hidden_block_count_z
      - .offset:         76
        .size:           2
        .value_kind:     hidden_group_size_x
      - .offset:         78
        .size:           2
        .value_kind:     hidden_group_size_y
      - .offset:         80
        .size:           2
        .value_kind:     hidden_group_size_z
      - .offset:         82
        .size:           2
        .value_kind:     hidden_remainder_x
      - .offset:         84
        .size:           2
        .value_kind:     hidden_remainder_y
      - .offset:         86
        .size:           2
        .value_kind:     hidden_remainder_z
      - .offset:         104
        .size:           8
        .value_kind:     hidden_global_offset_x
      - .offset:         112
        .size:           8
        .value_kind:     hidden_global_offset_y
      - .offset:         120
        .size:           8
        .value_kind:     hidden_global_offset_z
      - .offset:         128
        .size:           2
        .value_kind:     hidden_grid_dims
      - .offset:         184
        .size:           4
        .value_kind:     hidden_dynamic_lds_size
    .group_segment_fixed_size: 0
    .kernarg_segment_align: 8
    .kernarg_segment_size: 320
    .language:       OpenCL C
    .language_version:
      - 2
      - 0
    .max_flat_workgroup_size: 1024
    .name:           _ZN2at6native12_GLOBAL__N_135GammaBetaBackwardCUDAKernelTemplateIN3c108BFloat16EfLj64ELj16ELj128ELb0ELb0ELb1EEEvllPKT_S7_PKT0_SA_PS5_SB_
    .private_segment_fixed_size: 0
    .sgpr_count:     56
    .sgpr_spill_count: 0
    .symbol:         _ZN2at6native12_GLOBAL__N_135GammaBetaBackwardCUDAKernelTemplateIN3c108BFloat16EfLj64ELj16ELj128ELb0ELb0ELb1EEEvllPKT_S7_PKT0_SA_PS5_SB_.kd
    .uniform_work_group_size: 1
    .uses_dynamic_stack: false
    .vgpr_count:     109
    .vgpr_spill_count: 0
    .wavefront_size: 64
  - .agpr_count:     0
    .args:
      - .offset:         0
        .size:           8
        .value_kind:     by_value
      - .offset:         8
        .size:           8
        .value_kind:     by_value
      - .actual_access:  read_only
        .address_space:  global
        .offset:         16
        .size:           8
        .value_kind:     global_buffer
      - .actual_access:  read_only
        .address_space:  global
        .offset:         24
        .size:           8
        .value_kind:     global_buffer
      - .actual_access:  read_only
        .address_space:  global
        .offset:         32
        .size:           8
        .value_kind:     global_buffer
      - .actual_access:  read_only
        .address_space:  global
        .offset:         40
        .size:           8
        .value_kind:     global_buffer
      - .actual_access:  write_only
        .address_space:  global
        .offset:         48
        .size:           8
        .value_kind:     global_buffer
      - .actual_access:  read_only
        .address_space:  global
        .offset:         56
        .size:           8
        .value_kind:     global_buffer
      - .offset:         64
        .size:           4
        .value_kind:     hidden_block_count_x
      - .offset:         68
        .size:           4
        .value_kind:     hidden_block_count_y
      - .offset:         72
        .size:           4
        .value_kind:     hidden_block_count_z
      - .offset:         76
        .size:           2
        .value_kind:     hidden_group_size_x
      - .offset:         78
        .size:           2
        .value_kind:     hidden_group_size_y
      - .offset:         80
        .size:           2
        .value_kind:     hidden_group_size_z
      - .offset:         82
        .size:           2
        .value_kind:     hidden_remainder_x
      - .offset:         84
        .size:           2
        .value_kind:     hidden_remainder_y
      - .offset:         86
        .size:           2
        .value_kind:     hidden_remainder_z
      - .offset:         104
        .size:           8
        .value_kind:     hidden_global_offset_x
      - .offset:         112
        .size:           8
        .value_kind:     hidden_global_offset_y
      - .offset:         120
        .size:           8
        .value_kind:     hidden_global_offset_z
      - .offset:         128
        .size:           2
        .value_kind:     hidden_grid_dims
      - .offset:         184
        .size:           4
        .value_kind:     hidden_dynamic_lds_size
    .group_segment_fixed_size: 0
    .kernarg_segment_align: 8
    .kernarg_segment_size: 320
    .language:       OpenCL C
    .language_version:
      - 2
      - 0
    .max_flat_workgroup_size: 1024
    .name:           _ZN2at6native12_GLOBAL__N_135GammaBetaBackwardCUDAKernelTemplateIN3c108BFloat16EfLj64ELj16ELj256ELb0ELb1ELb1EEEvllPKT_S7_PKT0_SA_PS5_SB_
    .private_segment_fixed_size: 0
    .sgpr_count:     32
    .sgpr_spill_count: 0
    .symbol:         _ZN2at6native12_GLOBAL__N_135GammaBetaBackwardCUDAKernelTemplateIN3c108BFloat16EfLj64ELj16ELj256ELb0ELb1ELb1EEEvllPKT_S7_PKT0_SA_PS5_SB_.kd
    .uniform_work_group_size: 1
    .uses_dynamic_stack: false
    .vgpr_count:     67
    .vgpr_spill_count: 0
    .wavefront_size: 64
  - .agpr_count:     0
    .args:
      - .offset:         0
        .size:           8
        .value_kind:     by_value
      - .offset:         8
        .size:           8
        .value_kind:     by_value
      - .actual_access:  read_only
        .address_space:  global
        .offset:         16
        .size:           8
        .value_kind:     global_buffer
      - .actual_access:  read_only
        .address_space:  global
        .offset:         24
        .size:           8
        .value_kind:     global_buffer
      - .actual_access:  read_only
        .address_space:  global
        .offset:         32
        .size:           8
        .value_kind:     global_buffer
      - .actual_access:  read_only
        .address_space:  global
        .offset:         40
        .size:           8
        .value_kind:     global_buffer
      - .actual_access:  write_only
        .address_space:  global
        .offset:         48
        .size:           8
        .value_kind:     global_buffer
      - .actual_access:  read_only
        .address_space:  global
        .offset:         56
        .size:           8
        .value_kind:     global_buffer
      - .offset:         64
        .size:           4
        .value_kind:     hidden_block_count_x
      - .offset:         68
        .size:           4
        .value_kind:     hidden_block_count_y
      - .offset:         72
        .size:           4
        .value_kind:     hidden_block_count_z
      - .offset:         76
        .size:           2
        .value_kind:     hidden_group_size_x
      - .offset:         78
        .size:           2
        .value_kind:     hidden_group_size_y
      - .offset:         80
        .size:           2
        .value_kind:     hidden_group_size_z
      - .offset:         82
        .size:           2
        .value_kind:     hidden_remainder_x
      - .offset:         84
        .size:           2
        .value_kind:     hidden_remainder_y
      - .offset:         86
        .size:           2
        .value_kind:     hidden_remainder_z
      - .offset:         104
        .size:           8
        .value_kind:     hidden_global_offset_x
      - .offset:         112
        .size:           8
        .value_kind:     hidden_global_offset_y
      - .offset:         120
        .size:           8
        .value_kind:     hidden_global_offset_z
      - .offset:         128
        .size:           2
        .value_kind:     hidden_grid_dims
      - .offset:         184
        .size:           4
        .value_kind:     hidden_dynamic_lds_size
    .group_segment_fixed_size: 0
    .kernarg_segment_align: 8
    .kernarg_segment_size: 320
    .language:       OpenCL C
    .language_version:
      - 2
      - 0
    .max_flat_workgroup_size: 1024
    .name:           _ZN2at6native12_GLOBAL__N_135GammaBetaBackwardCUDAKernelTemplateIN3c108BFloat16EfLj64ELj16ELj256ELb0ELb0ELb1EEEvllPKT_S7_PKT0_SA_PS5_SB_
    .private_segment_fixed_size: 184
    .sgpr_count:     72
    .sgpr_spill_count: 0
    .symbol:         _ZN2at6native12_GLOBAL__N_135GammaBetaBackwardCUDAKernelTemplateIN3c108BFloat16EfLj64ELj16ELj256ELb0ELb0ELb1EEEvllPKT_S7_PKT0_SA_PS5_SB_.kd
    .uniform_work_group_size: 1
    .uses_dynamic_stack: false
    .vgpr_count:     128
    .vgpr_spill_count: 87
    .wavefront_size: 64
  - .agpr_count:     0
    .args:
      - .offset:         0
        .size:           8
        .value_kind:     by_value
      - .offset:         8
        .size:           8
        .value_kind:     by_value
      - .actual_access:  read_only
        .address_space:  global
        .offset:         16
        .size:           8
        .value_kind:     global_buffer
      - .actual_access:  read_only
        .address_space:  global
        .offset:         24
        .size:           8
        .value_kind:     global_buffer
      - .actual_access:  read_only
        .address_space:  global
        .offset:         32
        .size:           8
        .value_kind:     global_buffer
      - .actual_access:  read_only
        .address_space:  global
        .offset:         40
        .size:           8
        .value_kind:     global_buffer
      - .actual_access:  write_only
        .address_space:  global
        .offset:         48
        .size:           8
        .value_kind:     global_buffer
      - .actual_access:  read_only
        .address_space:  global
        .offset:         56
        .size:           8
        .value_kind:     global_buffer
      - .offset:         64
        .size:           4
        .value_kind:     hidden_block_count_x
      - .offset:         68
        .size:           4
        .value_kind:     hidden_block_count_y
      - .offset:         72
        .size:           4
        .value_kind:     hidden_block_count_z
      - .offset:         76
        .size:           2
        .value_kind:     hidden_group_size_x
      - .offset:         78
        .size:           2
        .value_kind:     hidden_group_size_y
      - .offset:         80
        .size:           2
        .value_kind:     hidden_group_size_z
      - .offset:         82
        .size:           2
        .value_kind:     hidden_remainder_x
      - .offset:         84
        .size:           2
        .value_kind:     hidden_remainder_y
      - .offset:         86
        .size:           2
        .value_kind:     hidden_remainder_z
      - .offset:         104
        .size:           8
        .value_kind:     hidden_global_offset_x
      - .offset:         112
        .size:           8
        .value_kind:     hidden_global_offset_y
      - .offset:         120
        .size:           8
        .value_kind:     hidden_global_offset_z
      - .offset:         128
        .size:           2
        .value_kind:     hidden_grid_dims
    .group_segment_fixed_size: 0
    .kernarg_segment_align: 8
    .kernarg_segment_size: 320
    .language:       OpenCL C
    .language_version:
      - 2
      - 0
    .max_flat_workgroup_size: 32
    .name:           _ZN2at6native12_GLOBAL__N_135GammaBetaBackwardCUDAKernelTemplateIN3c108BFloat16EfLj32ELj1ELj32ELb1ELb1ELb1EEEvllPKT_S7_PKT0_SA_PS5_SB_
    .private_segment_fixed_size: 0
    .sgpr_count:     38
    .sgpr_spill_count: 0
    .symbol:         _ZN2at6native12_GLOBAL__N_135GammaBetaBackwardCUDAKernelTemplateIN3c108BFloat16EfLj32ELj1ELj32ELb1ELb1ELb1EEEvllPKT_S7_PKT0_SA_PS5_SB_.kd
    .uniform_work_group_size: 1
    .uses_dynamic_stack: false
    .vgpr_count:     66
    .vgpr_spill_count: 0
    .wavefront_size: 64
  - .agpr_count:     96
    .args:
      - .offset:         0
        .size:           8
        .value_kind:     by_value
      - .offset:         8
        .size:           8
        .value_kind:     by_value
      - .actual_access:  read_only
        .address_space:  global
        .offset:         16
        .size:           8
        .value_kind:     global_buffer
      - .actual_access:  read_only
        .address_space:  global
        .offset:         24
        .size:           8
        .value_kind:     global_buffer
      - .actual_access:  read_only
        .address_space:  global
        .offset:         32
        .size:           8
        .value_kind:     global_buffer
      - .actual_access:  read_only
        .address_space:  global
        .offset:         40
        .size:           8
        .value_kind:     global_buffer
      - .actual_access:  write_only
        .address_space:  global
        .offset:         48
        .size:           8
        .value_kind:     global_buffer
      - .actual_access:  read_only
        .address_space:  global
        .offset:         56
        .size:           8
        .value_kind:     global_buffer
      - .offset:         64
        .size:           4
        .value_kind:     hidden_block_count_x
      - .offset:         68
        .size:           4
        .value_kind:     hidden_block_count_y
      - .offset:         72
        .size:           4
        .value_kind:     hidden_block_count_z
      - .offset:         76
        .size:           2
        .value_kind:     hidden_group_size_x
      - .offset:         78
        .size:           2
        .value_kind:     hidden_group_size_y
      - .offset:         80
        .size:           2
        .value_kind:     hidden_group_size_z
      - .offset:         82
        .size:           2
        .value_kind:     hidden_remainder_x
      - .offset:         84
        .size:           2
        .value_kind:     hidden_remainder_y
      - .offset:         86
        .size:           2
        .value_kind:     hidden_remainder_z
      - .offset:         104
        .size:           8
        .value_kind:     hidden_global_offset_x
      - .offset:         112
        .size:           8
        .value_kind:     hidden_global_offset_y
      - .offset:         120
        .size:           8
        .value_kind:     hidden_global_offset_z
      - .offset:         128
        .size:           2
        .value_kind:     hidden_grid_dims
    .group_segment_fixed_size: 0
    .kernarg_segment_align: 8
    .kernarg_segment_size: 320
    .language:       OpenCL C
    .language_version:
      - 2
      - 0
    .max_flat_workgroup_size: 32
    .name:           _ZN2at6native12_GLOBAL__N_135GammaBetaBackwardCUDAKernelTemplateIN3c108BFloat16EfLj32ELj1ELj32ELb1ELb0ELb1EEEvllPKT_S7_PKT0_SA_PS5_SB_
    .private_segment_fixed_size: 0
    .sgpr_count:     44
    .sgpr_spill_count: 0
    .symbol:         _ZN2at6native12_GLOBAL__N_135GammaBetaBackwardCUDAKernelTemplateIN3c108BFloat16EfLj32ELj1ELj32ELb1ELb0ELb1EEEvllPKT_S7_PKT0_SA_PS5_SB_.kd
    .uniform_work_group_size: 1
    .uses_dynamic_stack: false
    .vgpr_count:     352
    .vgpr_spill_count: 0
    .wavefront_size: 64
  - .agpr_count:     0
    .args:
      - .offset:         0
        .size:           8
        .value_kind:     by_value
      - .offset:         8
        .size:           8
        .value_kind:     by_value
      - .actual_access:  read_only
        .address_space:  global
        .offset:         16
        .size:           8
        .value_kind:     global_buffer
      - .actual_access:  read_only
        .address_space:  global
        .offset:         24
        .size:           8
        .value_kind:     global_buffer
      - .actual_access:  read_only
        .address_space:  global
        .offset:         32
        .size:           8
        .value_kind:     global_buffer
      - .actual_access:  read_only
        .address_space:  global
        .offset:         40
        .size:           8
        .value_kind:     global_buffer
      - .actual_access:  write_only
        .address_space:  global
        .offset:         48
        .size:           8
        .value_kind:     global_buffer
      - .actual_access:  read_only
        .address_space:  global
        .offset:         56
        .size:           8
        .value_kind:     global_buffer
      - .offset:         64
        .size:           4
        .value_kind:     hidden_block_count_x
      - .offset:         68
        .size:           4
        .value_kind:     hidden_block_count_y
      - .offset:         72
        .size:           4
        .value_kind:     hidden_block_count_z
      - .offset:         76
        .size:           2
        .value_kind:     hidden_group_size_x
      - .offset:         78
        .size:           2
        .value_kind:     hidden_group_size_y
      - .offset:         80
        .size:           2
        .value_kind:     hidden_group_size_z
      - .offset:         82
        .size:           2
        .value_kind:     hidden_remainder_x
      - .offset:         84
        .size:           2
        .value_kind:     hidden_remainder_y
      - .offset:         86
        .size:           2
        .value_kind:     hidden_remainder_z
      - .offset:         104
        .size:           8
        .value_kind:     hidden_global_offset_x
      - .offset:         112
        .size:           8
        .value_kind:     hidden_global_offset_y
      - .offset:         120
        .size:           8
        .value_kind:     hidden_global_offset_z
      - .offset:         128
        .size:           2
        .value_kind:     hidden_grid_dims
    .group_segment_fixed_size: 0
    .kernarg_segment_align: 8
    .kernarg_segment_size: 320
    .language:       OpenCL C
    .language_version:
      - 2
      - 0
    .max_flat_workgroup_size: 32
    .name:           _ZN2at6native12_GLOBAL__N_135GammaBetaBackwardCUDAKernelTemplateIN3c108BFloat16EfLj32ELj1ELj8ELb1ELb1ELb1EEEvllPKT_S7_PKT0_SA_PS5_SB_
    .private_segment_fixed_size: 0
    .sgpr_count:     38
    .sgpr_spill_count: 0
    .symbol:         _ZN2at6native12_GLOBAL__N_135GammaBetaBackwardCUDAKernelTemplateIN3c108BFloat16EfLj32ELj1ELj8ELb1ELb1ELb1EEEvllPKT_S7_PKT0_SA_PS5_SB_.kd
    .uniform_work_group_size: 1
    .uses_dynamic_stack: false
    .vgpr_count:     48
    .vgpr_spill_count: 0
    .wavefront_size: 64
  - .agpr_count:     0
    .args:
      - .offset:         0
        .size:           8
        .value_kind:     by_value
      - .offset:         8
        .size:           8
        .value_kind:     by_value
      - .actual_access:  read_only
        .address_space:  global
        .offset:         16
        .size:           8
        .value_kind:     global_buffer
      - .actual_access:  read_only
        .address_space:  global
        .offset:         24
        .size:           8
        .value_kind:     global_buffer
      - .actual_access:  read_only
        .address_space:  global
        .offset:         32
        .size:           8
        .value_kind:     global_buffer
      - .actual_access:  read_only
        .address_space:  global
        .offset:         40
        .size:           8
        .value_kind:     global_buffer
      - .actual_access:  write_only
        .address_space:  global
        .offset:         48
        .size:           8
        .value_kind:     global_buffer
      - .actual_access:  read_only
        .address_space:  global
        .offset:         56
        .size:           8
        .value_kind:     global_buffer
      - .offset:         64
        .size:           4
        .value_kind:     hidden_block_count_x
      - .offset:         68
        .size:           4
        .value_kind:     hidden_block_count_y
      - .offset:         72
        .size:           4
        .value_kind:     hidden_block_count_z
      - .offset:         76
        .size:           2
        .value_kind:     hidden_group_size_x
      - .offset:         78
        .size:           2
        .value_kind:     hidden_group_size_y
      - .offset:         80
        .size:           2
        .value_kind:     hidden_group_size_z
      - .offset:         82
        .size:           2
        .value_kind:     hidden_remainder_x
      - .offset:         84
        .size:           2
        .value_kind:     hidden_remainder_y
      - .offset:         86
        .size:           2
        .value_kind:     hidden_remainder_z
      - .offset:         104
        .size:           8
        .value_kind:     hidden_global_offset_x
      - .offset:         112
        .size:           8
        .value_kind:     hidden_global_offset_y
      - .offset:         120
        .size:           8
        .value_kind:     hidden_global_offset_z
      - .offset:         128
        .size:           2
        .value_kind:     hidden_grid_dims
    .group_segment_fixed_size: 0
    .kernarg_segment_align: 8
    .kernarg_segment_size: 320
    .language:       OpenCL C
    .language_version:
      - 2
      - 0
    .max_flat_workgroup_size: 32
    .name:           _ZN2at6native12_GLOBAL__N_135GammaBetaBackwardCUDAKernelTemplateIN3c108BFloat16EfLj32ELj1ELj8ELb1ELb0ELb1EEEvllPKT_S7_PKT0_SA_PS5_SB_
    .private_segment_fixed_size: 0
    .sgpr_count:     44
    .sgpr_spill_count: 0
    .symbol:         _ZN2at6native12_GLOBAL__N_135GammaBetaBackwardCUDAKernelTemplateIN3c108BFloat16EfLj32ELj1ELj8ELb1ELb0ELb1EEEvllPKT_S7_PKT0_SA_PS5_SB_.kd
    .uniform_work_group_size: 1
    .uses_dynamic_stack: false
    .vgpr_count:     118
    .vgpr_spill_count: 0
    .wavefront_size: 64
  - .agpr_count:     0
    .args:
      - .offset:         0
        .size:           8
        .value_kind:     by_value
      - .offset:         8
        .size:           8
        .value_kind:     by_value
      - .actual_access:  read_only
        .address_space:  global
        .offset:         16
        .size:           8
        .value_kind:     global_buffer
      - .actual_access:  read_only
        .address_space:  global
        .offset:         24
        .size:           8
        .value_kind:     global_buffer
      - .actual_access:  read_only
        .address_space:  global
        .offset:         32
        .size:           8
        .value_kind:     global_buffer
      - .actual_access:  read_only
        .address_space:  global
        .offset:         40
        .size:           8
        .value_kind:     global_buffer
      - .actual_access:  write_only
        .address_space:  global
        .offset:         48
        .size:           8
        .value_kind:     global_buffer
      - .actual_access:  read_only
        .address_space:  global
        .offset:         56
        .size:           8
        .value_kind:     global_buffer
      - .offset:         64
        .size:           4
        .value_kind:     hidden_block_count_x
      - .offset:         68
        .size:           4
        .value_kind:     hidden_block_count_y
      - .offset:         72
        .size:           4
        .value_kind:     hidden_block_count_z
      - .offset:         76
        .size:           2
        .value_kind:     hidden_group_size_x
      - .offset:         78
        .size:           2
        .value_kind:     hidden_group_size_y
      - .offset:         80
        .size:           2
        .value_kind:     hidden_group_size_z
      - .offset:         82
        .size:           2
        .value_kind:     hidden_remainder_x
      - .offset:         84
        .size:           2
        .value_kind:     hidden_remainder_y
      - .offset:         86
        .size:           2
        .value_kind:     hidden_remainder_z
      - .offset:         104
        .size:           8
        .value_kind:     hidden_global_offset_x
      - .offset:         112
        .size:           8
        .value_kind:     hidden_global_offset_y
      - .offset:         120
        .size:           8
        .value_kind:     hidden_global_offset_z
      - .offset:         128
        .size:           2
        .value_kind:     hidden_grid_dims
      - .offset:         184
        .size:           4
        .value_kind:     hidden_dynamic_lds_size
    .group_segment_fixed_size: 0
    .kernarg_segment_align: 8
    .kernarg_segment_size: 320
    .language:       OpenCL C
    .language_version:
      - 2
      - 0
    .max_flat_workgroup_size: 256
    .name:           _ZN2at6native12_GLOBAL__N_135GammaBetaBackwardCUDAKernelTemplateIN3c108BFloat16EfLj32ELj8ELj64ELb0ELb1ELb1EEEvllPKT_S7_PKT0_SA_PS5_SB_
    .private_segment_fixed_size: 0
    .sgpr_count:     32
    .sgpr_spill_count: 0
    .symbol:         _ZN2at6native12_GLOBAL__N_135GammaBetaBackwardCUDAKernelTemplateIN3c108BFloat16EfLj32ELj8ELj64ELb0ELb1ELb1EEEvllPKT_S7_PKT0_SA_PS5_SB_.kd
    .uniform_work_group_size: 1
    .uses_dynamic_stack: false
    .vgpr_count:     49
    .vgpr_spill_count: 0
    .wavefront_size: 64
  - .agpr_count:     0
    .args:
      - .offset:         0
        .size:           8
        .value_kind:     by_value
      - .offset:         8
        .size:           8
        .value_kind:     by_value
      - .actual_access:  read_only
        .address_space:  global
        .offset:         16
        .size:           8
        .value_kind:     global_buffer
      - .actual_access:  read_only
        .address_space:  global
        .offset:         24
        .size:           8
        .value_kind:     global_buffer
      - .actual_access:  read_only
        .address_space:  global
        .offset:         32
        .size:           8
        .value_kind:     global_buffer
      - .actual_access:  read_only
        .address_space:  global
        .offset:         40
        .size:           8
        .value_kind:     global_buffer
      - .actual_access:  write_only
        .address_space:  global
        .offset:         48
        .size:           8
        .value_kind:     global_buffer
      - .actual_access:  read_only
        .address_space:  global
        .offset:         56
        .size:           8
        .value_kind:     global_buffer
      - .offset:         64
        .size:           4
        .value_kind:     hidden_block_count_x
      - .offset:         68
        .size:           4
        .value_kind:     hidden_block_count_y
      - .offset:         72
        .size:           4
        .value_kind:     hidden_block_count_z
      - .offset:         76
        .size:           2
        .value_kind:     hidden_group_size_x
      - .offset:         78
        .size:           2
        .value_kind:     hidden_group_size_y
      - .offset:         80
        .size:           2
        .value_kind:     hidden_group_size_z
      - .offset:         82
        .size:           2
        .value_kind:     hidden_remainder_x
      - .offset:         84
        .size:           2
        .value_kind:     hidden_remainder_y
      - .offset:         86
        .size:           2
        .value_kind:     hidden_remainder_z
      - .offset:         104
        .size:           8
        .value_kind:     hidden_global_offset_x
      - .offset:         112
        .size:           8
        .value_kind:     hidden_global_offset_y
      - .offset:         120
        .size:           8
        .value_kind:     hidden_global_offset_z
      - .offset:         128
        .size:           2
        .value_kind:     hidden_grid_dims
      - .offset:         184
        .size:           4
        .value_kind:     hidden_dynamic_lds_size
    .group_segment_fixed_size: 0
    .kernarg_segment_align: 8
    .kernarg_segment_size: 320
    .language:       OpenCL C
    .language_version:
      - 2
      - 0
    .max_flat_workgroup_size: 256
    .name:           _ZN2at6native12_GLOBAL__N_135GammaBetaBackwardCUDAKernelTemplateIN3c108BFloat16EfLj32ELj8ELj64ELb0ELb0ELb1EEEvllPKT_S7_PKT0_SA_PS5_SB_
    .private_segment_fixed_size: 0
    .sgpr_count:     56
    .sgpr_spill_count: 0
    .symbol:         _ZN2at6native12_GLOBAL__N_135GammaBetaBackwardCUDAKernelTemplateIN3c108BFloat16EfLj32ELj8ELj64ELb0ELb0ELb1EEEvllPKT_S7_PKT0_SA_PS5_SB_.kd
    .uniform_work_group_size: 1
    .uses_dynamic_stack: false
    .vgpr_count:     118
    .vgpr_spill_count: 0
    .wavefront_size: 64
  - .agpr_count:     0
    .args:
      - .offset:         0
        .size:           8
        .value_kind:     by_value
      - .offset:         8
        .size:           8
        .value_kind:     by_value
      - .actual_access:  read_only
        .address_space:  global
        .offset:         16
        .size:           8
        .value_kind:     global_buffer
      - .actual_access:  read_only
        .address_space:  global
        .offset:         24
        .size:           8
        .value_kind:     global_buffer
      - .actual_access:  read_only
        .address_space:  global
        .offset:         32
        .size:           8
        .value_kind:     global_buffer
      - .actual_access:  read_only
        .address_space:  global
        .offset:         40
        .size:           8
        .value_kind:     global_buffer
      - .actual_access:  write_only
        .address_space:  global
        .offset:         48
        .size:           8
        .value_kind:     global_buffer
      - .actual_access:  read_only
        .address_space:  global
        .offset:         56
        .size:           8
        .value_kind:     global_buffer
      - .offset:         64
        .size:           4
        .value_kind:     hidden_block_count_x
      - .offset:         68
        .size:           4
        .value_kind:     hidden_block_count_y
      - .offset:         72
        .size:           4
        .value_kind:     hidden_block_count_z
      - .offset:         76
        .size:           2
        .value_kind:     hidden_group_size_x
      - .offset:         78
        .size:           2
        .value_kind:     hidden_group_size_y
      - .offset:         80
        .size:           2
        .value_kind:     hidden_group_size_z
      - .offset:         82
        .size:           2
        .value_kind:     hidden_remainder_x
      - .offset:         84
        .size:           2
        .value_kind:     hidden_remainder_y
      - .offset:         86
        .size:           2
        .value_kind:     hidden_remainder_z
      - .offset:         104
        .size:           8
        .value_kind:     hidden_global_offset_x
      - .offset:         112
        .size:           8
        .value_kind:     hidden_global_offset_y
      - .offset:         120
        .size:           8
        .value_kind:     hidden_global_offset_z
      - .offset:         128
        .size:           2
        .value_kind:     hidden_grid_dims
      - .offset:         184
        .size:           4
        .value_kind:     hidden_dynamic_lds_size
    .group_segment_fixed_size: 0
    .kernarg_segment_align: 8
    .kernarg_segment_size: 320
    .language:       OpenCL C
    .language_version:
      - 2
      - 0
    .max_flat_workgroup_size: 512
    .name:           _ZN2at6native12_GLOBAL__N_135GammaBetaBackwardCUDAKernelTemplateIN3c108BFloat16EfLj32ELj16ELj128ELb0ELb1ELb1EEEvllPKT_S7_PKT0_SA_PS5_SB_
    .private_segment_fixed_size: 0
    .sgpr_count:     32
    .sgpr_spill_count: 0
    .symbol:         _ZN2at6native12_GLOBAL__N_135GammaBetaBackwardCUDAKernelTemplateIN3c108BFloat16EfLj32ELj16ELj128ELb0ELb1ELb1EEEvllPKT_S7_PKT0_SA_PS5_SB_.kd
    .uniform_work_group_size: 1
    .uses_dynamic_stack: false
    .vgpr_count:     49
    .vgpr_spill_count: 0
    .wavefront_size: 64
  - .agpr_count:     0
    .args:
      - .offset:         0
        .size:           8
        .value_kind:     by_value
      - .offset:         8
        .size:           8
        .value_kind:     by_value
      - .actual_access:  read_only
        .address_space:  global
        .offset:         16
        .size:           8
        .value_kind:     global_buffer
      - .actual_access:  read_only
        .address_space:  global
        .offset:         24
        .size:           8
        .value_kind:     global_buffer
      - .actual_access:  read_only
        .address_space:  global
        .offset:         32
        .size:           8
        .value_kind:     global_buffer
      - .actual_access:  read_only
        .address_space:  global
        .offset:         40
        .size:           8
        .value_kind:     global_buffer
      - .actual_access:  write_only
        .address_space:  global
        .offset:         48
        .size:           8
        .value_kind:     global_buffer
      - .actual_access:  read_only
        .address_space:  global
        .offset:         56
        .size:           8
        .value_kind:     global_buffer
      - .offset:         64
        .size:           4
        .value_kind:     hidden_block_count_x
      - .offset:         68
        .size:           4
        .value_kind:     hidden_block_count_y
      - .offset:         72
        .size:           4
        .value_kind:     hidden_block_count_z
      - .offset:         76
        .size:           2
        .value_kind:     hidden_group_size_x
      - .offset:         78
        .size:           2
        .value_kind:     hidden_group_size_y
      - .offset:         80
        .size:           2
        .value_kind:     hidden_group_size_z
      - .offset:         82
        .size:           2
        .value_kind:     hidden_remainder_x
      - .offset:         84
        .size:           2
        .value_kind:     hidden_remainder_y
      - .offset:         86
        .size:           2
        .value_kind:     hidden_remainder_z
      - .offset:         104
        .size:           8
        .value_kind:     hidden_global_offset_x
      - .offset:         112
        .size:           8
        .value_kind:     hidden_global_offset_y
      - .offset:         120
        .size:           8
        .value_kind:     hidden_global_offset_z
      - .offset:         128
        .size:           2
        .value_kind:     hidden_grid_dims
      - .offset:         184
        .size:           4
        .value_kind:     hidden_dynamic_lds_size
    .group_segment_fixed_size: 0
    .kernarg_segment_align: 8
    .kernarg_segment_size: 320
    .language:       OpenCL C
    .language_version:
      - 2
      - 0
    .max_flat_workgroup_size: 512
    .name:           _ZN2at6native12_GLOBAL__N_135GammaBetaBackwardCUDAKernelTemplateIN3c108BFloat16EfLj32ELj16ELj128ELb0ELb0ELb1EEEvllPKT_S7_PKT0_SA_PS5_SB_
    .private_segment_fixed_size: 0
    .sgpr_count:     56
    .sgpr_spill_count: 0
    .symbol:         _ZN2at6native12_GLOBAL__N_135GammaBetaBackwardCUDAKernelTemplateIN3c108BFloat16EfLj32ELj16ELj128ELb0ELb0ELb1EEEvllPKT_S7_PKT0_SA_PS5_SB_.kd
    .uniform_work_group_size: 1
    .uses_dynamic_stack: false
    .vgpr_count:     118
    .vgpr_spill_count: 0
    .wavefront_size: 64
  - .agpr_count:     0
    .args:
      - .offset:         0
        .size:           8
        .value_kind:     by_value
      - .offset:         8
        .size:           8
        .value_kind:     by_value
      - .actual_access:  read_only
        .address_space:  global
        .offset:         16
        .size:           8
        .value_kind:     global_buffer
      - .actual_access:  read_only
        .address_space:  global
        .offset:         24
        .size:           8
        .value_kind:     global_buffer
      - .actual_access:  read_only
        .address_space:  global
        .offset:         32
        .size:           8
        .value_kind:     global_buffer
      - .actual_access:  read_only
        .address_space:  global
        .offset:         40
        .size:           8
        .value_kind:     global_buffer
      - .actual_access:  write_only
        .address_space:  global
        .offset:         48
        .size:           8
        .value_kind:     global_buffer
      - .actual_access:  read_only
        .address_space:  global
        .offset:         56
        .size:           8
        .value_kind:     global_buffer
      - .offset:         64
        .size:           4
        .value_kind:     hidden_block_count_x
      - .offset:         68
        .size:           4
        .value_kind:     hidden_block_count_y
      - .offset:         72
        .size:           4
        .value_kind:     hidden_block_count_z
      - .offset:         76
        .size:           2
        .value_kind:     hidden_group_size_x
      - .offset:         78
        .size:           2
        .value_kind:     hidden_group_size_y
      - .offset:         80
        .size:           2
        .value_kind:     hidden_group_size_z
      - .offset:         82
        .size:           2
        .value_kind:     hidden_remainder_x
      - .offset:         84
        .size:           2
        .value_kind:     hidden_remainder_y
      - .offset:         86
        .size:           2
        .value_kind:     hidden_remainder_z
      - .offset:         104
        .size:           8
        .value_kind:     hidden_global_offset_x
      - .offset:         112
        .size:           8
        .value_kind:     hidden_global_offset_y
      - .offset:         120
        .size:           8
        .value_kind:     hidden_global_offset_z
      - .offset:         128
        .size:           2
        .value_kind:     hidden_grid_dims
      - .offset:         184
        .size:           4
        .value_kind:     hidden_dynamic_lds_size
    .group_segment_fixed_size: 0
    .kernarg_segment_align: 8
    .kernarg_segment_size: 320
    .language:       OpenCL C
    .language_version:
      - 2
      - 0
    .max_flat_workgroup_size: 1024
    .name:           _ZN2at6native12_GLOBAL__N_135GammaBetaBackwardCUDAKernelTemplateIN3c108BFloat16EfLj32ELj32ELj256ELb0ELb1ELb1EEEvllPKT_S7_PKT0_SA_PS5_SB_
    .private_segment_fixed_size: 0
    .sgpr_count:     32
    .sgpr_spill_count: 0
    .symbol:         _ZN2at6native12_GLOBAL__N_135GammaBetaBackwardCUDAKernelTemplateIN3c108BFloat16EfLj32ELj32ELj256ELb0ELb1ELb1EEEvllPKT_S7_PKT0_SA_PS5_SB_.kd
    .uniform_work_group_size: 1
    .uses_dynamic_stack: false
    .vgpr_count:     49
    .vgpr_spill_count: 0
    .wavefront_size: 64
  - .agpr_count:     0
    .args:
      - .offset:         0
        .size:           8
        .value_kind:     by_value
      - .offset:         8
        .size:           8
        .value_kind:     by_value
      - .actual_access:  read_only
        .address_space:  global
        .offset:         16
        .size:           8
        .value_kind:     global_buffer
      - .actual_access:  read_only
        .address_space:  global
        .offset:         24
        .size:           8
        .value_kind:     global_buffer
      - .actual_access:  read_only
        .address_space:  global
        .offset:         32
        .size:           8
        .value_kind:     global_buffer
      - .actual_access:  read_only
        .address_space:  global
        .offset:         40
        .size:           8
        .value_kind:     global_buffer
      - .actual_access:  write_only
        .address_space:  global
        .offset:         48
        .size:           8
        .value_kind:     global_buffer
      - .actual_access:  read_only
        .address_space:  global
        .offset:         56
        .size:           8
        .value_kind:     global_buffer
      - .offset:         64
        .size:           4
        .value_kind:     hidden_block_count_x
      - .offset:         68
        .size:           4
        .value_kind:     hidden_block_count_y
      - .offset:         72
        .size:           4
        .value_kind:     hidden_block_count_z
      - .offset:         76
        .size:           2
        .value_kind:     hidden_group_size_x
      - .offset:         78
        .size:           2
        .value_kind:     hidden_group_size_y
      - .offset:         80
        .size:           2
        .value_kind:     hidden_group_size_z
      - .offset:         82
        .size:           2
        .value_kind:     hidden_remainder_x
      - .offset:         84
        .size:           2
        .value_kind:     hidden_remainder_y
      - .offset:         86
        .size:           2
        .value_kind:     hidden_remainder_z
      - .offset:         104
        .size:           8
        .value_kind:     hidden_global_offset_x
      - .offset:         112
        .size:           8
        .value_kind:     hidden_global_offset_y
      - .offset:         120
        .size:           8
        .value_kind:     hidden_global_offset_z
      - .offset:         128
        .size:           2
        .value_kind:     hidden_grid_dims
      - .offset:         184
        .size:           4
        .value_kind:     hidden_dynamic_lds_size
    .group_segment_fixed_size: 0
    .kernarg_segment_align: 8
    .kernarg_segment_size: 320
    .language:       OpenCL C
    .language_version:
      - 2
      - 0
    .max_flat_workgroup_size: 1024
    .name:           _ZN2at6native12_GLOBAL__N_135GammaBetaBackwardCUDAKernelTemplateIN3c108BFloat16EfLj32ELj32ELj256ELb0ELb0ELb1EEEvllPKT_S7_PKT0_SA_PS5_SB_
    .private_segment_fixed_size: 0
    .sgpr_count:     56
    .sgpr_spill_count: 0
    .symbol:         _ZN2at6native12_GLOBAL__N_135GammaBetaBackwardCUDAKernelTemplateIN3c108BFloat16EfLj32ELj32ELj256ELb0ELb0ELb1EEEvllPKT_S7_PKT0_SA_PS5_SB_.kd
    .uniform_work_group_size: 1
    .uses_dynamic_stack: false
    .vgpr_count:     109
    .vgpr_spill_count: 0
    .wavefront_size: 64
amdhsa.target:   amdgcn-amd-amdhsa--gfx950
amdhsa.version:
  - 1
  - 2
...

	.end_amdgpu_metadata
